;; amdgpu-corpus repo=pytorch/pytorch kind=compiled arch=gfx90a opt=O3
	.text
	.amdgcn_target "amdgcn-amd-amdhsa--gfx90a"
	.amdhsa_code_object_version 6
	.section	.text._ZN2at6native29vectorized_elementwise_kernelILi16ENS0_13AUnaryFunctorIdddZZZNS0_12_GLOBAL__N_133hermite_polynomial_he_kernel_cudaERNS_18TensorIteratorBaseEENKUlvE_clEvENKUlvE_clEvEUlddE_EESt5arrayIPcLm2EEEEviT0_T1_,"axG",@progbits,_ZN2at6native29vectorized_elementwise_kernelILi16ENS0_13AUnaryFunctorIdddZZZNS0_12_GLOBAL__N_133hermite_polynomial_he_kernel_cudaERNS_18TensorIteratorBaseEENKUlvE_clEvENKUlvE_clEvEUlddE_EESt5arrayIPcLm2EEEEviT0_T1_,comdat
	.globl	_ZN2at6native29vectorized_elementwise_kernelILi16ENS0_13AUnaryFunctorIdddZZZNS0_12_GLOBAL__N_133hermite_polynomial_he_kernel_cudaERNS_18TensorIteratorBaseEENKUlvE_clEvENKUlvE_clEvEUlddE_EESt5arrayIPcLm2EEEEviT0_T1_ ; -- Begin function _ZN2at6native29vectorized_elementwise_kernelILi16ENS0_13AUnaryFunctorIdddZZZNS0_12_GLOBAL__N_133hermite_polynomial_he_kernel_cudaERNS_18TensorIteratorBaseEENKUlvE_clEvENKUlvE_clEvEUlddE_EESt5arrayIPcLm2EEEEviT0_T1_
	.p2align	8
	.type	_ZN2at6native29vectorized_elementwise_kernelILi16ENS0_13AUnaryFunctorIdddZZZNS0_12_GLOBAL__N_133hermite_polynomial_he_kernel_cudaERNS_18TensorIteratorBaseEENKUlvE_clEvENKUlvE_clEvEUlddE_EESt5arrayIPcLm2EEEEviT0_T1_,@function
_ZN2at6native29vectorized_elementwise_kernelILi16ENS0_13AUnaryFunctorIdddZZZNS0_12_GLOBAL__N_133hermite_polynomial_he_kernel_cudaERNS_18TensorIteratorBaseEENKUlvE_clEvENKUlvE_clEvEUlddE_EESt5arrayIPcLm2EEEEviT0_T1_: ; @_ZN2at6native29vectorized_elementwise_kernelILi16ENS0_13AUnaryFunctorIdddZZZNS0_12_GLOBAL__N_133hermite_polynomial_he_kernel_cudaERNS_18TensorIteratorBaseEENKUlvE_clEvENKUlvE_clEvEUlddE_EESt5arrayIPcLm2EEEEviT0_T1_
; %bb.0:
	s_load_dword s0, s[4:5], 0x0
	s_load_dwordx4 s[8:11], s[4:5], 0x10
	s_load_dwordx2 s[12:13], s[4:5], 0x20
	s_lshl_b32 s2, s6, 10
	s_waitcnt lgkmcnt(0)
	s_sub_i32 s22, s0, s2
	s_cmpk_gt_i32 s22, 0x3ff
	s_mov_b64 s[0:1], -1
	s_cbranch_scc0 .LBB0_50
; %bb.1:
	s_ashr_i32 s3, s2, 31
	s_lshl_b64 s[0:1], s[2:3], 3
	s_add_u32 s4, s12, s0
	s_addc_u32 s5, s13, s1
	v_lshlrev_b32_e32 v1, 5, v0
	global_load_dwordx4 v[2:5], v1, s[4:5]
	global_load_dwordx4 v[6:9], v1, s[4:5] offset:16
	s_movk_i32 s3, 0xffe0
	s_waitcnt vmcnt(1)
	v_trunc_f64_e32 v[2:3], v[2:3]
	v_ldexp_f64 v[10:11], v[2:3], s3
	v_floor_f64_e32 v[10:11], v[10:11]
	v_fmac_f64_e32 v[2:3], 0xc1f00000, v[10:11]
	v_cvt_i32_f64_e32 v11, v[10:11]
	v_cvt_u32_f64_e32 v10, v[2:3]
	v_cmp_lt_i64_e32 vcc, -1, v[10:11]
	v_pk_mov_b32 v[2:3], 0, 0
	s_and_saveexec_b64 s[4:5], vcc
	s_cbranch_execz .LBB0_13
; %bb.2:
	v_mov_b32_e32 v2, 0
	v_cmp_lt_i64_e32 vcc, 0, v[10:11]
	v_mov_b32_e32 v3, 0x3ff00000
	s_and_saveexec_b64 s[6:7], vcc
	s_cbranch_execz .LBB0_12
; %bb.3:
	v_cmp_ne_u64_e32 vcc, 1, v[10:11]
                                        ; implicit-def: $vgpr2_vgpr3
	s_and_saveexec_b64 s[14:15], vcc
	s_xor_b64 s[14:15], exec, s[14:15]
	s_cbranch_execz .LBB0_9
; %bb.4:
	s_mov_b64 s[16:17], 0x201
	v_mov_b32_e32 v2, 0
	v_cmp_gt_u64_e32 vcc, s[16:17], v[10:11]
	v_mov_b32_e32 v3, 0x7ff80000
	s_and_saveexec_b64 s[16:17], vcc
	s_cbranch_execz .LBB0_8
; %bb.5:
	v_mov_b32_e32 v12, 0
	s_mov_b64 s[20:21], 1
	s_mov_b64 s[18:19], 0
	v_pk_mov_b32 v[2:3], s[8:9], s[8:9] op_sel:[0,1]
	v_mov_b32_e32 v13, 0x3ff00000
.LBB0_6:                                ; =>This Inner Loop Header: Depth=1
	v_cvt_f64_u32_e32 v[14:15], s21
	v_cvt_f64_u32_e32 v[16:17], s20
	s_add_u32 s20, s20, 1
	v_ldexp_f64 v[14:15], v[14:15], 32
	s_addc_u32 s21, s21, 0
	v_add_f64 v[14:15], v[14:15], v[16:17]
	v_cmp_eq_u64_e32 vcc, s[20:21], v[10:11]
	v_mul_f64 v[14:15], v[12:13], v[14:15]
	s_or_b64 s[18:19], vcc, s[18:19]
	v_pk_mov_b32 v[12:13], v[2:3], v[2:3] op_sel:[0,1]
	v_fma_f64 v[2:3], s[8:9], v[2:3], -v[14:15]
	s_andn2_b64 exec, exec, s[18:19]
	s_cbranch_execnz .LBB0_6
; %bb.7:
	s_or_b64 exec, exec, s[18:19]
.LBB0_8:
	s_or_b64 exec, exec, s[16:17]
.LBB0_9:
	s_andn2_saveexec_b64 s[14:15], s[14:15]
; %bb.10:
	v_pk_mov_b32 v[2:3], s[8:9], s[8:9] op_sel:[0,1]
; %bb.11:
	s_or_b64 exec, exec, s[14:15]
.LBB0_12:
	s_or_b64 exec, exec, s[6:7]
.LBB0_13:
	s_or_b64 exec, exec, s[4:5]
	v_trunc_f64_e32 v[4:5], v[4:5]
	s_movk_i32 s3, 0xffe0
	v_ldexp_f64 v[10:11], v[4:5], s3
	v_floor_f64_e32 v[12:13], v[10:11]
	v_fmac_f64_e32 v[4:5], 0xc1f00000, v[12:13]
	v_cvt_u32_f64_e32 v10, v[4:5]
	v_cvt_i32_f64_e32 v11, v[12:13]
	v_cmp_lt_i64_e32 vcc, -1, v[10:11]
	v_pk_mov_b32 v[4:5], 0, 0
	s_and_saveexec_b64 s[4:5], vcc
	s_cbranch_execz .LBB0_25
; %bb.14:
	v_mov_b32_e32 v4, 0
	v_cmp_lt_i64_e32 vcc, 0, v[10:11]
	v_mov_b32_e32 v5, 0x3ff00000
	s_and_saveexec_b64 s[6:7], vcc
	s_cbranch_execz .LBB0_24
; %bb.15:
	v_cmp_ne_u64_e32 vcc, 1, v[10:11]
	s_and_saveexec_b64 s[14:15], vcc
	s_xor_b64 s[14:15], exec, s[14:15]
	s_cbranch_execz .LBB0_21
; %bb.16:
	s_mov_b64 s[16:17], 0x201
	v_mov_b32_e32 v4, 0
	v_cmp_gt_u64_e32 vcc, s[16:17], v[10:11]
	v_mov_b32_e32 v5, 0x7ff80000
	s_and_saveexec_b64 s[16:17], vcc
	s_cbranch_execz .LBB0_20
; %bb.17:
	v_mov_b32_e32 v12, 0
	s_mov_b64 s[20:21], 1
	s_mov_b64 s[18:19], 0
	v_pk_mov_b32 v[4:5], s[8:9], s[8:9] op_sel:[0,1]
	v_mov_b32_e32 v13, 0x3ff00000
.LBB0_18:                               ; =>This Inner Loop Header: Depth=1
	v_cvt_f64_u32_e32 v[14:15], s21
	v_cvt_f64_u32_e32 v[16:17], s20
	s_add_u32 s20, s20, 1
	v_ldexp_f64 v[14:15], v[14:15], 32
	s_addc_u32 s21, s21, 0
	v_add_f64 v[14:15], v[14:15], v[16:17]
	v_cmp_eq_u64_e32 vcc, s[20:21], v[10:11]
	v_mul_f64 v[14:15], v[12:13], v[14:15]
	s_or_b64 s[18:19], vcc, s[18:19]
	v_pk_mov_b32 v[12:13], v[4:5], v[4:5] op_sel:[0,1]
	v_fma_f64 v[4:5], s[8:9], v[4:5], -v[14:15]
	s_andn2_b64 exec, exec, s[18:19]
	s_cbranch_execnz .LBB0_18
; %bb.19:
	s_or_b64 exec, exec, s[18:19]
.LBB0_20:
	s_or_b64 exec, exec, s[16:17]
.LBB0_21:
	s_andn2_saveexec_b64 s[14:15], s[14:15]
; %bb.22:
	v_pk_mov_b32 v[4:5], s[8:9], s[8:9] op_sel:[0,1]
; %bb.23:
	s_or_b64 exec, exec, s[14:15]
.LBB0_24:
	s_or_b64 exec, exec, s[6:7]
.LBB0_25:
	s_or_b64 exec, exec, s[4:5]
	s_waitcnt vmcnt(0)
	v_trunc_f64_e32 v[6:7], v[6:7]
	s_movk_i32 s3, 0xffe0
	v_ldexp_f64 v[10:11], v[6:7], s3
	v_floor_f64_e32 v[12:13], v[10:11]
	v_fmac_f64_e32 v[6:7], 0xc1f00000, v[12:13]
	v_cvt_u32_f64_e32 v10, v[6:7]
	v_cvt_i32_f64_e32 v11, v[12:13]
	v_cmp_lt_i64_e32 vcc, -1, v[10:11]
	v_pk_mov_b32 v[6:7], 0, 0
	s_and_saveexec_b64 s[4:5], vcc
	s_cbranch_execz .LBB0_37
; %bb.26:
	v_mov_b32_e32 v6, 0
	v_cmp_lt_i64_e32 vcc, 0, v[10:11]
	v_mov_b32_e32 v7, 0x3ff00000
	s_and_saveexec_b64 s[6:7], vcc
	s_cbranch_execz .LBB0_36
; %bb.27:
	v_cmp_ne_u64_e32 vcc, 1, v[10:11]
                                        ; implicit-def: $vgpr6_vgpr7
	s_and_saveexec_b64 s[14:15], vcc
	s_xor_b64 s[14:15], exec, s[14:15]
	s_cbranch_execz .LBB0_33
; %bb.28:
	s_mov_b64 s[16:17], 0x201
	v_mov_b32_e32 v6, 0
	v_cmp_gt_u64_e32 vcc, s[16:17], v[10:11]
	v_mov_b32_e32 v7, 0x7ff80000
	s_and_saveexec_b64 s[16:17], vcc
	s_cbranch_execz .LBB0_32
; %bb.29:
	v_mov_b32_e32 v12, 0
	s_mov_b64 s[20:21], 1
	s_mov_b64 s[18:19], 0
	v_pk_mov_b32 v[6:7], s[8:9], s[8:9] op_sel:[0,1]
	v_mov_b32_e32 v13, 0x3ff00000
.LBB0_30:                               ; =>This Inner Loop Header: Depth=1
	v_cvt_f64_u32_e32 v[14:15], s21
	v_cvt_f64_u32_e32 v[16:17], s20
	s_add_u32 s20, s20, 1
	v_ldexp_f64 v[14:15], v[14:15], 32
	s_addc_u32 s21, s21, 0
	v_add_f64 v[14:15], v[14:15], v[16:17]
	v_cmp_eq_u64_e32 vcc, s[20:21], v[10:11]
	v_mul_f64 v[14:15], v[12:13], v[14:15]
	s_or_b64 s[18:19], vcc, s[18:19]
	v_pk_mov_b32 v[12:13], v[6:7], v[6:7] op_sel:[0,1]
	v_fma_f64 v[6:7], s[8:9], v[6:7], -v[14:15]
	s_andn2_b64 exec, exec, s[18:19]
	s_cbranch_execnz .LBB0_30
; %bb.31:
	s_or_b64 exec, exec, s[18:19]
.LBB0_32:
	s_or_b64 exec, exec, s[16:17]
.LBB0_33:
	s_andn2_saveexec_b64 s[14:15], s[14:15]
; %bb.34:
	v_pk_mov_b32 v[6:7], s[8:9], s[8:9] op_sel:[0,1]
; %bb.35:
	s_or_b64 exec, exec, s[14:15]
.LBB0_36:
	s_or_b64 exec, exec, s[6:7]
.LBB0_37:
	s_or_b64 exec, exec, s[4:5]
	v_trunc_f64_e32 v[8:9], v[8:9]
	s_movk_i32 s3, 0xffe0
	v_ldexp_f64 v[10:11], v[8:9], s3
	v_floor_f64_e32 v[12:13], v[10:11]
	v_fmac_f64_e32 v[8:9], 0xc1f00000, v[12:13]
	v_cvt_u32_f64_e32 v10, v[8:9]
	v_cvt_i32_f64_e32 v11, v[12:13]
	v_cmp_lt_i64_e32 vcc, -1, v[10:11]
	v_pk_mov_b32 v[8:9], 0, 0
	s_and_saveexec_b64 s[4:5], vcc
	s_cbranch_execz .LBB0_49
; %bb.38:
	v_mov_b32_e32 v8, 0
	v_cmp_lt_i64_e32 vcc, 0, v[10:11]
	v_mov_b32_e32 v9, 0x3ff00000
	s_and_saveexec_b64 s[6:7], vcc
	s_cbranch_execz .LBB0_48
; %bb.39:
	v_cmp_ne_u64_e32 vcc, 1, v[10:11]
	s_and_saveexec_b64 s[14:15], vcc
	s_xor_b64 s[14:15], exec, s[14:15]
	s_cbranch_execz .LBB0_45
; %bb.40:
	s_mov_b64 s[16:17], 0x201
	v_mov_b32_e32 v8, 0
	v_cmp_gt_u64_e32 vcc, s[16:17], v[10:11]
	v_mov_b32_e32 v9, 0x7ff80000
	s_and_saveexec_b64 s[16:17], vcc
	s_cbranch_execz .LBB0_44
; %bb.41:
	v_mov_b32_e32 v12, 0
	s_mov_b64 s[20:21], 1
	s_mov_b64 s[18:19], 0
	v_pk_mov_b32 v[8:9], s[8:9], s[8:9] op_sel:[0,1]
	v_mov_b32_e32 v13, 0x3ff00000
.LBB0_42:                               ; =>This Inner Loop Header: Depth=1
	v_cvt_f64_u32_e32 v[14:15], s21
	v_cvt_f64_u32_e32 v[16:17], s20
	s_add_u32 s20, s20, 1
	v_ldexp_f64 v[14:15], v[14:15], 32
	s_addc_u32 s21, s21, 0
	v_add_f64 v[14:15], v[14:15], v[16:17]
	v_cmp_eq_u64_e32 vcc, s[20:21], v[10:11]
	v_mul_f64 v[14:15], v[12:13], v[14:15]
	s_or_b64 s[18:19], vcc, s[18:19]
	v_pk_mov_b32 v[12:13], v[8:9], v[8:9] op_sel:[0,1]
	v_fma_f64 v[8:9], s[8:9], v[8:9], -v[14:15]
	s_andn2_b64 exec, exec, s[18:19]
	s_cbranch_execnz .LBB0_42
; %bb.43:
	s_or_b64 exec, exec, s[18:19]
.LBB0_44:
	s_or_b64 exec, exec, s[16:17]
.LBB0_45:
	s_andn2_saveexec_b64 s[14:15], s[14:15]
; %bb.46:
	v_pk_mov_b32 v[8:9], s[8:9], s[8:9] op_sel:[0,1]
; %bb.47:
	s_or_b64 exec, exec, s[14:15]
.LBB0_48:
	s_or_b64 exec, exec, s[6:7]
.LBB0_49:
	s_or_b64 exec, exec, s[4:5]
	s_add_u32 s0, s10, s0
	s_addc_u32 s1, s11, s1
	global_store_dwordx4 v1, v[2:5], s[0:1]
	global_store_dwordx4 v1, v[6:9], s[0:1] offset:16
	s_mov_b64 s[0:1], 0
.LBB0_50:
	s_and_b64 vcc, exec, s[0:1]
	s_cbranch_vccz .LBB0_107
; %bb.51:
	v_pk_mov_b32 v[16:17], 0, 0
	v_cmp_gt_i32_e32 vcc, s22, v0
	v_or_b32_e32 v10, s2, v0
	v_pk_mov_b32 v[18:19], v[16:17], v[16:17] op_sel:[0,1]
	v_mov_b32_e32 v1, v0
	s_and_saveexec_b64 s[4:5], vcc
	s_cbranch_execz .LBB0_53
; %bb.52:
	v_mov_b32_e32 v11, 0
	v_lshlrev_b64 v[2:3], 3, v[10:11]
	v_mov_b32_e32 v1, s13
	v_add_co_u32_e64 v2, s[0:1], s12, v2
	v_addc_co_u32_e64 v3, s[0:1], v1, v3, s[0:1]
	global_load_dwordx2 v[18:19], v[2:3], off
	v_or_b32_e32 v1, 0x100, v0
.LBB0_53:
	s_or_b64 exec, exec, s[4:5]
	v_cmp_gt_i32_e64 s[0:1], s22, v1
	s_and_saveexec_b64 s[4:5], s[0:1]
	s_cbranch_execz .LBB0_55
; %bb.54:
	v_add_u32_e32 v2, s2, v1
	v_mov_b32_e32 v3, 0
	v_lshlrev_b64 v[2:3], 3, v[2:3]
	v_mov_b32_e32 v4, s13
	v_add_co_u32_e64 v2, s[0:1], s12, v2
	v_addc_co_u32_e64 v3, s[0:1], v4, v3, s[0:1]
	global_load_dwordx2 v[16:17], v[2:3], off
	v_add_u32_e32 v1, 0x100, v1
.LBB0_55:
	s_or_b64 exec, exec, s[4:5]
	v_pk_mov_b32 v[12:13], 0, 0
	v_cmp_gt_i32_e64 s[0:1], s22, v1
	v_pk_mov_b32 v[14:15], v[12:13], v[12:13] op_sel:[0,1]
	s_and_saveexec_b64 s[4:5], s[0:1]
	s_cbranch_execnz .LBB0_58
; %bb.56:
	s_or_b64 exec, exec, s[4:5]
	v_cmp_gt_i32_e64 s[0:1], s22, v1
	s_and_saveexec_b64 s[4:5], s[0:1]
	s_cbranch_execnz .LBB0_59
.LBB0_57:
	s_or_b64 exec, exec, s[4:5]
                                        ; implicit-def: $vgpr2_vgpr3_vgpr4_vgpr5_vgpr6_vgpr7_vgpr8_vgpr9
	s_and_saveexec_b64 s[4:5], vcc
	s_cbranch_execnz .LBB0_60
	s_branch .LBB0_73
.LBB0_58:
	v_add_u32_e32 v2, s2, v1
	v_mov_b32_e32 v3, 0
	v_lshlrev_b64 v[2:3], 3, v[2:3]
	v_mov_b32_e32 v4, s13
	v_add_co_u32_e64 v2, s[0:1], s12, v2
	v_addc_co_u32_e64 v3, s[0:1], v4, v3, s[0:1]
	global_load_dwordx2 v[14:15], v[2:3], off
	v_add_u32_e32 v1, 0x100, v1
	s_or_b64 exec, exec, s[4:5]
	v_cmp_gt_i32_e64 s[0:1], s22, v1
	s_and_saveexec_b64 s[4:5], s[0:1]
	s_cbranch_execz .LBB0_57
.LBB0_59:
	v_add_u32_e32 v2, s2, v1
	v_mov_b32_e32 v3, 0
	v_lshlrev_b64 v[2:3], 3, v[2:3]
	v_mov_b32_e32 v1, s13
	v_add_co_u32_e64 v2, s[0:1], s12, v2
	v_addc_co_u32_e64 v3, s[0:1], v1, v3, s[0:1]
	global_load_dwordx2 v[12:13], v[2:3], off
	s_or_b64 exec, exec, s[4:5]
                                        ; implicit-def: $vgpr2_vgpr3_vgpr4_vgpr5_vgpr6_vgpr7_vgpr8_vgpr9
	s_and_saveexec_b64 s[4:5], vcc
	s_cbranch_execz .LBB0_73
.LBB0_60:
	s_waitcnt vmcnt(0)
	v_trunc_f64_e32 v[2:3], v[18:19]
	s_movk_i32 s0, 0xffe0
	v_ldexp_f64 v[4:5], v[2:3], s0
	v_floor_f64_e32 v[6:7], v[4:5]
	v_fmac_f64_e32 v[2:3], 0xc1f00000, v[6:7]
	v_cvt_i32_f64_e32 v5, v[6:7]
	v_cvt_u32_f64_e32 v4, v[2:3]
	v_cmp_lt_i64_e64 s[0:1], -1, v[4:5]
	v_pk_mov_b32 v[2:3], 0, 0
	s_and_saveexec_b64 s[6:7], s[0:1]
	s_cbranch_execz .LBB0_72
; %bb.61:
	v_mov_b32_e32 v2, 0
	v_cmp_lt_i64_e64 s[0:1], 0, v[4:5]
	v_mov_b32_e32 v3, 0x3ff00000
	s_and_saveexec_b64 s[12:13], s[0:1]
	s_cbranch_execz .LBB0_71
; %bb.62:
	v_cmp_ne_u64_e64 s[0:1], 1, v[4:5]
                                        ; implicit-def: $vgpr2_vgpr3
	s_and_saveexec_b64 s[14:15], s[0:1]
	s_xor_b64 s[14:15], exec, s[14:15]
	s_cbranch_execz .LBB0_68
; %bb.63:
	s_mov_b64 s[0:1], 0x201
	v_mov_b32_e32 v2, 0
	v_cmp_gt_u64_e64 s[0:1], s[0:1], v[4:5]
	v_mov_b32_e32 v3, 0x7ff80000
	s_and_saveexec_b64 s[16:17], s[0:1]
	s_cbranch_execz .LBB0_67
; %bb.64:
	v_mov_b32_e32 v6, 0
	s_mov_b64 s[20:21], 1
	s_mov_b64 s[18:19], 0
	v_pk_mov_b32 v[2:3], s[8:9], s[8:9] op_sel:[0,1]
	v_mov_b32_e32 v7, 0x3ff00000
.LBB0_65:                               ; =>This Inner Loop Header: Depth=1
	v_cvt_f64_u32_e32 v[8:9], s21
	v_cvt_f64_u32_e32 v[18:19], s20
	s_add_u32 s20, s20, 1
	v_ldexp_f64 v[8:9], v[8:9], 32
	s_addc_u32 s21, s21, 0
	v_add_f64 v[8:9], v[8:9], v[18:19]
	v_cmp_eq_u64_e64 s[0:1], s[20:21], v[4:5]
	v_mul_f64 v[8:9], v[6:7], v[8:9]
	s_or_b64 s[18:19], s[0:1], s[18:19]
	v_pk_mov_b32 v[6:7], v[2:3], v[2:3] op_sel:[0,1]
	v_fma_f64 v[2:3], s[8:9], v[2:3], -v[8:9]
	s_andn2_b64 exec, exec, s[18:19]
	s_cbranch_execnz .LBB0_65
; %bb.66:
	s_or_b64 exec, exec, s[18:19]
.LBB0_67:
	s_or_b64 exec, exec, s[16:17]
.LBB0_68:
	s_andn2_saveexec_b64 s[0:1], s[14:15]
; %bb.69:
	v_pk_mov_b32 v[2:3], s[8:9], s[8:9] op_sel:[0,1]
; %bb.70:
	s_or_b64 exec, exec, s[0:1]
.LBB0_71:
	s_or_b64 exec, exec, s[12:13]
.LBB0_72:
	s_or_b64 exec, exec, s[6:7]
.LBB0_73:
	s_or_b64 exec, exec, s[4:5]
	v_or_b32_e32 v1, 0x100, v0
	v_cmp_gt_i32_e64 s[0:1], s22, v1
	s_and_saveexec_b64 s[4:5], s[0:1]
	s_cbranch_execz .LBB0_87
; %bb.74:
	s_waitcnt vmcnt(0)
	v_trunc_f64_e32 v[4:5], v[16:17]
	s_movk_i32 s0, 0xffe0
	v_ldexp_f64 v[16:17], v[4:5], s0
	v_floor_f64_e32 v[18:19], v[16:17]
	v_fmac_f64_e32 v[4:5], 0xc1f00000, v[18:19]
	v_cvt_i32_f64_e32 v17, v[18:19]
	v_cvt_u32_f64_e32 v16, v[4:5]
	v_cmp_lt_i64_e64 s[0:1], -1, v[16:17]
	v_pk_mov_b32 v[4:5], 0, 0
	s_and_saveexec_b64 s[6:7], s[0:1]
	s_cbranch_execz .LBB0_86
; %bb.75:
	v_mov_b32_e32 v4, 0
	v_cmp_lt_i64_e64 s[0:1], 0, v[16:17]
	v_mov_b32_e32 v5, 0x3ff00000
	s_and_saveexec_b64 s[12:13], s[0:1]
	s_cbranch_execz .LBB0_85
; %bb.76:
	v_cmp_ne_u64_e64 s[0:1], 1, v[16:17]
	s_and_saveexec_b64 s[14:15], s[0:1]
	s_xor_b64 s[14:15], exec, s[14:15]
	s_cbranch_execz .LBB0_82
; %bb.77:
	s_mov_b64 s[0:1], 0x201
	v_mov_b32_e32 v4, 0
	v_cmp_gt_u64_e64 s[0:1], s[0:1], v[16:17]
	v_mov_b32_e32 v5, 0x7ff80000
	s_and_saveexec_b64 s[16:17], s[0:1]
	s_cbranch_execz .LBB0_81
; %bb.78:
	v_mov_b32_e32 v18, 0
	s_mov_b64 s[20:21], 1
	s_mov_b64 s[18:19], 0
	v_pk_mov_b32 v[4:5], s[8:9], s[8:9] op_sel:[0,1]
	v_mov_b32_e32 v19, 0x3ff00000
.LBB0_79:                               ; =>This Inner Loop Header: Depth=1
	v_cvt_f64_u32_e32 v[20:21], s21
	v_cvt_f64_u32_e32 v[22:23], s20
	s_add_u32 s20, s20, 1
	v_ldexp_f64 v[20:21], v[20:21], 32
	s_addc_u32 s21, s21, 0
	v_add_f64 v[20:21], v[20:21], v[22:23]
	v_cmp_eq_u64_e64 s[0:1], s[20:21], v[16:17]
	v_mul_f64 v[20:21], v[18:19], v[20:21]
	s_or_b64 s[18:19], s[0:1], s[18:19]
	v_pk_mov_b32 v[18:19], v[4:5], v[4:5] op_sel:[0,1]
	v_fma_f64 v[4:5], s[8:9], v[4:5], -v[20:21]
	s_andn2_b64 exec, exec, s[18:19]
	s_cbranch_execnz .LBB0_79
; %bb.80:
	s_or_b64 exec, exec, s[18:19]
.LBB0_81:
	s_or_b64 exec, exec, s[16:17]
.LBB0_82:
	s_andn2_saveexec_b64 s[0:1], s[14:15]
; %bb.83:
	v_pk_mov_b32 v[4:5], s[8:9], s[8:9] op_sel:[0,1]
; %bb.84:
	s_or_b64 exec, exec, s[0:1]
.LBB0_85:
	s_or_b64 exec, exec, s[12:13]
.LBB0_86:
	s_or_b64 exec, exec, s[6:7]
.LBB0_87:
	s_or_b64 exec, exec, s[4:5]
	v_or_b32_e32 v11, 0x200, v0
	v_cmp_gt_i32_e64 s[0:1], s22, v11
	s_and_saveexec_b64 s[4:5], s[0:1]
	s_cbranch_execz .LBB0_101
; %bb.88:
	s_waitcnt vmcnt(0)
	v_trunc_f64_e32 v[6:7], v[14:15]
	s_movk_i32 s0, 0xffe0
	v_ldexp_f64 v[14:15], v[6:7], s0
	v_floor_f64_e32 v[16:17], v[14:15]
	v_fmac_f64_e32 v[6:7], 0xc1f00000, v[16:17]
	v_cvt_i32_f64_e32 v15, v[16:17]
	v_cvt_u32_f64_e32 v14, v[6:7]
	v_cmp_lt_i64_e64 s[0:1], -1, v[14:15]
	v_pk_mov_b32 v[6:7], 0, 0
	s_and_saveexec_b64 s[6:7], s[0:1]
	s_cbranch_execz .LBB0_100
; %bb.89:
	v_mov_b32_e32 v6, 0
	v_cmp_lt_i64_e64 s[0:1], 0, v[14:15]
	v_mov_b32_e32 v7, 0x3ff00000
	s_and_saveexec_b64 s[12:13], s[0:1]
	s_cbranch_execz .LBB0_99
; %bb.90:
	v_cmp_ne_u64_e64 s[0:1], 1, v[14:15]
	s_and_saveexec_b64 s[14:15], s[0:1]
	s_xor_b64 s[14:15], exec, s[14:15]
	s_cbranch_execz .LBB0_96
; %bb.91:
	s_mov_b64 s[0:1], 0x201
	v_mov_b32_e32 v6, 0
	v_cmp_gt_u64_e64 s[0:1], s[0:1], v[14:15]
	v_mov_b32_e32 v7, 0x7ff80000
	s_and_saveexec_b64 s[16:17], s[0:1]
	s_cbranch_execz .LBB0_95
; %bb.92:
	v_mov_b32_e32 v16, 0
	s_mov_b64 s[20:21], 1
	s_mov_b64 s[18:19], 0
	v_pk_mov_b32 v[6:7], s[8:9], s[8:9] op_sel:[0,1]
	v_mov_b32_e32 v17, 0x3ff00000
.LBB0_93:                               ; =>This Inner Loop Header: Depth=1
	v_cvt_f64_u32_e32 v[18:19], s21
	v_cvt_f64_u32_e32 v[20:21], s20
	s_add_u32 s20, s20, 1
	v_ldexp_f64 v[18:19], v[18:19], 32
	s_addc_u32 s21, s21, 0
	v_add_f64 v[18:19], v[18:19], v[20:21]
	v_cmp_eq_u64_e64 s[0:1], s[20:21], v[14:15]
	v_mul_f64 v[18:19], v[16:17], v[18:19]
	s_or_b64 s[18:19], s[0:1], s[18:19]
	v_pk_mov_b32 v[16:17], v[6:7], v[6:7] op_sel:[0,1]
	v_fma_f64 v[6:7], s[8:9], v[6:7], -v[18:19]
	s_andn2_b64 exec, exec, s[18:19]
	s_cbranch_execnz .LBB0_93
; %bb.94:
	s_or_b64 exec, exec, s[18:19]
.LBB0_95:
	s_or_b64 exec, exec, s[16:17]
.LBB0_96:
	s_andn2_saveexec_b64 s[0:1], s[14:15]
; %bb.97:
	v_pk_mov_b32 v[6:7], s[8:9], s[8:9] op_sel:[0,1]
; %bb.98:
	s_or_b64 exec, exec, s[0:1]
.LBB0_99:
	s_or_b64 exec, exec, s[12:13]
.LBB0_100:
	s_or_b64 exec, exec, s[6:7]
.LBB0_101:
	s_or_b64 exec, exec, s[4:5]
	v_or_b32_e32 v11, 0x300, v0
	v_cmp_gt_i32_e64 s[0:1], s22, v11
	s_and_saveexec_b64 s[4:5], s[0:1]
	s_cbranch_execnz .LBB0_108
; %bb.102:
	s_or_b64 exec, exec, s[4:5]
	s_and_saveexec_b64 s[0:1], vcc
	s_xor_b64 s[0:1], exec, s[0:1]
	s_cbranch_execnz .LBB0_121
.LBB0_103:
	s_or_b64 exec, exec, s[0:1]
	v_cmp_gt_i32_e32 vcc, s22, v0
	s_and_saveexec_b64 s[0:1], vcc
	s_cbranch_execnz .LBB0_122
.LBB0_104:
	s_or_b64 exec, exec, s[0:1]
	v_cmp_gt_i32_e32 vcc, s22, v0
	s_and_saveexec_b64 s[0:1], vcc
	s_cbranch_execnz .LBB0_123
.LBB0_105:
	s_or_b64 exec, exec, s[0:1]
	v_cmp_gt_i32_e32 vcc, s22, v0
	s_and_saveexec_b64 s[0:1], vcc
	s_cbranch_execz .LBB0_107
.LBB0_106:
	v_add_u32_e32 v0, s2, v0
	v_mov_b32_e32 v1, 0
	v_lshlrev_b64 v[0:1], 3, v[0:1]
	v_mov_b32_e32 v2, s11
	v_add_co_u32_e32 v0, vcc, s10, v0
	v_addc_co_u32_e32 v1, vcc, v2, v1, vcc
	global_store_dwordx2 v[0:1], v[8:9], off
.LBB0_107:
	s_endpgm
.LBB0_108:
	s_waitcnt vmcnt(0)
	v_trunc_f64_e32 v[8:9], v[12:13]
	s_movk_i32 s0, 0xffe0
	v_ldexp_f64 v[12:13], v[8:9], s0
	v_floor_f64_e32 v[14:15], v[12:13]
	v_fmac_f64_e32 v[8:9], 0xc1f00000, v[14:15]
	v_cvt_i32_f64_e32 v13, v[14:15]
	v_cvt_u32_f64_e32 v12, v[8:9]
	v_cmp_lt_i64_e64 s[0:1], -1, v[12:13]
	v_pk_mov_b32 v[8:9], 0, 0
	s_and_saveexec_b64 s[6:7], s[0:1]
	s_cbranch_execz .LBB0_120
; %bb.109:
	v_mov_b32_e32 v8, 0
	v_cmp_lt_i64_e64 s[0:1], 0, v[12:13]
	v_mov_b32_e32 v9, 0x3ff00000
	s_and_saveexec_b64 s[12:13], s[0:1]
	s_cbranch_execz .LBB0_119
; %bb.110:
	v_cmp_ne_u64_e64 s[0:1], 1, v[12:13]
	s_and_saveexec_b64 s[14:15], s[0:1]
	s_xor_b64 s[14:15], exec, s[14:15]
	s_cbranch_execz .LBB0_116
; %bb.111:
	s_mov_b64 s[0:1], 0x201
	v_mov_b32_e32 v8, 0
	v_cmp_gt_u64_e64 s[0:1], s[0:1], v[12:13]
	v_mov_b32_e32 v9, 0x7ff80000
	s_and_saveexec_b64 s[16:17], s[0:1]
	s_cbranch_execz .LBB0_115
; %bb.112:
	v_mov_b32_e32 v14, 0
	s_mov_b64 s[20:21], 1
	s_mov_b64 s[18:19], 0
	v_pk_mov_b32 v[8:9], s[8:9], s[8:9] op_sel:[0,1]
	v_mov_b32_e32 v15, 0x3ff00000
.LBB0_113:                              ; =>This Inner Loop Header: Depth=1
	v_cvt_f64_u32_e32 v[16:17], s21
	v_cvt_f64_u32_e32 v[18:19], s20
	s_add_u32 s20, s20, 1
	v_ldexp_f64 v[16:17], v[16:17], 32
	s_addc_u32 s21, s21, 0
	v_add_f64 v[16:17], v[16:17], v[18:19]
	v_cmp_eq_u64_e64 s[0:1], s[20:21], v[12:13]
	v_mul_f64 v[16:17], v[14:15], v[16:17]
	s_or_b64 s[18:19], s[0:1], s[18:19]
	v_pk_mov_b32 v[14:15], v[8:9], v[8:9] op_sel:[0,1]
	v_fma_f64 v[8:9], s[8:9], v[8:9], -v[16:17]
	s_andn2_b64 exec, exec, s[18:19]
	s_cbranch_execnz .LBB0_113
; %bb.114:
	s_or_b64 exec, exec, s[18:19]
.LBB0_115:
	s_or_b64 exec, exec, s[16:17]
.LBB0_116:
	s_andn2_saveexec_b64 s[0:1], s[14:15]
; %bb.117:
	v_pk_mov_b32 v[8:9], s[8:9], s[8:9] op_sel:[0,1]
; %bb.118:
	s_or_b64 exec, exec, s[0:1]
.LBB0_119:
	s_or_b64 exec, exec, s[12:13]
.LBB0_120:
	s_or_b64 exec, exec, s[6:7]
	s_or_b64 exec, exec, s[4:5]
	s_and_saveexec_b64 s[0:1], vcc
	s_xor_b64 s[0:1], exec, s[0:1]
	s_cbranch_execz .LBB0_103
.LBB0_121:
	v_mov_b32_e32 v11, 0
	v_lshlrev_b64 v[10:11], 3, v[10:11]
	v_mov_b32_e32 v0, s11
	v_add_co_u32_e32 v10, vcc, s10, v10
	v_addc_co_u32_e32 v11, vcc, v0, v11, vcc
	v_mov_b32_e32 v0, v1
	global_store_dwordx2 v[10:11], v[2:3], off
	s_or_b64 exec, exec, s[0:1]
	v_cmp_gt_i32_e32 vcc, s22, v0
	s_and_saveexec_b64 s[0:1], vcc
	s_cbranch_execz .LBB0_104
.LBB0_122:
	v_add_u32_e32 v2, s2, v0
	v_mov_b32_e32 v3, 0
	v_lshlrev_b64 v[2:3], 3, v[2:3]
	v_mov_b32_e32 v1, s11
	v_add_co_u32_e32 v2, vcc, s10, v2
	v_addc_co_u32_e32 v3, vcc, v1, v3, vcc
	v_add_u32_e32 v0, 0x100, v0
	global_store_dwordx2 v[2:3], v[4:5], off
	s_or_b64 exec, exec, s[0:1]
	v_cmp_gt_i32_e32 vcc, s22, v0
	s_and_saveexec_b64 s[0:1], vcc
	s_cbranch_execz .LBB0_105
.LBB0_123:
	v_add_u32_e32 v2, s2, v0
	v_mov_b32_e32 v3, 0
	v_lshlrev_b64 v[2:3], 3, v[2:3]
	v_mov_b32_e32 v1, s11
	v_add_co_u32_e32 v2, vcc, s10, v2
	v_addc_co_u32_e32 v3, vcc, v1, v3, vcc
	v_add_u32_e32 v0, 0x100, v0
	global_store_dwordx2 v[2:3], v[6:7], off
	s_or_b64 exec, exec, s[0:1]
	v_cmp_gt_i32_e32 vcc, s22, v0
	s_and_saveexec_b64 s[0:1], vcc
	s_cbranch_execnz .LBB0_106
	s_branch .LBB0_107
	.section	.rodata,"a",@progbits
	.p2align	6, 0x0
	.amdhsa_kernel _ZN2at6native29vectorized_elementwise_kernelILi16ENS0_13AUnaryFunctorIdddZZZNS0_12_GLOBAL__N_133hermite_polynomial_he_kernel_cudaERNS_18TensorIteratorBaseEENKUlvE_clEvENKUlvE_clEvEUlddE_EESt5arrayIPcLm2EEEEviT0_T1_
		.amdhsa_group_segment_fixed_size 0
		.amdhsa_private_segment_fixed_size 0
		.amdhsa_kernarg_size 40
		.amdhsa_user_sgpr_count 6
		.amdhsa_user_sgpr_private_segment_buffer 1
		.amdhsa_user_sgpr_dispatch_ptr 0
		.amdhsa_user_sgpr_queue_ptr 0
		.amdhsa_user_sgpr_kernarg_segment_ptr 1
		.amdhsa_user_sgpr_dispatch_id 0
		.amdhsa_user_sgpr_flat_scratch_init 0
		.amdhsa_user_sgpr_kernarg_preload_length 0
		.amdhsa_user_sgpr_kernarg_preload_offset 0
		.amdhsa_user_sgpr_private_segment_size 0
		.amdhsa_uses_dynamic_stack 0
		.amdhsa_system_sgpr_private_segment_wavefront_offset 0
		.amdhsa_system_sgpr_workgroup_id_x 1
		.amdhsa_system_sgpr_workgroup_id_y 0
		.amdhsa_system_sgpr_workgroup_id_z 0
		.amdhsa_system_sgpr_workgroup_info 0
		.amdhsa_system_vgpr_workitem_id 0
		.amdhsa_next_free_vgpr 24
		.amdhsa_next_free_sgpr 23
		.amdhsa_accum_offset 24
		.amdhsa_reserve_vcc 1
		.amdhsa_reserve_flat_scratch 0
		.amdhsa_float_round_mode_32 0
		.amdhsa_float_round_mode_16_64 0
		.amdhsa_float_denorm_mode_32 3
		.amdhsa_float_denorm_mode_16_64 3
		.amdhsa_dx10_clamp 1
		.amdhsa_ieee_mode 1
		.amdhsa_fp16_overflow 0
		.amdhsa_tg_split 0
		.amdhsa_exception_fp_ieee_invalid_op 0
		.amdhsa_exception_fp_denorm_src 0
		.amdhsa_exception_fp_ieee_div_zero 0
		.amdhsa_exception_fp_ieee_overflow 0
		.amdhsa_exception_fp_ieee_underflow 0
		.amdhsa_exception_fp_ieee_inexact 0
		.amdhsa_exception_int_div_zero 0
	.end_amdhsa_kernel
	.section	.text._ZN2at6native29vectorized_elementwise_kernelILi16ENS0_13AUnaryFunctorIdddZZZNS0_12_GLOBAL__N_133hermite_polynomial_he_kernel_cudaERNS_18TensorIteratorBaseEENKUlvE_clEvENKUlvE_clEvEUlddE_EESt5arrayIPcLm2EEEEviT0_T1_,"axG",@progbits,_ZN2at6native29vectorized_elementwise_kernelILi16ENS0_13AUnaryFunctorIdddZZZNS0_12_GLOBAL__N_133hermite_polynomial_he_kernel_cudaERNS_18TensorIteratorBaseEENKUlvE_clEvENKUlvE_clEvEUlddE_EESt5arrayIPcLm2EEEEviT0_T1_,comdat
.Lfunc_end0:
	.size	_ZN2at6native29vectorized_elementwise_kernelILi16ENS0_13AUnaryFunctorIdddZZZNS0_12_GLOBAL__N_133hermite_polynomial_he_kernel_cudaERNS_18TensorIteratorBaseEENKUlvE_clEvENKUlvE_clEvEUlddE_EESt5arrayIPcLm2EEEEviT0_T1_, .Lfunc_end0-_ZN2at6native29vectorized_elementwise_kernelILi16ENS0_13AUnaryFunctorIdddZZZNS0_12_GLOBAL__N_133hermite_polynomial_he_kernel_cudaERNS_18TensorIteratorBaseEENKUlvE_clEvENKUlvE_clEvEUlddE_EESt5arrayIPcLm2EEEEviT0_T1_
                                        ; -- End function
	.section	.AMDGPU.csdata,"",@progbits
; Kernel info:
; codeLenInByte = 3040
; NumSgprs: 27
; NumVgprs: 24
; NumAgprs: 0
; TotalNumVgprs: 24
; ScratchSize: 0
; MemoryBound: 1
; FloatMode: 240
; IeeeMode: 1
; LDSByteSize: 0 bytes/workgroup (compile time only)
; SGPRBlocks: 3
; VGPRBlocks: 2
; NumSGPRsForWavesPerEU: 27
; NumVGPRsForWavesPerEU: 24
; AccumOffset: 24
; Occupancy: 8
; WaveLimiterHint : 0
; COMPUTE_PGM_RSRC2:SCRATCH_EN: 0
; COMPUTE_PGM_RSRC2:USER_SGPR: 6
; COMPUTE_PGM_RSRC2:TRAP_HANDLER: 0
; COMPUTE_PGM_RSRC2:TGID_X_EN: 1
; COMPUTE_PGM_RSRC2:TGID_Y_EN: 0
; COMPUTE_PGM_RSRC2:TGID_Z_EN: 0
; COMPUTE_PGM_RSRC2:TIDIG_COMP_CNT: 0
; COMPUTE_PGM_RSRC3_GFX90A:ACCUM_OFFSET: 5
; COMPUTE_PGM_RSRC3_GFX90A:TG_SPLIT: 0
	.section	.text._ZN2at6native29vectorized_elementwise_kernelILi8ENS0_13AUnaryFunctorIdddZZZNS0_12_GLOBAL__N_133hermite_polynomial_he_kernel_cudaERNS_18TensorIteratorBaseEENKUlvE_clEvENKUlvE_clEvEUlddE_EESt5arrayIPcLm2EEEEviT0_T1_,"axG",@progbits,_ZN2at6native29vectorized_elementwise_kernelILi8ENS0_13AUnaryFunctorIdddZZZNS0_12_GLOBAL__N_133hermite_polynomial_he_kernel_cudaERNS_18TensorIteratorBaseEENKUlvE_clEvENKUlvE_clEvEUlddE_EESt5arrayIPcLm2EEEEviT0_T1_,comdat
	.globl	_ZN2at6native29vectorized_elementwise_kernelILi8ENS0_13AUnaryFunctorIdddZZZNS0_12_GLOBAL__N_133hermite_polynomial_he_kernel_cudaERNS_18TensorIteratorBaseEENKUlvE_clEvENKUlvE_clEvEUlddE_EESt5arrayIPcLm2EEEEviT0_T1_ ; -- Begin function _ZN2at6native29vectorized_elementwise_kernelILi8ENS0_13AUnaryFunctorIdddZZZNS0_12_GLOBAL__N_133hermite_polynomial_he_kernel_cudaERNS_18TensorIteratorBaseEENKUlvE_clEvENKUlvE_clEvEUlddE_EESt5arrayIPcLm2EEEEviT0_T1_
	.p2align	8
	.type	_ZN2at6native29vectorized_elementwise_kernelILi8ENS0_13AUnaryFunctorIdddZZZNS0_12_GLOBAL__N_133hermite_polynomial_he_kernel_cudaERNS_18TensorIteratorBaseEENKUlvE_clEvENKUlvE_clEvEUlddE_EESt5arrayIPcLm2EEEEviT0_T1_,@function
_ZN2at6native29vectorized_elementwise_kernelILi8ENS0_13AUnaryFunctorIdddZZZNS0_12_GLOBAL__N_133hermite_polynomial_he_kernel_cudaERNS_18TensorIteratorBaseEENKUlvE_clEvENKUlvE_clEvEUlddE_EESt5arrayIPcLm2EEEEviT0_T1_: ; @_ZN2at6native29vectorized_elementwise_kernelILi8ENS0_13AUnaryFunctorIdddZZZNS0_12_GLOBAL__N_133hermite_polynomial_he_kernel_cudaERNS_18TensorIteratorBaseEENKUlvE_clEvENKUlvE_clEvEUlddE_EESt5arrayIPcLm2EEEEviT0_T1_
; %bb.0:
	s_load_dword s0, s[4:5], 0x0
	s_load_dwordx4 s[8:11], s[4:5], 0x10
	s_load_dwordx2 s[12:13], s[4:5], 0x20
	s_lshl_b32 s2, s6, 10
	s_waitcnt lgkmcnt(0)
	s_sub_i32 s22, s0, s2
	s_cmpk_gt_i32 s22, 0x3ff
	s_mov_b64 s[0:1], -1
	s_cbranch_scc0 .LBB1_50
; %bb.1:
	s_ashr_i32 s3, s2, 31
	s_lshl_b64 s[0:1], s[2:3], 3
	s_add_u32 s4, s12, s0
	s_addc_u32 s5, s13, s1
	v_lshlrev_b32_e32 v1, 5, v0
	global_load_dwordx4 v[2:5], v1, s[4:5]
	global_load_dwordx4 v[6:9], v1, s[4:5] offset:16
	s_movk_i32 s3, 0xffe0
	s_waitcnt vmcnt(1)
	v_trunc_f64_e32 v[2:3], v[2:3]
	v_ldexp_f64 v[10:11], v[2:3], s3
	v_floor_f64_e32 v[10:11], v[10:11]
	v_fmac_f64_e32 v[2:3], 0xc1f00000, v[10:11]
	v_cvt_i32_f64_e32 v11, v[10:11]
	v_cvt_u32_f64_e32 v10, v[2:3]
	v_cmp_lt_i64_e32 vcc, -1, v[10:11]
	v_pk_mov_b32 v[2:3], 0, 0
	s_and_saveexec_b64 s[4:5], vcc
	s_cbranch_execz .LBB1_13
; %bb.2:
	v_mov_b32_e32 v2, 0
	v_cmp_lt_i64_e32 vcc, 0, v[10:11]
	v_mov_b32_e32 v3, 0x3ff00000
	s_and_saveexec_b64 s[6:7], vcc
	s_cbranch_execz .LBB1_12
; %bb.3:
	v_cmp_ne_u64_e32 vcc, 1, v[10:11]
                                        ; implicit-def: $vgpr2_vgpr3
	s_and_saveexec_b64 s[14:15], vcc
	s_xor_b64 s[14:15], exec, s[14:15]
	s_cbranch_execz .LBB1_9
; %bb.4:
	s_mov_b64 s[16:17], 0x201
	v_mov_b32_e32 v2, 0
	v_cmp_gt_u64_e32 vcc, s[16:17], v[10:11]
	v_mov_b32_e32 v3, 0x7ff80000
	s_and_saveexec_b64 s[16:17], vcc
	s_cbranch_execz .LBB1_8
; %bb.5:
	v_mov_b32_e32 v12, 0
	s_mov_b64 s[20:21], 1
	s_mov_b64 s[18:19], 0
	v_pk_mov_b32 v[2:3], s[8:9], s[8:9] op_sel:[0,1]
	v_mov_b32_e32 v13, 0x3ff00000
.LBB1_6:                                ; =>This Inner Loop Header: Depth=1
	v_cvt_f64_u32_e32 v[14:15], s21
	v_cvt_f64_u32_e32 v[16:17], s20
	s_add_u32 s20, s20, 1
	v_ldexp_f64 v[14:15], v[14:15], 32
	s_addc_u32 s21, s21, 0
	v_add_f64 v[14:15], v[14:15], v[16:17]
	v_cmp_eq_u64_e32 vcc, s[20:21], v[10:11]
	v_mul_f64 v[14:15], v[12:13], v[14:15]
	s_or_b64 s[18:19], vcc, s[18:19]
	v_pk_mov_b32 v[12:13], v[2:3], v[2:3] op_sel:[0,1]
	v_fma_f64 v[2:3], s[8:9], v[2:3], -v[14:15]
	s_andn2_b64 exec, exec, s[18:19]
	s_cbranch_execnz .LBB1_6
; %bb.7:
	s_or_b64 exec, exec, s[18:19]
.LBB1_8:
	s_or_b64 exec, exec, s[16:17]
.LBB1_9:
	s_andn2_saveexec_b64 s[14:15], s[14:15]
; %bb.10:
	v_pk_mov_b32 v[2:3], s[8:9], s[8:9] op_sel:[0,1]
; %bb.11:
	s_or_b64 exec, exec, s[14:15]
.LBB1_12:
	s_or_b64 exec, exec, s[6:7]
.LBB1_13:
	s_or_b64 exec, exec, s[4:5]
	v_trunc_f64_e32 v[4:5], v[4:5]
	s_movk_i32 s3, 0xffe0
	v_ldexp_f64 v[10:11], v[4:5], s3
	v_floor_f64_e32 v[12:13], v[10:11]
	v_fmac_f64_e32 v[4:5], 0xc1f00000, v[12:13]
	v_cvt_u32_f64_e32 v10, v[4:5]
	v_cvt_i32_f64_e32 v11, v[12:13]
	v_cmp_lt_i64_e32 vcc, -1, v[10:11]
	v_pk_mov_b32 v[4:5], 0, 0
	s_and_saveexec_b64 s[4:5], vcc
	s_cbranch_execz .LBB1_25
; %bb.14:
	v_mov_b32_e32 v4, 0
	v_cmp_lt_i64_e32 vcc, 0, v[10:11]
	v_mov_b32_e32 v5, 0x3ff00000
	s_and_saveexec_b64 s[6:7], vcc
	s_cbranch_execz .LBB1_24
; %bb.15:
	v_cmp_ne_u64_e32 vcc, 1, v[10:11]
	s_and_saveexec_b64 s[14:15], vcc
	s_xor_b64 s[14:15], exec, s[14:15]
	s_cbranch_execz .LBB1_21
; %bb.16:
	s_mov_b64 s[16:17], 0x201
	v_mov_b32_e32 v4, 0
	v_cmp_gt_u64_e32 vcc, s[16:17], v[10:11]
	v_mov_b32_e32 v5, 0x7ff80000
	s_and_saveexec_b64 s[16:17], vcc
	s_cbranch_execz .LBB1_20
; %bb.17:
	v_mov_b32_e32 v12, 0
	s_mov_b64 s[20:21], 1
	s_mov_b64 s[18:19], 0
	v_pk_mov_b32 v[4:5], s[8:9], s[8:9] op_sel:[0,1]
	v_mov_b32_e32 v13, 0x3ff00000
.LBB1_18:                               ; =>This Inner Loop Header: Depth=1
	v_cvt_f64_u32_e32 v[14:15], s21
	v_cvt_f64_u32_e32 v[16:17], s20
	s_add_u32 s20, s20, 1
	v_ldexp_f64 v[14:15], v[14:15], 32
	s_addc_u32 s21, s21, 0
	v_add_f64 v[14:15], v[14:15], v[16:17]
	v_cmp_eq_u64_e32 vcc, s[20:21], v[10:11]
	v_mul_f64 v[14:15], v[12:13], v[14:15]
	s_or_b64 s[18:19], vcc, s[18:19]
	v_pk_mov_b32 v[12:13], v[4:5], v[4:5] op_sel:[0,1]
	v_fma_f64 v[4:5], s[8:9], v[4:5], -v[14:15]
	s_andn2_b64 exec, exec, s[18:19]
	s_cbranch_execnz .LBB1_18
; %bb.19:
	s_or_b64 exec, exec, s[18:19]
.LBB1_20:
	s_or_b64 exec, exec, s[16:17]
.LBB1_21:
	s_andn2_saveexec_b64 s[14:15], s[14:15]
; %bb.22:
	v_pk_mov_b32 v[4:5], s[8:9], s[8:9] op_sel:[0,1]
; %bb.23:
	s_or_b64 exec, exec, s[14:15]
.LBB1_24:
	s_or_b64 exec, exec, s[6:7]
.LBB1_25:
	s_or_b64 exec, exec, s[4:5]
	s_waitcnt vmcnt(0)
	v_trunc_f64_e32 v[6:7], v[6:7]
	s_movk_i32 s3, 0xffe0
	v_ldexp_f64 v[10:11], v[6:7], s3
	v_floor_f64_e32 v[12:13], v[10:11]
	v_fmac_f64_e32 v[6:7], 0xc1f00000, v[12:13]
	v_cvt_u32_f64_e32 v10, v[6:7]
	v_cvt_i32_f64_e32 v11, v[12:13]
	v_cmp_lt_i64_e32 vcc, -1, v[10:11]
	v_pk_mov_b32 v[6:7], 0, 0
	s_and_saveexec_b64 s[4:5], vcc
	s_cbranch_execz .LBB1_37
; %bb.26:
	v_mov_b32_e32 v6, 0
	v_cmp_lt_i64_e32 vcc, 0, v[10:11]
	v_mov_b32_e32 v7, 0x3ff00000
	s_and_saveexec_b64 s[6:7], vcc
	s_cbranch_execz .LBB1_36
; %bb.27:
	v_cmp_ne_u64_e32 vcc, 1, v[10:11]
                                        ; implicit-def: $vgpr6_vgpr7
	s_and_saveexec_b64 s[14:15], vcc
	s_xor_b64 s[14:15], exec, s[14:15]
	s_cbranch_execz .LBB1_33
; %bb.28:
	s_mov_b64 s[16:17], 0x201
	v_mov_b32_e32 v6, 0
	v_cmp_gt_u64_e32 vcc, s[16:17], v[10:11]
	v_mov_b32_e32 v7, 0x7ff80000
	s_and_saveexec_b64 s[16:17], vcc
	s_cbranch_execz .LBB1_32
; %bb.29:
	v_mov_b32_e32 v12, 0
	s_mov_b64 s[20:21], 1
	s_mov_b64 s[18:19], 0
	v_pk_mov_b32 v[6:7], s[8:9], s[8:9] op_sel:[0,1]
	v_mov_b32_e32 v13, 0x3ff00000
.LBB1_30:                               ; =>This Inner Loop Header: Depth=1
	v_cvt_f64_u32_e32 v[14:15], s21
	v_cvt_f64_u32_e32 v[16:17], s20
	s_add_u32 s20, s20, 1
	v_ldexp_f64 v[14:15], v[14:15], 32
	s_addc_u32 s21, s21, 0
	v_add_f64 v[14:15], v[14:15], v[16:17]
	v_cmp_eq_u64_e32 vcc, s[20:21], v[10:11]
	v_mul_f64 v[14:15], v[12:13], v[14:15]
	s_or_b64 s[18:19], vcc, s[18:19]
	v_pk_mov_b32 v[12:13], v[6:7], v[6:7] op_sel:[0,1]
	v_fma_f64 v[6:7], s[8:9], v[6:7], -v[14:15]
	s_andn2_b64 exec, exec, s[18:19]
	s_cbranch_execnz .LBB1_30
; %bb.31:
	s_or_b64 exec, exec, s[18:19]
.LBB1_32:
	s_or_b64 exec, exec, s[16:17]
.LBB1_33:
	s_andn2_saveexec_b64 s[14:15], s[14:15]
; %bb.34:
	v_pk_mov_b32 v[6:7], s[8:9], s[8:9] op_sel:[0,1]
; %bb.35:
	s_or_b64 exec, exec, s[14:15]
.LBB1_36:
	s_or_b64 exec, exec, s[6:7]
.LBB1_37:
	s_or_b64 exec, exec, s[4:5]
	v_trunc_f64_e32 v[8:9], v[8:9]
	s_movk_i32 s3, 0xffe0
	v_ldexp_f64 v[10:11], v[8:9], s3
	v_floor_f64_e32 v[12:13], v[10:11]
	v_fmac_f64_e32 v[8:9], 0xc1f00000, v[12:13]
	v_cvt_u32_f64_e32 v10, v[8:9]
	v_cvt_i32_f64_e32 v11, v[12:13]
	v_cmp_lt_i64_e32 vcc, -1, v[10:11]
	v_pk_mov_b32 v[8:9], 0, 0
	s_and_saveexec_b64 s[4:5], vcc
	s_cbranch_execz .LBB1_49
; %bb.38:
	v_mov_b32_e32 v8, 0
	v_cmp_lt_i64_e32 vcc, 0, v[10:11]
	v_mov_b32_e32 v9, 0x3ff00000
	s_and_saveexec_b64 s[6:7], vcc
	s_cbranch_execz .LBB1_48
; %bb.39:
	v_cmp_ne_u64_e32 vcc, 1, v[10:11]
	s_and_saveexec_b64 s[14:15], vcc
	s_xor_b64 s[14:15], exec, s[14:15]
	s_cbranch_execz .LBB1_45
; %bb.40:
	s_mov_b64 s[16:17], 0x201
	v_mov_b32_e32 v8, 0
	v_cmp_gt_u64_e32 vcc, s[16:17], v[10:11]
	v_mov_b32_e32 v9, 0x7ff80000
	s_and_saveexec_b64 s[16:17], vcc
	s_cbranch_execz .LBB1_44
; %bb.41:
	v_mov_b32_e32 v12, 0
	s_mov_b64 s[20:21], 1
	s_mov_b64 s[18:19], 0
	v_pk_mov_b32 v[8:9], s[8:9], s[8:9] op_sel:[0,1]
	v_mov_b32_e32 v13, 0x3ff00000
.LBB1_42:                               ; =>This Inner Loop Header: Depth=1
	v_cvt_f64_u32_e32 v[14:15], s21
	v_cvt_f64_u32_e32 v[16:17], s20
	s_add_u32 s20, s20, 1
	v_ldexp_f64 v[14:15], v[14:15], 32
	s_addc_u32 s21, s21, 0
	v_add_f64 v[14:15], v[14:15], v[16:17]
	v_cmp_eq_u64_e32 vcc, s[20:21], v[10:11]
	v_mul_f64 v[14:15], v[12:13], v[14:15]
	s_or_b64 s[18:19], vcc, s[18:19]
	v_pk_mov_b32 v[12:13], v[8:9], v[8:9] op_sel:[0,1]
	v_fma_f64 v[8:9], s[8:9], v[8:9], -v[14:15]
	s_andn2_b64 exec, exec, s[18:19]
	s_cbranch_execnz .LBB1_42
; %bb.43:
	s_or_b64 exec, exec, s[18:19]
.LBB1_44:
	s_or_b64 exec, exec, s[16:17]
.LBB1_45:
	s_andn2_saveexec_b64 s[14:15], s[14:15]
; %bb.46:
	v_pk_mov_b32 v[8:9], s[8:9], s[8:9] op_sel:[0,1]
; %bb.47:
	s_or_b64 exec, exec, s[14:15]
.LBB1_48:
	s_or_b64 exec, exec, s[6:7]
.LBB1_49:
	s_or_b64 exec, exec, s[4:5]
	s_add_u32 s0, s10, s0
	s_addc_u32 s1, s11, s1
	global_store_dwordx4 v1, v[2:5], s[0:1]
	global_store_dwordx4 v1, v[6:9], s[0:1] offset:16
	s_mov_b64 s[0:1], 0
.LBB1_50:
	s_and_b64 vcc, exec, s[0:1]
	s_cbranch_vccz .LBB1_107
; %bb.51:
	v_pk_mov_b32 v[16:17], 0, 0
	v_cmp_gt_i32_e32 vcc, s22, v0
	v_or_b32_e32 v10, s2, v0
	v_pk_mov_b32 v[18:19], v[16:17], v[16:17] op_sel:[0,1]
	v_mov_b32_e32 v1, v0
	s_and_saveexec_b64 s[4:5], vcc
	s_cbranch_execz .LBB1_53
; %bb.52:
	v_mov_b32_e32 v11, 0
	v_lshlrev_b64 v[2:3], 3, v[10:11]
	v_mov_b32_e32 v1, s13
	v_add_co_u32_e64 v2, s[0:1], s12, v2
	v_addc_co_u32_e64 v3, s[0:1], v1, v3, s[0:1]
	global_load_dwordx2 v[18:19], v[2:3], off
	v_or_b32_e32 v1, 0x100, v0
.LBB1_53:
	s_or_b64 exec, exec, s[4:5]
	v_cmp_gt_i32_e64 s[0:1], s22, v1
	s_and_saveexec_b64 s[4:5], s[0:1]
	s_cbranch_execz .LBB1_55
; %bb.54:
	v_add_u32_e32 v2, s2, v1
	v_mov_b32_e32 v3, 0
	v_lshlrev_b64 v[2:3], 3, v[2:3]
	v_mov_b32_e32 v4, s13
	v_add_co_u32_e64 v2, s[0:1], s12, v2
	v_addc_co_u32_e64 v3, s[0:1], v4, v3, s[0:1]
	global_load_dwordx2 v[16:17], v[2:3], off
	v_add_u32_e32 v1, 0x100, v1
.LBB1_55:
	s_or_b64 exec, exec, s[4:5]
	v_pk_mov_b32 v[12:13], 0, 0
	v_cmp_gt_i32_e64 s[0:1], s22, v1
	v_pk_mov_b32 v[14:15], v[12:13], v[12:13] op_sel:[0,1]
	s_and_saveexec_b64 s[4:5], s[0:1]
	s_cbranch_execnz .LBB1_58
; %bb.56:
	s_or_b64 exec, exec, s[4:5]
	v_cmp_gt_i32_e64 s[0:1], s22, v1
	s_and_saveexec_b64 s[4:5], s[0:1]
	s_cbranch_execnz .LBB1_59
.LBB1_57:
	s_or_b64 exec, exec, s[4:5]
                                        ; implicit-def: $vgpr2_vgpr3_vgpr4_vgpr5_vgpr6_vgpr7_vgpr8_vgpr9
	s_and_saveexec_b64 s[4:5], vcc
	s_cbranch_execnz .LBB1_60
	s_branch .LBB1_73
.LBB1_58:
	v_add_u32_e32 v2, s2, v1
	v_mov_b32_e32 v3, 0
	v_lshlrev_b64 v[2:3], 3, v[2:3]
	v_mov_b32_e32 v4, s13
	v_add_co_u32_e64 v2, s[0:1], s12, v2
	v_addc_co_u32_e64 v3, s[0:1], v4, v3, s[0:1]
	global_load_dwordx2 v[14:15], v[2:3], off
	v_add_u32_e32 v1, 0x100, v1
	s_or_b64 exec, exec, s[4:5]
	v_cmp_gt_i32_e64 s[0:1], s22, v1
	s_and_saveexec_b64 s[4:5], s[0:1]
	s_cbranch_execz .LBB1_57
.LBB1_59:
	v_add_u32_e32 v2, s2, v1
	v_mov_b32_e32 v3, 0
	v_lshlrev_b64 v[2:3], 3, v[2:3]
	v_mov_b32_e32 v1, s13
	v_add_co_u32_e64 v2, s[0:1], s12, v2
	v_addc_co_u32_e64 v3, s[0:1], v1, v3, s[0:1]
	global_load_dwordx2 v[12:13], v[2:3], off
	s_or_b64 exec, exec, s[4:5]
                                        ; implicit-def: $vgpr2_vgpr3_vgpr4_vgpr5_vgpr6_vgpr7_vgpr8_vgpr9
	s_and_saveexec_b64 s[4:5], vcc
	s_cbranch_execz .LBB1_73
.LBB1_60:
	s_waitcnt vmcnt(0)
	v_trunc_f64_e32 v[2:3], v[18:19]
	s_movk_i32 s0, 0xffe0
	v_ldexp_f64 v[4:5], v[2:3], s0
	v_floor_f64_e32 v[6:7], v[4:5]
	v_fmac_f64_e32 v[2:3], 0xc1f00000, v[6:7]
	v_cvt_i32_f64_e32 v5, v[6:7]
	v_cvt_u32_f64_e32 v4, v[2:3]
	v_cmp_lt_i64_e64 s[0:1], -1, v[4:5]
	v_pk_mov_b32 v[2:3], 0, 0
	s_and_saveexec_b64 s[6:7], s[0:1]
	s_cbranch_execz .LBB1_72
; %bb.61:
	v_mov_b32_e32 v2, 0
	v_cmp_lt_i64_e64 s[0:1], 0, v[4:5]
	v_mov_b32_e32 v3, 0x3ff00000
	s_and_saveexec_b64 s[12:13], s[0:1]
	s_cbranch_execz .LBB1_71
; %bb.62:
	v_cmp_ne_u64_e64 s[0:1], 1, v[4:5]
                                        ; implicit-def: $vgpr2_vgpr3
	s_and_saveexec_b64 s[14:15], s[0:1]
	s_xor_b64 s[14:15], exec, s[14:15]
	s_cbranch_execz .LBB1_68
; %bb.63:
	s_mov_b64 s[0:1], 0x201
	v_mov_b32_e32 v2, 0
	v_cmp_gt_u64_e64 s[0:1], s[0:1], v[4:5]
	v_mov_b32_e32 v3, 0x7ff80000
	s_and_saveexec_b64 s[16:17], s[0:1]
	s_cbranch_execz .LBB1_67
; %bb.64:
	v_mov_b32_e32 v6, 0
	s_mov_b64 s[20:21], 1
	s_mov_b64 s[18:19], 0
	v_pk_mov_b32 v[2:3], s[8:9], s[8:9] op_sel:[0,1]
	v_mov_b32_e32 v7, 0x3ff00000
.LBB1_65:                               ; =>This Inner Loop Header: Depth=1
	v_cvt_f64_u32_e32 v[8:9], s21
	v_cvt_f64_u32_e32 v[18:19], s20
	s_add_u32 s20, s20, 1
	v_ldexp_f64 v[8:9], v[8:9], 32
	s_addc_u32 s21, s21, 0
	v_add_f64 v[8:9], v[8:9], v[18:19]
	v_cmp_eq_u64_e64 s[0:1], s[20:21], v[4:5]
	v_mul_f64 v[8:9], v[6:7], v[8:9]
	s_or_b64 s[18:19], s[0:1], s[18:19]
	v_pk_mov_b32 v[6:7], v[2:3], v[2:3] op_sel:[0,1]
	v_fma_f64 v[2:3], s[8:9], v[2:3], -v[8:9]
	s_andn2_b64 exec, exec, s[18:19]
	s_cbranch_execnz .LBB1_65
; %bb.66:
	s_or_b64 exec, exec, s[18:19]
.LBB1_67:
	s_or_b64 exec, exec, s[16:17]
.LBB1_68:
	s_andn2_saveexec_b64 s[0:1], s[14:15]
; %bb.69:
	v_pk_mov_b32 v[2:3], s[8:9], s[8:9] op_sel:[0,1]
; %bb.70:
	s_or_b64 exec, exec, s[0:1]
.LBB1_71:
	s_or_b64 exec, exec, s[12:13]
.LBB1_72:
	s_or_b64 exec, exec, s[6:7]
.LBB1_73:
	s_or_b64 exec, exec, s[4:5]
	v_or_b32_e32 v1, 0x100, v0
	v_cmp_gt_i32_e64 s[0:1], s22, v1
	s_and_saveexec_b64 s[4:5], s[0:1]
	s_cbranch_execz .LBB1_87
; %bb.74:
	s_waitcnt vmcnt(0)
	v_trunc_f64_e32 v[4:5], v[16:17]
	s_movk_i32 s0, 0xffe0
	v_ldexp_f64 v[16:17], v[4:5], s0
	v_floor_f64_e32 v[18:19], v[16:17]
	v_fmac_f64_e32 v[4:5], 0xc1f00000, v[18:19]
	v_cvt_i32_f64_e32 v17, v[18:19]
	v_cvt_u32_f64_e32 v16, v[4:5]
	v_cmp_lt_i64_e64 s[0:1], -1, v[16:17]
	v_pk_mov_b32 v[4:5], 0, 0
	s_and_saveexec_b64 s[6:7], s[0:1]
	s_cbranch_execz .LBB1_86
; %bb.75:
	v_mov_b32_e32 v4, 0
	v_cmp_lt_i64_e64 s[0:1], 0, v[16:17]
	v_mov_b32_e32 v5, 0x3ff00000
	s_and_saveexec_b64 s[12:13], s[0:1]
	s_cbranch_execz .LBB1_85
; %bb.76:
	v_cmp_ne_u64_e64 s[0:1], 1, v[16:17]
	s_and_saveexec_b64 s[14:15], s[0:1]
	s_xor_b64 s[14:15], exec, s[14:15]
	s_cbranch_execz .LBB1_82
; %bb.77:
	s_mov_b64 s[0:1], 0x201
	v_mov_b32_e32 v4, 0
	v_cmp_gt_u64_e64 s[0:1], s[0:1], v[16:17]
	v_mov_b32_e32 v5, 0x7ff80000
	s_and_saveexec_b64 s[16:17], s[0:1]
	s_cbranch_execz .LBB1_81
; %bb.78:
	v_mov_b32_e32 v18, 0
	s_mov_b64 s[20:21], 1
	s_mov_b64 s[18:19], 0
	v_pk_mov_b32 v[4:5], s[8:9], s[8:9] op_sel:[0,1]
	v_mov_b32_e32 v19, 0x3ff00000
.LBB1_79:                               ; =>This Inner Loop Header: Depth=1
	v_cvt_f64_u32_e32 v[20:21], s21
	v_cvt_f64_u32_e32 v[22:23], s20
	s_add_u32 s20, s20, 1
	v_ldexp_f64 v[20:21], v[20:21], 32
	s_addc_u32 s21, s21, 0
	v_add_f64 v[20:21], v[20:21], v[22:23]
	v_cmp_eq_u64_e64 s[0:1], s[20:21], v[16:17]
	v_mul_f64 v[20:21], v[18:19], v[20:21]
	s_or_b64 s[18:19], s[0:1], s[18:19]
	v_pk_mov_b32 v[18:19], v[4:5], v[4:5] op_sel:[0,1]
	v_fma_f64 v[4:5], s[8:9], v[4:5], -v[20:21]
	s_andn2_b64 exec, exec, s[18:19]
	s_cbranch_execnz .LBB1_79
; %bb.80:
	s_or_b64 exec, exec, s[18:19]
.LBB1_81:
	s_or_b64 exec, exec, s[16:17]
.LBB1_82:
	s_andn2_saveexec_b64 s[0:1], s[14:15]
; %bb.83:
	v_pk_mov_b32 v[4:5], s[8:9], s[8:9] op_sel:[0,1]
; %bb.84:
	s_or_b64 exec, exec, s[0:1]
.LBB1_85:
	s_or_b64 exec, exec, s[12:13]
.LBB1_86:
	s_or_b64 exec, exec, s[6:7]
.LBB1_87:
	s_or_b64 exec, exec, s[4:5]
	v_or_b32_e32 v11, 0x200, v0
	v_cmp_gt_i32_e64 s[0:1], s22, v11
	s_and_saveexec_b64 s[4:5], s[0:1]
	s_cbranch_execz .LBB1_101
; %bb.88:
	s_waitcnt vmcnt(0)
	v_trunc_f64_e32 v[6:7], v[14:15]
	s_movk_i32 s0, 0xffe0
	v_ldexp_f64 v[14:15], v[6:7], s0
	v_floor_f64_e32 v[16:17], v[14:15]
	v_fmac_f64_e32 v[6:7], 0xc1f00000, v[16:17]
	v_cvt_i32_f64_e32 v15, v[16:17]
	v_cvt_u32_f64_e32 v14, v[6:7]
	v_cmp_lt_i64_e64 s[0:1], -1, v[14:15]
	v_pk_mov_b32 v[6:7], 0, 0
	s_and_saveexec_b64 s[6:7], s[0:1]
	s_cbranch_execz .LBB1_100
; %bb.89:
	v_mov_b32_e32 v6, 0
	v_cmp_lt_i64_e64 s[0:1], 0, v[14:15]
	v_mov_b32_e32 v7, 0x3ff00000
	s_and_saveexec_b64 s[12:13], s[0:1]
	s_cbranch_execz .LBB1_99
; %bb.90:
	v_cmp_ne_u64_e64 s[0:1], 1, v[14:15]
	s_and_saveexec_b64 s[14:15], s[0:1]
	s_xor_b64 s[14:15], exec, s[14:15]
	s_cbranch_execz .LBB1_96
; %bb.91:
	s_mov_b64 s[0:1], 0x201
	v_mov_b32_e32 v6, 0
	v_cmp_gt_u64_e64 s[0:1], s[0:1], v[14:15]
	v_mov_b32_e32 v7, 0x7ff80000
	s_and_saveexec_b64 s[16:17], s[0:1]
	s_cbranch_execz .LBB1_95
; %bb.92:
	v_mov_b32_e32 v16, 0
	s_mov_b64 s[20:21], 1
	s_mov_b64 s[18:19], 0
	v_pk_mov_b32 v[6:7], s[8:9], s[8:9] op_sel:[0,1]
	v_mov_b32_e32 v17, 0x3ff00000
.LBB1_93:                               ; =>This Inner Loop Header: Depth=1
	v_cvt_f64_u32_e32 v[18:19], s21
	v_cvt_f64_u32_e32 v[20:21], s20
	s_add_u32 s20, s20, 1
	v_ldexp_f64 v[18:19], v[18:19], 32
	s_addc_u32 s21, s21, 0
	v_add_f64 v[18:19], v[18:19], v[20:21]
	v_cmp_eq_u64_e64 s[0:1], s[20:21], v[14:15]
	v_mul_f64 v[18:19], v[16:17], v[18:19]
	s_or_b64 s[18:19], s[0:1], s[18:19]
	v_pk_mov_b32 v[16:17], v[6:7], v[6:7] op_sel:[0,1]
	v_fma_f64 v[6:7], s[8:9], v[6:7], -v[18:19]
	s_andn2_b64 exec, exec, s[18:19]
	s_cbranch_execnz .LBB1_93
; %bb.94:
	s_or_b64 exec, exec, s[18:19]
.LBB1_95:
	s_or_b64 exec, exec, s[16:17]
.LBB1_96:
	s_andn2_saveexec_b64 s[0:1], s[14:15]
; %bb.97:
	v_pk_mov_b32 v[6:7], s[8:9], s[8:9] op_sel:[0,1]
; %bb.98:
	s_or_b64 exec, exec, s[0:1]
.LBB1_99:
	s_or_b64 exec, exec, s[12:13]
.LBB1_100:
	s_or_b64 exec, exec, s[6:7]
.LBB1_101:
	s_or_b64 exec, exec, s[4:5]
	v_or_b32_e32 v11, 0x300, v0
	v_cmp_gt_i32_e64 s[0:1], s22, v11
	s_and_saveexec_b64 s[4:5], s[0:1]
	s_cbranch_execnz .LBB1_108
; %bb.102:
	s_or_b64 exec, exec, s[4:5]
	s_and_saveexec_b64 s[0:1], vcc
	s_xor_b64 s[0:1], exec, s[0:1]
	s_cbranch_execnz .LBB1_121
.LBB1_103:
	s_or_b64 exec, exec, s[0:1]
	v_cmp_gt_i32_e32 vcc, s22, v0
	s_and_saveexec_b64 s[0:1], vcc
	s_cbranch_execnz .LBB1_122
.LBB1_104:
	s_or_b64 exec, exec, s[0:1]
	v_cmp_gt_i32_e32 vcc, s22, v0
	s_and_saveexec_b64 s[0:1], vcc
	s_cbranch_execnz .LBB1_123
.LBB1_105:
	s_or_b64 exec, exec, s[0:1]
	v_cmp_gt_i32_e32 vcc, s22, v0
	s_and_saveexec_b64 s[0:1], vcc
	s_cbranch_execz .LBB1_107
.LBB1_106:
	v_add_u32_e32 v0, s2, v0
	v_mov_b32_e32 v1, 0
	v_lshlrev_b64 v[0:1], 3, v[0:1]
	v_mov_b32_e32 v2, s11
	v_add_co_u32_e32 v0, vcc, s10, v0
	v_addc_co_u32_e32 v1, vcc, v2, v1, vcc
	global_store_dwordx2 v[0:1], v[8:9], off
.LBB1_107:
	s_endpgm
.LBB1_108:
	s_waitcnt vmcnt(0)
	v_trunc_f64_e32 v[8:9], v[12:13]
	s_movk_i32 s0, 0xffe0
	v_ldexp_f64 v[12:13], v[8:9], s0
	v_floor_f64_e32 v[14:15], v[12:13]
	v_fmac_f64_e32 v[8:9], 0xc1f00000, v[14:15]
	v_cvt_i32_f64_e32 v13, v[14:15]
	v_cvt_u32_f64_e32 v12, v[8:9]
	v_cmp_lt_i64_e64 s[0:1], -1, v[12:13]
	v_pk_mov_b32 v[8:9], 0, 0
	s_and_saveexec_b64 s[6:7], s[0:1]
	s_cbranch_execz .LBB1_120
; %bb.109:
	v_mov_b32_e32 v8, 0
	v_cmp_lt_i64_e64 s[0:1], 0, v[12:13]
	v_mov_b32_e32 v9, 0x3ff00000
	s_and_saveexec_b64 s[12:13], s[0:1]
	s_cbranch_execz .LBB1_119
; %bb.110:
	v_cmp_ne_u64_e64 s[0:1], 1, v[12:13]
	s_and_saveexec_b64 s[14:15], s[0:1]
	s_xor_b64 s[14:15], exec, s[14:15]
	s_cbranch_execz .LBB1_116
; %bb.111:
	s_mov_b64 s[0:1], 0x201
	v_mov_b32_e32 v8, 0
	v_cmp_gt_u64_e64 s[0:1], s[0:1], v[12:13]
	v_mov_b32_e32 v9, 0x7ff80000
	s_and_saveexec_b64 s[16:17], s[0:1]
	s_cbranch_execz .LBB1_115
; %bb.112:
	v_mov_b32_e32 v14, 0
	s_mov_b64 s[20:21], 1
	s_mov_b64 s[18:19], 0
	v_pk_mov_b32 v[8:9], s[8:9], s[8:9] op_sel:[0,1]
	v_mov_b32_e32 v15, 0x3ff00000
.LBB1_113:                              ; =>This Inner Loop Header: Depth=1
	v_cvt_f64_u32_e32 v[16:17], s21
	v_cvt_f64_u32_e32 v[18:19], s20
	s_add_u32 s20, s20, 1
	v_ldexp_f64 v[16:17], v[16:17], 32
	s_addc_u32 s21, s21, 0
	v_add_f64 v[16:17], v[16:17], v[18:19]
	v_cmp_eq_u64_e64 s[0:1], s[20:21], v[12:13]
	v_mul_f64 v[16:17], v[14:15], v[16:17]
	s_or_b64 s[18:19], s[0:1], s[18:19]
	v_pk_mov_b32 v[14:15], v[8:9], v[8:9] op_sel:[0,1]
	v_fma_f64 v[8:9], s[8:9], v[8:9], -v[16:17]
	s_andn2_b64 exec, exec, s[18:19]
	s_cbranch_execnz .LBB1_113
; %bb.114:
	s_or_b64 exec, exec, s[18:19]
.LBB1_115:
	s_or_b64 exec, exec, s[16:17]
.LBB1_116:
	s_andn2_saveexec_b64 s[0:1], s[14:15]
; %bb.117:
	v_pk_mov_b32 v[8:9], s[8:9], s[8:9] op_sel:[0,1]
; %bb.118:
	s_or_b64 exec, exec, s[0:1]
.LBB1_119:
	s_or_b64 exec, exec, s[12:13]
.LBB1_120:
	s_or_b64 exec, exec, s[6:7]
	s_or_b64 exec, exec, s[4:5]
	s_and_saveexec_b64 s[0:1], vcc
	s_xor_b64 s[0:1], exec, s[0:1]
	s_cbranch_execz .LBB1_103
.LBB1_121:
	v_mov_b32_e32 v11, 0
	v_lshlrev_b64 v[10:11], 3, v[10:11]
	v_mov_b32_e32 v0, s11
	v_add_co_u32_e32 v10, vcc, s10, v10
	v_addc_co_u32_e32 v11, vcc, v0, v11, vcc
	v_mov_b32_e32 v0, v1
	global_store_dwordx2 v[10:11], v[2:3], off
	s_or_b64 exec, exec, s[0:1]
	v_cmp_gt_i32_e32 vcc, s22, v0
	s_and_saveexec_b64 s[0:1], vcc
	s_cbranch_execz .LBB1_104
.LBB1_122:
	v_add_u32_e32 v2, s2, v0
	v_mov_b32_e32 v3, 0
	v_lshlrev_b64 v[2:3], 3, v[2:3]
	v_mov_b32_e32 v1, s11
	v_add_co_u32_e32 v2, vcc, s10, v2
	v_addc_co_u32_e32 v3, vcc, v1, v3, vcc
	v_add_u32_e32 v0, 0x100, v0
	global_store_dwordx2 v[2:3], v[4:5], off
	s_or_b64 exec, exec, s[0:1]
	v_cmp_gt_i32_e32 vcc, s22, v0
	s_and_saveexec_b64 s[0:1], vcc
	s_cbranch_execz .LBB1_105
.LBB1_123:
	v_add_u32_e32 v2, s2, v0
	v_mov_b32_e32 v3, 0
	v_lshlrev_b64 v[2:3], 3, v[2:3]
	v_mov_b32_e32 v1, s11
	v_add_co_u32_e32 v2, vcc, s10, v2
	v_addc_co_u32_e32 v3, vcc, v1, v3, vcc
	v_add_u32_e32 v0, 0x100, v0
	global_store_dwordx2 v[2:3], v[6:7], off
	s_or_b64 exec, exec, s[0:1]
	v_cmp_gt_i32_e32 vcc, s22, v0
	s_and_saveexec_b64 s[0:1], vcc
	s_cbranch_execnz .LBB1_106
	s_branch .LBB1_107
	.section	.rodata,"a",@progbits
	.p2align	6, 0x0
	.amdhsa_kernel _ZN2at6native29vectorized_elementwise_kernelILi8ENS0_13AUnaryFunctorIdddZZZNS0_12_GLOBAL__N_133hermite_polynomial_he_kernel_cudaERNS_18TensorIteratorBaseEENKUlvE_clEvENKUlvE_clEvEUlddE_EESt5arrayIPcLm2EEEEviT0_T1_
		.amdhsa_group_segment_fixed_size 0
		.amdhsa_private_segment_fixed_size 0
		.amdhsa_kernarg_size 40
		.amdhsa_user_sgpr_count 6
		.amdhsa_user_sgpr_private_segment_buffer 1
		.amdhsa_user_sgpr_dispatch_ptr 0
		.amdhsa_user_sgpr_queue_ptr 0
		.amdhsa_user_sgpr_kernarg_segment_ptr 1
		.amdhsa_user_sgpr_dispatch_id 0
		.amdhsa_user_sgpr_flat_scratch_init 0
		.amdhsa_user_sgpr_kernarg_preload_length 0
		.amdhsa_user_sgpr_kernarg_preload_offset 0
		.amdhsa_user_sgpr_private_segment_size 0
		.amdhsa_uses_dynamic_stack 0
		.amdhsa_system_sgpr_private_segment_wavefront_offset 0
		.amdhsa_system_sgpr_workgroup_id_x 1
		.amdhsa_system_sgpr_workgroup_id_y 0
		.amdhsa_system_sgpr_workgroup_id_z 0
		.amdhsa_system_sgpr_workgroup_info 0
		.amdhsa_system_vgpr_workitem_id 0
		.amdhsa_next_free_vgpr 24
		.amdhsa_next_free_sgpr 23
		.amdhsa_accum_offset 24
		.amdhsa_reserve_vcc 1
		.amdhsa_reserve_flat_scratch 0
		.amdhsa_float_round_mode_32 0
		.amdhsa_float_round_mode_16_64 0
		.amdhsa_float_denorm_mode_32 3
		.amdhsa_float_denorm_mode_16_64 3
		.amdhsa_dx10_clamp 1
		.amdhsa_ieee_mode 1
		.amdhsa_fp16_overflow 0
		.amdhsa_tg_split 0
		.amdhsa_exception_fp_ieee_invalid_op 0
		.amdhsa_exception_fp_denorm_src 0
		.amdhsa_exception_fp_ieee_div_zero 0
		.amdhsa_exception_fp_ieee_overflow 0
		.amdhsa_exception_fp_ieee_underflow 0
		.amdhsa_exception_fp_ieee_inexact 0
		.amdhsa_exception_int_div_zero 0
	.end_amdhsa_kernel
	.section	.text._ZN2at6native29vectorized_elementwise_kernelILi8ENS0_13AUnaryFunctorIdddZZZNS0_12_GLOBAL__N_133hermite_polynomial_he_kernel_cudaERNS_18TensorIteratorBaseEENKUlvE_clEvENKUlvE_clEvEUlddE_EESt5arrayIPcLm2EEEEviT0_T1_,"axG",@progbits,_ZN2at6native29vectorized_elementwise_kernelILi8ENS0_13AUnaryFunctorIdddZZZNS0_12_GLOBAL__N_133hermite_polynomial_he_kernel_cudaERNS_18TensorIteratorBaseEENKUlvE_clEvENKUlvE_clEvEUlddE_EESt5arrayIPcLm2EEEEviT0_T1_,comdat
.Lfunc_end1:
	.size	_ZN2at6native29vectorized_elementwise_kernelILi8ENS0_13AUnaryFunctorIdddZZZNS0_12_GLOBAL__N_133hermite_polynomial_he_kernel_cudaERNS_18TensorIteratorBaseEENKUlvE_clEvENKUlvE_clEvEUlddE_EESt5arrayIPcLm2EEEEviT0_T1_, .Lfunc_end1-_ZN2at6native29vectorized_elementwise_kernelILi8ENS0_13AUnaryFunctorIdddZZZNS0_12_GLOBAL__N_133hermite_polynomial_he_kernel_cudaERNS_18TensorIteratorBaseEENKUlvE_clEvENKUlvE_clEvEUlddE_EESt5arrayIPcLm2EEEEviT0_T1_
                                        ; -- End function
	.section	.AMDGPU.csdata,"",@progbits
; Kernel info:
; codeLenInByte = 3040
; NumSgprs: 27
; NumVgprs: 24
; NumAgprs: 0
; TotalNumVgprs: 24
; ScratchSize: 0
; MemoryBound: 1
; FloatMode: 240
; IeeeMode: 1
; LDSByteSize: 0 bytes/workgroup (compile time only)
; SGPRBlocks: 3
; VGPRBlocks: 2
; NumSGPRsForWavesPerEU: 27
; NumVGPRsForWavesPerEU: 24
; AccumOffset: 24
; Occupancy: 8
; WaveLimiterHint : 0
; COMPUTE_PGM_RSRC2:SCRATCH_EN: 0
; COMPUTE_PGM_RSRC2:USER_SGPR: 6
; COMPUTE_PGM_RSRC2:TRAP_HANDLER: 0
; COMPUTE_PGM_RSRC2:TGID_X_EN: 1
; COMPUTE_PGM_RSRC2:TGID_Y_EN: 0
; COMPUTE_PGM_RSRC2:TGID_Z_EN: 0
; COMPUTE_PGM_RSRC2:TIDIG_COMP_CNT: 0
; COMPUTE_PGM_RSRC3_GFX90A:ACCUM_OFFSET: 5
; COMPUTE_PGM_RSRC3_GFX90A:TG_SPLIT: 0
	.section	.text._ZN2at6native29vectorized_elementwise_kernelILi4ENS0_13AUnaryFunctorIdddZZZNS0_12_GLOBAL__N_133hermite_polynomial_he_kernel_cudaERNS_18TensorIteratorBaseEENKUlvE_clEvENKUlvE_clEvEUlddE_EESt5arrayIPcLm2EEEEviT0_T1_,"axG",@progbits,_ZN2at6native29vectorized_elementwise_kernelILi4ENS0_13AUnaryFunctorIdddZZZNS0_12_GLOBAL__N_133hermite_polynomial_he_kernel_cudaERNS_18TensorIteratorBaseEENKUlvE_clEvENKUlvE_clEvEUlddE_EESt5arrayIPcLm2EEEEviT0_T1_,comdat
	.globl	_ZN2at6native29vectorized_elementwise_kernelILi4ENS0_13AUnaryFunctorIdddZZZNS0_12_GLOBAL__N_133hermite_polynomial_he_kernel_cudaERNS_18TensorIteratorBaseEENKUlvE_clEvENKUlvE_clEvEUlddE_EESt5arrayIPcLm2EEEEviT0_T1_ ; -- Begin function _ZN2at6native29vectorized_elementwise_kernelILi4ENS0_13AUnaryFunctorIdddZZZNS0_12_GLOBAL__N_133hermite_polynomial_he_kernel_cudaERNS_18TensorIteratorBaseEENKUlvE_clEvENKUlvE_clEvEUlddE_EESt5arrayIPcLm2EEEEviT0_T1_
	.p2align	8
	.type	_ZN2at6native29vectorized_elementwise_kernelILi4ENS0_13AUnaryFunctorIdddZZZNS0_12_GLOBAL__N_133hermite_polynomial_he_kernel_cudaERNS_18TensorIteratorBaseEENKUlvE_clEvENKUlvE_clEvEUlddE_EESt5arrayIPcLm2EEEEviT0_T1_,@function
_ZN2at6native29vectorized_elementwise_kernelILi4ENS0_13AUnaryFunctorIdddZZZNS0_12_GLOBAL__N_133hermite_polynomial_he_kernel_cudaERNS_18TensorIteratorBaseEENKUlvE_clEvENKUlvE_clEvEUlddE_EESt5arrayIPcLm2EEEEviT0_T1_: ; @_ZN2at6native29vectorized_elementwise_kernelILi4ENS0_13AUnaryFunctorIdddZZZNS0_12_GLOBAL__N_133hermite_polynomial_he_kernel_cudaERNS_18TensorIteratorBaseEENKUlvE_clEvENKUlvE_clEvEUlddE_EESt5arrayIPcLm2EEEEviT0_T1_
; %bb.0:
	s_load_dword s0, s[4:5], 0x0
	s_load_dwordx4 s[8:11], s[4:5], 0x10
	s_load_dwordx2 s[12:13], s[4:5], 0x20
	s_lshl_b32 s2, s6, 10
	s_waitcnt lgkmcnt(0)
	s_sub_i32 s22, s0, s2
	s_cmpk_gt_i32 s22, 0x3ff
	s_mov_b64 s[0:1], -1
	s_cbranch_scc0 .LBB2_50
; %bb.1:
	s_ashr_i32 s3, s2, 31
	s_lshl_b64 s[0:1], s[2:3], 3
	s_add_u32 s4, s12, s0
	s_addc_u32 s5, s13, s1
	v_lshlrev_b32_e32 v1, 5, v0
	global_load_dwordx4 v[2:5], v1, s[4:5]
	global_load_dwordx4 v[6:9], v1, s[4:5] offset:16
	s_movk_i32 s3, 0xffe0
	s_waitcnt vmcnt(1)
	v_trunc_f64_e32 v[2:3], v[2:3]
	v_ldexp_f64 v[10:11], v[2:3], s3
	v_floor_f64_e32 v[10:11], v[10:11]
	v_fmac_f64_e32 v[2:3], 0xc1f00000, v[10:11]
	v_cvt_i32_f64_e32 v11, v[10:11]
	v_cvt_u32_f64_e32 v10, v[2:3]
	v_cmp_lt_i64_e32 vcc, -1, v[10:11]
	v_pk_mov_b32 v[2:3], 0, 0
	s_and_saveexec_b64 s[4:5], vcc
	s_cbranch_execz .LBB2_13
; %bb.2:
	v_mov_b32_e32 v2, 0
	v_cmp_lt_i64_e32 vcc, 0, v[10:11]
	v_mov_b32_e32 v3, 0x3ff00000
	s_and_saveexec_b64 s[6:7], vcc
	s_cbranch_execz .LBB2_12
; %bb.3:
	v_cmp_ne_u64_e32 vcc, 1, v[10:11]
                                        ; implicit-def: $vgpr2_vgpr3
	s_and_saveexec_b64 s[14:15], vcc
	s_xor_b64 s[14:15], exec, s[14:15]
	s_cbranch_execz .LBB2_9
; %bb.4:
	s_mov_b64 s[16:17], 0x201
	v_mov_b32_e32 v2, 0
	v_cmp_gt_u64_e32 vcc, s[16:17], v[10:11]
	v_mov_b32_e32 v3, 0x7ff80000
	s_and_saveexec_b64 s[16:17], vcc
	s_cbranch_execz .LBB2_8
; %bb.5:
	v_mov_b32_e32 v12, 0
	s_mov_b64 s[20:21], 1
	s_mov_b64 s[18:19], 0
	v_pk_mov_b32 v[2:3], s[8:9], s[8:9] op_sel:[0,1]
	v_mov_b32_e32 v13, 0x3ff00000
.LBB2_6:                                ; =>This Inner Loop Header: Depth=1
	v_cvt_f64_u32_e32 v[14:15], s21
	v_cvt_f64_u32_e32 v[16:17], s20
	s_add_u32 s20, s20, 1
	v_ldexp_f64 v[14:15], v[14:15], 32
	s_addc_u32 s21, s21, 0
	v_add_f64 v[14:15], v[14:15], v[16:17]
	v_cmp_eq_u64_e32 vcc, s[20:21], v[10:11]
	v_mul_f64 v[14:15], v[12:13], v[14:15]
	s_or_b64 s[18:19], vcc, s[18:19]
	v_pk_mov_b32 v[12:13], v[2:3], v[2:3] op_sel:[0,1]
	v_fma_f64 v[2:3], s[8:9], v[2:3], -v[14:15]
	s_andn2_b64 exec, exec, s[18:19]
	s_cbranch_execnz .LBB2_6
; %bb.7:
	s_or_b64 exec, exec, s[18:19]
.LBB2_8:
	s_or_b64 exec, exec, s[16:17]
.LBB2_9:
	s_andn2_saveexec_b64 s[14:15], s[14:15]
; %bb.10:
	v_pk_mov_b32 v[2:3], s[8:9], s[8:9] op_sel:[0,1]
; %bb.11:
	s_or_b64 exec, exec, s[14:15]
.LBB2_12:
	s_or_b64 exec, exec, s[6:7]
.LBB2_13:
	s_or_b64 exec, exec, s[4:5]
	v_trunc_f64_e32 v[4:5], v[4:5]
	s_movk_i32 s3, 0xffe0
	v_ldexp_f64 v[10:11], v[4:5], s3
	v_floor_f64_e32 v[12:13], v[10:11]
	v_fmac_f64_e32 v[4:5], 0xc1f00000, v[12:13]
	v_cvt_u32_f64_e32 v10, v[4:5]
	v_cvt_i32_f64_e32 v11, v[12:13]
	v_cmp_lt_i64_e32 vcc, -1, v[10:11]
	v_pk_mov_b32 v[4:5], 0, 0
	s_and_saveexec_b64 s[4:5], vcc
	s_cbranch_execz .LBB2_25
; %bb.14:
	v_mov_b32_e32 v4, 0
	v_cmp_lt_i64_e32 vcc, 0, v[10:11]
	v_mov_b32_e32 v5, 0x3ff00000
	s_and_saveexec_b64 s[6:7], vcc
	s_cbranch_execz .LBB2_24
; %bb.15:
	v_cmp_ne_u64_e32 vcc, 1, v[10:11]
	s_and_saveexec_b64 s[14:15], vcc
	s_xor_b64 s[14:15], exec, s[14:15]
	s_cbranch_execz .LBB2_21
; %bb.16:
	s_mov_b64 s[16:17], 0x201
	v_mov_b32_e32 v4, 0
	v_cmp_gt_u64_e32 vcc, s[16:17], v[10:11]
	v_mov_b32_e32 v5, 0x7ff80000
	s_and_saveexec_b64 s[16:17], vcc
	s_cbranch_execz .LBB2_20
; %bb.17:
	v_mov_b32_e32 v12, 0
	s_mov_b64 s[20:21], 1
	s_mov_b64 s[18:19], 0
	v_pk_mov_b32 v[4:5], s[8:9], s[8:9] op_sel:[0,1]
	v_mov_b32_e32 v13, 0x3ff00000
.LBB2_18:                               ; =>This Inner Loop Header: Depth=1
	v_cvt_f64_u32_e32 v[14:15], s21
	v_cvt_f64_u32_e32 v[16:17], s20
	s_add_u32 s20, s20, 1
	v_ldexp_f64 v[14:15], v[14:15], 32
	s_addc_u32 s21, s21, 0
	v_add_f64 v[14:15], v[14:15], v[16:17]
	v_cmp_eq_u64_e32 vcc, s[20:21], v[10:11]
	v_mul_f64 v[14:15], v[12:13], v[14:15]
	s_or_b64 s[18:19], vcc, s[18:19]
	v_pk_mov_b32 v[12:13], v[4:5], v[4:5] op_sel:[0,1]
	v_fma_f64 v[4:5], s[8:9], v[4:5], -v[14:15]
	s_andn2_b64 exec, exec, s[18:19]
	s_cbranch_execnz .LBB2_18
; %bb.19:
	s_or_b64 exec, exec, s[18:19]
.LBB2_20:
	s_or_b64 exec, exec, s[16:17]
.LBB2_21:
	s_andn2_saveexec_b64 s[14:15], s[14:15]
; %bb.22:
	v_pk_mov_b32 v[4:5], s[8:9], s[8:9] op_sel:[0,1]
; %bb.23:
	s_or_b64 exec, exec, s[14:15]
.LBB2_24:
	s_or_b64 exec, exec, s[6:7]
.LBB2_25:
	s_or_b64 exec, exec, s[4:5]
	s_waitcnt vmcnt(0)
	v_trunc_f64_e32 v[6:7], v[6:7]
	s_movk_i32 s3, 0xffe0
	v_ldexp_f64 v[10:11], v[6:7], s3
	v_floor_f64_e32 v[12:13], v[10:11]
	v_fmac_f64_e32 v[6:7], 0xc1f00000, v[12:13]
	v_cvt_u32_f64_e32 v10, v[6:7]
	v_cvt_i32_f64_e32 v11, v[12:13]
	v_cmp_lt_i64_e32 vcc, -1, v[10:11]
	v_pk_mov_b32 v[6:7], 0, 0
	s_and_saveexec_b64 s[4:5], vcc
	s_cbranch_execz .LBB2_37
; %bb.26:
	v_mov_b32_e32 v6, 0
	v_cmp_lt_i64_e32 vcc, 0, v[10:11]
	v_mov_b32_e32 v7, 0x3ff00000
	s_and_saveexec_b64 s[6:7], vcc
	s_cbranch_execz .LBB2_36
; %bb.27:
	v_cmp_ne_u64_e32 vcc, 1, v[10:11]
                                        ; implicit-def: $vgpr6_vgpr7
	s_and_saveexec_b64 s[14:15], vcc
	s_xor_b64 s[14:15], exec, s[14:15]
	s_cbranch_execz .LBB2_33
; %bb.28:
	s_mov_b64 s[16:17], 0x201
	v_mov_b32_e32 v6, 0
	v_cmp_gt_u64_e32 vcc, s[16:17], v[10:11]
	v_mov_b32_e32 v7, 0x7ff80000
	s_and_saveexec_b64 s[16:17], vcc
	s_cbranch_execz .LBB2_32
; %bb.29:
	v_mov_b32_e32 v12, 0
	s_mov_b64 s[20:21], 1
	s_mov_b64 s[18:19], 0
	v_pk_mov_b32 v[6:7], s[8:9], s[8:9] op_sel:[0,1]
	v_mov_b32_e32 v13, 0x3ff00000
.LBB2_30:                               ; =>This Inner Loop Header: Depth=1
	v_cvt_f64_u32_e32 v[14:15], s21
	v_cvt_f64_u32_e32 v[16:17], s20
	s_add_u32 s20, s20, 1
	v_ldexp_f64 v[14:15], v[14:15], 32
	s_addc_u32 s21, s21, 0
	v_add_f64 v[14:15], v[14:15], v[16:17]
	v_cmp_eq_u64_e32 vcc, s[20:21], v[10:11]
	v_mul_f64 v[14:15], v[12:13], v[14:15]
	s_or_b64 s[18:19], vcc, s[18:19]
	v_pk_mov_b32 v[12:13], v[6:7], v[6:7] op_sel:[0,1]
	v_fma_f64 v[6:7], s[8:9], v[6:7], -v[14:15]
	s_andn2_b64 exec, exec, s[18:19]
	s_cbranch_execnz .LBB2_30
; %bb.31:
	s_or_b64 exec, exec, s[18:19]
.LBB2_32:
	s_or_b64 exec, exec, s[16:17]
.LBB2_33:
	s_andn2_saveexec_b64 s[14:15], s[14:15]
; %bb.34:
	v_pk_mov_b32 v[6:7], s[8:9], s[8:9] op_sel:[0,1]
; %bb.35:
	s_or_b64 exec, exec, s[14:15]
.LBB2_36:
	s_or_b64 exec, exec, s[6:7]
.LBB2_37:
	s_or_b64 exec, exec, s[4:5]
	v_trunc_f64_e32 v[8:9], v[8:9]
	s_movk_i32 s3, 0xffe0
	v_ldexp_f64 v[10:11], v[8:9], s3
	v_floor_f64_e32 v[12:13], v[10:11]
	v_fmac_f64_e32 v[8:9], 0xc1f00000, v[12:13]
	v_cvt_u32_f64_e32 v10, v[8:9]
	v_cvt_i32_f64_e32 v11, v[12:13]
	v_cmp_lt_i64_e32 vcc, -1, v[10:11]
	v_pk_mov_b32 v[8:9], 0, 0
	s_and_saveexec_b64 s[4:5], vcc
	s_cbranch_execz .LBB2_49
; %bb.38:
	v_mov_b32_e32 v8, 0
	v_cmp_lt_i64_e32 vcc, 0, v[10:11]
	v_mov_b32_e32 v9, 0x3ff00000
	s_and_saveexec_b64 s[6:7], vcc
	s_cbranch_execz .LBB2_48
; %bb.39:
	v_cmp_ne_u64_e32 vcc, 1, v[10:11]
	s_and_saveexec_b64 s[14:15], vcc
	s_xor_b64 s[14:15], exec, s[14:15]
	s_cbranch_execz .LBB2_45
; %bb.40:
	s_mov_b64 s[16:17], 0x201
	v_mov_b32_e32 v8, 0
	v_cmp_gt_u64_e32 vcc, s[16:17], v[10:11]
	v_mov_b32_e32 v9, 0x7ff80000
	s_and_saveexec_b64 s[16:17], vcc
	s_cbranch_execz .LBB2_44
; %bb.41:
	v_mov_b32_e32 v12, 0
	s_mov_b64 s[20:21], 1
	s_mov_b64 s[18:19], 0
	v_pk_mov_b32 v[8:9], s[8:9], s[8:9] op_sel:[0,1]
	v_mov_b32_e32 v13, 0x3ff00000
.LBB2_42:                               ; =>This Inner Loop Header: Depth=1
	v_cvt_f64_u32_e32 v[14:15], s21
	v_cvt_f64_u32_e32 v[16:17], s20
	s_add_u32 s20, s20, 1
	v_ldexp_f64 v[14:15], v[14:15], 32
	s_addc_u32 s21, s21, 0
	v_add_f64 v[14:15], v[14:15], v[16:17]
	v_cmp_eq_u64_e32 vcc, s[20:21], v[10:11]
	v_mul_f64 v[14:15], v[12:13], v[14:15]
	s_or_b64 s[18:19], vcc, s[18:19]
	v_pk_mov_b32 v[12:13], v[8:9], v[8:9] op_sel:[0,1]
	v_fma_f64 v[8:9], s[8:9], v[8:9], -v[14:15]
	s_andn2_b64 exec, exec, s[18:19]
	s_cbranch_execnz .LBB2_42
; %bb.43:
	s_or_b64 exec, exec, s[18:19]
.LBB2_44:
	s_or_b64 exec, exec, s[16:17]
.LBB2_45:
	s_andn2_saveexec_b64 s[14:15], s[14:15]
; %bb.46:
	v_pk_mov_b32 v[8:9], s[8:9], s[8:9] op_sel:[0,1]
; %bb.47:
	s_or_b64 exec, exec, s[14:15]
.LBB2_48:
	s_or_b64 exec, exec, s[6:7]
.LBB2_49:
	s_or_b64 exec, exec, s[4:5]
	s_add_u32 s0, s10, s0
	s_addc_u32 s1, s11, s1
	global_store_dwordx4 v1, v[2:5], s[0:1]
	global_store_dwordx4 v1, v[6:9], s[0:1] offset:16
	s_mov_b64 s[0:1], 0
.LBB2_50:
	s_and_b64 vcc, exec, s[0:1]
	s_cbranch_vccz .LBB2_107
; %bb.51:
	v_pk_mov_b32 v[16:17], 0, 0
	v_cmp_gt_i32_e32 vcc, s22, v0
	v_or_b32_e32 v10, s2, v0
	v_pk_mov_b32 v[18:19], v[16:17], v[16:17] op_sel:[0,1]
	v_mov_b32_e32 v1, v0
	s_and_saveexec_b64 s[4:5], vcc
	s_cbranch_execz .LBB2_53
; %bb.52:
	v_mov_b32_e32 v11, 0
	v_lshlrev_b64 v[2:3], 3, v[10:11]
	v_mov_b32_e32 v1, s13
	v_add_co_u32_e64 v2, s[0:1], s12, v2
	v_addc_co_u32_e64 v3, s[0:1], v1, v3, s[0:1]
	global_load_dwordx2 v[18:19], v[2:3], off
	v_or_b32_e32 v1, 0x100, v0
.LBB2_53:
	s_or_b64 exec, exec, s[4:5]
	v_cmp_gt_i32_e64 s[0:1], s22, v1
	s_and_saveexec_b64 s[4:5], s[0:1]
	s_cbranch_execz .LBB2_55
; %bb.54:
	v_add_u32_e32 v2, s2, v1
	v_mov_b32_e32 v3, 0
	v_lshlrev_b64 v[2:3], 3, v[2:3]
	v_mov_b32_e32 v4, s13
	v_add_co_u32_e64 v2, s[0:1], s12, v2
	v_addc_co_u32_e64 v3, s[0:1], v4, v3, s[0:1]
	global_load_dwordx2 v[16:17], v[2:3], off
	v_add_u32_e32 v1, 0x100, v1
.LBB2_55:
	s_or_b64 exec, exec, s[4:5]
	v_pk_mov_b32 v[12:13], 0, 0
	v_cmp_gt_i32_e64 s[0:1], s22, v1
	v_pk_mov_b32 v[14:15], v[12:13], v[12:13] op_sel:[0,1]
	s_and_saveexec_b64 s[4:5], s[0:1]
	s_cbranch_execnz .LBB2_58
; %bb.56:
	s_or_b64 exec, exec, s[4:5]
	v_cmp_gt_i32_e64 s[0:1], s22, v1
	s_and_saveexec_b64 s[4:5], s[0:1]
	s_cbranch_execnz .LBB2_59
.LBB2_57:
	s_or_b64 exec, exec, s[4:5]
                                        ; implicit-def: $vgpr2_vgpr3_vgpr4_vgpr5_vgpr6_vgpr7_vgpr8_vgpr9
	s_and_saveexec_b64 s[4:5], vcc
	s_cbranch_execnz .LBB2_60
	s_branch .LBB2_73
.LBB2_58:
	v_add_u32_e32 v2, s2, v1
	v_mov_b32_e32 v3, 0
	v_lshlrev_b64 v[2:3], 3, v[2:3]
	v_mov_b32_e32 v4, s13
	v_add_co_u32_e64 v2, s[0:1], s12, v2
	v_addc_co_u32_e64 v3, s[0:1], v4, v3, s[0:1]
	global_load_dwordx2 v[14:15], v[2:3], off
	v_add_u32_e32 v1, 0x100, v1
	s_or_b64 exec, exec, s[4:5]
	v_cmp_gt_i32_e64 s[0:1], s22, v1
	s_and_saveexec_b64 s[4:5], s[0:1]
	s_cbranch_execz .LBB2_57
.LBB2_59:
	v_add_u32_e32 v2, s2, v1
	v_mov_b32_e32 v3, 0
	v_lshlrev_b64 v[2:3], 3, v[2:3]
	v_mov_b32_e32 v1, s13
	v_add_co_u32_e64 v2, s[0:1], s12, v2
	v_addc_co_u32_e64 v3, s[0:1], v1, v3, s[0:1]
	global_load_dwordx2 v[12:13], v[2:3], off
	s_or_b64 exec, exec, s[4:5]
                                        ; implicit-def: $vgpr2_vgpr3_vgpr4_vgpr5_vgpr6_vgpr7_vgpr8_vgpr9
	s_and_saveexec_b64 s[4:5], vcc
	s_cbranch_execz .LBB2_73
.LBB2_60:
	s_waitcnt vmcnt(0)
	v_trunc_f64_e32 v[2:3], v[18:19]
	s_movk_i32 s0, 0xffe0
	v_ldexp_f64 v[4:5], v[2:3], s0
	v_floor_f64_e32 v[6:7], v[4:5]
	v_fmac_f64_e32 v[2:3], 0xc1f00000, v[6:7]
	v_cvt_i32_f64_e32 v5, v[6:7]
	v_cvt_u32_f64_e32 v4, v[2:3]
	v_cmp_lt_i64_e64 s[0:1], -1, v[4:5]
	v_pk_mov_b32 v[2:3], 0, 0
	s_and_saveexec_b64 s[6:7], s[0:1]
	s_cbranch_execz .LBB2_72
; %bb.61:
	v_mov_b32_e32 v2, 0
	v_cmp_lt_i64_e64 s[0:1], 0, v[4:5]
	v_mov_b32_e32 v3, 0x3ff00000
	s_and_saveexec_b64 s[12:13], s[0:1]
	s_cbranch_execz .LBB2_71
; %bb.62:
	v_cmp_ne_u64_e64 s[0:1], 1, v[4:5]
                                        ; implicit-def: $vgpr2_vgpr3
	s_and_saveexec_b64 s[14:15], s[0:1]
	s_xor_b64 s[14:15], exec, s[14:15]
	s_cbranch_execz .LBB2_68
; %bb.63:
	s_mov_b64 s[0:1], 0x201
	v_mov_b32_e32 v2, 0
	v_cmp_gt_u64_e64 s[0:1], s[0:1], v[4:5]
	v_mov_b32_e32 v3, 0x7ff80000
	s_and_saveexec_b64 s[16:17], s[0:1]
	s_cbranch_execz .LBB2_67
; %bb.64:
	v_mov_b32_e32 v6, 0
	s_mov_b64 s[20:21], 1
	s_mov_b64 s[18:19], 0
	v_pk_mov_b32 v[2:3], s[8:9], s[8:9] op_sel:[0,1]
	v_mov_b32_e32 v7, 0x3ff00000
.LBB2_65:                               ; =>This Inner Loop Header: Depth=1
	v_cvt_f64_u32_e32 v[8:9], s21
	v_cvt_f64_u32_e32 v[18:19], s20
	s_add_u32 s20, s20, 1
	v_ldexp_f64 v[8:9], v[8:9], 32
	s_addc_u32 s21, s21, 0
	v_add_f64 v[8:9], v[8:9], v[18:19]
	v_cmp_eq_u64_e64 s[0:1], s[20:21], v[4:5]
	v_mul_f64 v[8:9], v[6:7], v[8:9]
	s_or_b64 s[18:19], s[0:1], s[18:19]
	v_pk_mov_b32 v[6:7], v[2:3], v[2:3] op_sel:[0,1]
	v_fma_f64 v[2:3], s[8:9], v[2:3], -v[8:9]
	s_andn2_b64 exec, exec, s[18:19]
	s_cbranch_execnz .LBB2_65
; %bb.66:
	s_or_b64 exec, exec, s[18:19]
.LBB2_67:
	s_or_b64 exec, exec, s[16:17]
.LBB2_68:
	s_andn2_saveexec_b64 s[0:1], s[14:15]
; %bb.69:
	v_pk_mov_b32 v[2:3], s[8:9], s[8:9] op_sel:[0,1]
; %bb.70:
	s_or_b64 exec, exec, s[0:1]
.LBB2_71:
	s_or_b64 exec, exec, s[12:13]
.LBB2_72:
	s_or_b64 exec, exec, s[6:7]
.LBB2_73:
	s_or_b64 exec, exec, s[4:5]
	v_or_b32_e32 v1, 0x100, v0
	v_cmp_gt_i32_e64 s[0:1], s22, v1
	s_and_saveexec_b64 s[4:5], s[0:1]
	s_cbranch_execz .LBB2_87
; %bb.74:
	s_waitcnt vmcnt(0)
	v_trunc_f64_e32 v[4:5], v[16:17]
	s_movk_i32 s0, 0xffe0
	v_ldexp_f64 v[16:17], v[4:5], s0
	v_floor_f64_e32 v[18:19], v[16:17]
	v_fmac_f64_e32 v[4:5], 0xc1f00000, v[18:19]
	v_cvt_i32_f64_e32 v17, v[18:19]
	v_cvt_u32_f64_e32 v16, v[4:5]
	v_cmp_lt_i64_e64 s[0:1], -1, v[16:17]
	v_pk_mov_b32 v[4:5], 0, 0
	s_and_saveexec_b64 s[6:7], s[0:1]
	s_cbranch_execz .LBB2_86
; %bb.75:
	v_mov_b32_e32 v4, 0
	v_cmp_lt_i64_e64 s[0:1], 0, v[16:17]
	v_mov_b32_e32 v5, 0x3ff00000
	s_and_saveexec_b64 s[12:13], s[0:1]
	s_cbranch_execz .LBB2_85
; %bb.76:
	v_cmp_ne_u64_e64 s[0:1], 1, v[16:17]
	s_and_saveexec_b64 s[14:15], s[0:1]
	s_xor_b64 s[14:15], exec, s[14:15]
	s_cbranch_execz .LBB2_82
; %bb.77:
	s_mov_b64 s[0:1], 0x201
	v_mov_b32_e32 v4, 0
	v_cmp_gt_u64_e64 s[0:1], s[0:1], v[16:17]
	v_mov_b32_e32 v5, 0x7ff80000
	s_and_saveexec_b64 s[16:17], s[0:1]
	s_cbranch_execz .LBB2_81
; %bb.78:
	v_mov_b32_e32 v18, 0
	s_mov_b64 s[20:21], 1
	s_mov_b64 s[18:19], 0
	v_pk_mov_b32 v[4:5], s[8:9], s[8:9] op_sel:[0,1]
	v_mov_b32_e32 v19, 0x3ff00000
.LBB2_79:                               ; =>This Inner Loop Header: Depth=1
	v_cvt_f64_u32_e32 v[20:21], s21
	v_cvt_f64_u32_e32 v[22:23], s20
	s_add_u32 s20, s20, 1
	v_ldexp_f64 v[20:21], v[20:21], 32
	s_addc_u32 s21, s21, 0
	v_add_f64 v[20:21], v[20:21], v[22:23]
	v_cmp_eq_u64_e64 s[0:1], s[20:21], v[16:17]
	v_mul_f64 v[20:21], v[18:19], v[20:21]
	s_or_b64 s[18:19], s[0:1], s[18:19]
	v_pk_mov_b32 v[18:19], v[4:5], v[4:5] op_sel:[0,1]
	v_fma_f64 v[4:5], s[8:9], v[4:5], -v[20:21]
	s_andn2_b64 exec, exec, s[18:19]
	s_cbranch_execnz .LBB2_79
; %bb.80:
	s_or_b64 exec, exec, s[18:19]
.LBB2_81:
	s_or_b64 exec, exec, s[16:17]
.LBB2_82:
	s_andn2_saveexec_b64 s[0:1], s[14:15]
; %bb.83:
	v_pk_mov_b32 v[4:5], s[8:9], s[8:9] op_sel:[0,1]
; %bb.84:
	s_or_b64 exec, exec, s[0:1]
.LBB2_85:
	s_or_b64 exec, exec, s[12:13]
.LBB2_86:
	s_or_b64 exec, exec, s[6:7]
.LBB2_87:
	s_or_b64 exec, exec, s[4:5]
	v_or_b32_e32 v11, 0x200, v0
	v_cmp_gt_i32_e64 s[0:1], s22, v11
	s_and_saveexec_b64 s[4:5], s[0:1]
	s_cbranch_execz .LBB2_101
; %bb.88:
	s_waitcnt vmcnt(0)
	v_trunc_f64_e32 v[6:7], v[14:15]
	s_movk_i32 s0, 0xffe0
	v_ldexp_f64 v[14:15], v[6:7], s0
	v_floor_f64_e32 v[16:17], v[14:15]
	v_fmac_f64_e32 v[6:7], 0xc1f00000, v[16:17]
	v_cvt_i32_f64_e32 v15, v[16:17]
	v_cvt_u32_f64_e32 v14, v[6:7]
	v_cmp_lt_i64_e64 s[0:1], -1, v[14:15]
	v_pk_mov_b32 v[6:7], 0, 0
	s_and_saveexec_b64 s[6:7], s[0:1]
	s_cbranch_execz .LBB2_100
; %bb.89:
	v_mov_b32_e32 v6, 0
	v_cmp_lt_i64_e64 s[0:1], 0, v[14:15]
	v_mov_b32_e32 v7, 0x3ff00000
	s_and_saveexec_b64 s[12:13], s[0:1]
	s_cbranch_execz .LBB2_99
; %bb.90:
	v_cmp_ne_u64_e64 s[0:1], 1, v[14:15]
	s_and_saveexec_b64 s[14:15], s[0:1]
	s_xor_b64 s[14:15], exec, s[14:15]
	s_cbranch_execz .LBB2_96
; %bb.91:
	s_mov_b64 s[0:1], 0x201
	v_mov_b32_e32 v6, 0
	v_cmp_gt_u64_e64 s[0:1], s[0:1], v[14:15]
	v_mov_b32_e32 v7, 0x7ff80000
	s_and_saveexec_b64 s[16:17], s[0:1]
	s_cbranch_execz .LBB2_95
; %bb.92:
	v_mov_b32_e32 v16, 0
	s_mov_b64 s[20:21], 1
	s_mov_b64 s[18:19], 0
	v_pk_mov_b32 v[6:7], s[8:9], s[8:9] op_sel:[0,1]
	v_mov_b32_e32 v17, 0x3ff00000
.LBB2_93:                               ; =>This Inner Loop Header: Depth=1
	v_cvt_f64_u32_e32 v[18:19], s21
	v_cvt_f64_u32_e32 v[20:21], s20
	s_add_u32 s20, s20, 1
	v_ldexp_f64 v[18:19], v[18:19], 32
	s_addc_u32 s21, s21, 0
	v_add_f64 v[18:19], v[18:19], v[20:21]
	v_cmp_eq_u64_e64 s[0:1], s[20:21], v[14:15]
	v_mul_f64 v[18:19], v[16:17], v[18:19]
	s_or_b64 s[18:19], s[0:1], s[18:19]
	v_pk_mov_b32 v[16:17], v[6:7], v[6:7] op_sel:[0,1]
	v_fma_f64 v[6:7], s[8:9], v[6:7], -v[18:19]
	s_andn2_b64 exec, exec, s[18:19]
	s_cbranch_execnz .LBB2_93
; %bb.94:
	s_or_b64 exec, exec, s[18:19]
.LBB2_95:
	s_or_b64 exec, exec, s[16:17]
.LBB2_96:
	s_andn2_saveexec_b64 s[0:1], s[14:15]
; %bb.97:
	v_pk_mov_b32 v[6:7], s[8:9], s[8:9] op_sel:[0,1]
; %bb.98:
	s_or_b64 exec, exec, s[0:1]
.LBB2_99:
	s_or_b64 exec, exec, s[12:13]
.LBB2_100:
	s_or_b64 exec, exec, s[6:7]
.LBB2_101:
	s_or_b64 exec, exec, s[4:5]
	v_or_b32_e32 v11, 0x300, v0
	v_cmp_gt_i32_e64 s[0:1], s22, v11
	s_and_saveexec_b64 s[4:5], s[0:1]
	s_cbranch_execnz .LBB2_108
; %bb.102:
	s_or_b64 exec, exec, s[4:5]
	s_and_saveexec_b64 s[0:1], vcc
	s_xor_b64 s[0:1], exec, s[0:1]
	s_cbranch_execnz .LBB2_121
.LBB2_103:
	s_or_b64 exec, exec, s[0:1]
	v_cmp_gt_i32_e32 vcc, s22, v0
	s_and_saveexec_b64 s[0:1], vcc
	s_cbranch_execnz .LBB2_122
.LBB2_104:
	s_or_b64 exec, exec, s[0:1]
	v_cmp_gt_i32_e32 vcc, s22, v0
	s_and_saveexec_b64 s[0:1], vcc
	s_cbranch_execnz .LBB2_123
.LBB2_105:
	s_or_b64 exec, exec, s[0:1]
	v_cmp_gt_i32_e32 vcc, s22, v0
	s_and_saveexec_b64 s[0:1], vcc
	s_cbranch_execz .LBB2_107
.LBB2_106:
	v_add_u32_e32 v0, s2, v0
	v_mov_b32_e32 v1, 0
	v_lshlrev_b64 v[0:1], 3, v[0:1]
	v_mov_b32_e32 v2, s11
	v_add_co_u32_e32 v0, vcc, s10, v0
	v_addc_co_u32_e32 v1, vcc, v2, v1, vcc
	global_store_dwordx2 v[0:1], v[8:9], off
.LBB2_107:
	s_endpgm
.LBB2_108:
	s_waitcnt vmcnt(0)
	v_trunc_f64_e32 v[8:9], v[12:13]
	s_movk_i32 s0, 0xffe0
	v_ldexp_f64 v[12:13], v[8:9], s0
	v_floor_f64_e32 v[14:15], v[12:13]
	v_fmac_f64_e32 v[8:9], 0xc1f00000, v[14:15]
	v_cvt_i32_f64_e32 v13, v[14:15]
	v_cvt_u32_f64_e32 v12, v[8:9]
	v_cmp_lt_i64_e64 s[0:1], -1, v[12:13]
	v_pk_mov_b32 v[8:9], 0, 0
	s_and_saveexec_b64 s[6:7], s[0:1]
	s_cbranch_execz .LBB2_120
; %bb.109:
	v_mov_b32_e32 v8, 0
	v_cmp_lt_i64_e64 s[0:1], 0, v[12:13]
	v_mov_b32_e32 v9, 0x3ff00000
	s_and_saveexec_b64 s[12:13], s[0:1]
	s_cbranch_execz .LBB2_119
; %bb.110:
	v_cmp_ne_u64_e64 s[0:1], 1, v[12:13]
	s_and_saveexec_b64 s[14:15], s[0:1]
	s_xor_b64 s[14:15], exec, s[14:15]
	s_cbranch_execz .LBB2_116
; %bb.111:
	s_mov_b64 s[0:1], 0x201
	v_mov_b32_e32 v8, 0
	v_cmp_gt_u64_e64 s[0:1], s[0:1], v[12:13]
	v_mov_b32_e32 v9, 0x7ff80000
	s_and_saveexec_b64 s[16:17], s[0:1]
	s_cbranch_execz .LBB2_115
; %bb.112:
	v_mov_b32_e32 v14, 0
	s_mov_b64 s[20:21], 1
	s_mov_b64 s[18:19], 0
	v_pk_mov_b32 v[8:9], s[8:9], s[8:9] op_sel:[0,1]
	v_mov_b32_e32 v15, 0x3ff00000
.LBB2_113:                              ; =>This Inner Loop Header: Depth=1
	v_cvt_f64_u32_e32 v[16:17], s21
	v_cvt_f64_u32_e32 v[18:19], s20
	s_add_u32 s20, s20, 1
	v_ldexp_f64 v[16:17], v[16:17], 32
	s_addc_u32 s21, s21, 0
	v_add_f64 v[16:17], v[16:17], v[18:19]
	v_cmp_eq_u64_e64 s[0:1], s[20:21], v[12:13]
	v_mul_f64 v[16:17], v[14:15], v[16:17]
	s_or_b64 s[18:19], s[0:1], s[18:19]
	v_pk_mov_b32 v[14:15], v[8:9], v[8:9] op_sel:[0,1]
	v_fma_f64 v[8:9], s[8:9], v[8:9], -v[16:17]
	s_andn2_b64 exec, exec, s[18:19]
	s_cbranch_execnz .LBB2_113
; %bb.114:
	s_or_b64 exec, exec, s[18:19]
.LBB2_115:
	s_or_b64 exec, exec, s[16:17]
.LBB2_116:
	s_andn2_saveexec_b64 s[0:1], s[14:15]
; %bb.117:
	v_pk_mov_b32 v[8:9], s[8:9], s[8:9] op_sel:[0,1]
; %bb.118:
	s_or_b64 exec, exec, s[0:1]
.LBB2_119:
	s_or_b64 exec, exec, s[12:13]
.LBB2_120:
	s_or_b64 exec, exec, s[6:7]
	s_or_b64 exec, exec, s[4:5]
	s_and_saveexec_b64 s[0:1], vcc
	s_xor_b64 s[0:1], exec, s[0:1]
	s_cbranch_execz .LBB2_103
.LBB2_121:
	v_mov_b32_e32 v11, 0
	v_lshlrev_b64 v[10:11], 3, v[10:11]
	v_mov_b32_e32 v0, s11
	v_add_co_u32_e32 v10, vcc, s10, v10
	v_addc_co_u32_e32 v11, vcc, v0, v11, vcc
	v_mov_b32_e32 v0, v1
	global_store_dwordx2 v[10:11], v[2:3], off
	s_or_b64 exec, exec, s[0:1]
	v_cmp_gt_i32_e32 vcc, s22, v0
	s_and_saveexec_b64 s[0:1], vcc
	s_cbranch_execz .LBB2_104
.LBB2_122:
	v_add_u32_e32 v2, s2, v0
	v_mov_b32_e32 v3, 0
	v_lshlrev_b64 v[2:3], 3, v[2:3]
	v_mov_b32_e32 v1, s11
	v_add_co_u32_e32 v2, vcc, s10, v2
	v_addc_co_u32_e32 v3, vcc, v1, v3, vcc
	v_add_u32_e32 v0, 0x100, v0
	global_store_dwordx2 v[2:3], v[4:5], off
	s_or_b64 exec, exec, s[0:1]
	v_cmp_gt_i32_e32 vcc, s22, v0
	s_and_saveexec_b64 s[0:1], vcc
	s_cbranch_execz .LBB2_105
.LBB2_123:
	v_add_u32_e32 v2, s2, v0
	v_mov_b32_e32 v3, 0
	v_lshlrev_b64 v[2:3], 3, v[2:3]
	v_mov_b32_e32 v1, s11
	v_add_co_u32_e32 v2, vcc, s10, v2
	v_addc_co_u32_e32 v3, vcc, v1, v3, vcc
	v_add_u32_e32 v0, 0x100, v0
	global_store_dwordx2 v[2:3], v[6:7], off
	s_or_b64 exec, exec, s[0:1]
	v_cmp_gt_i32_e32 vcc, s22, v0
	s_and_saveexec_b64 s[0:1], vcc
	s_cbranch_execnz .LBB2_106
	s_branch .LBB2_107
	.section	.rodata,"a",@progbits
	.p2align	6, 0x0
	.amdhsa_kernel _ZN2at6native29vectorized_elementwise_kernelILi4ENS0_13AUnaryFunctorIdddZZZNS0_12_GLOBAL__N_133hermite_polynomial_he_kernel_cudaERNS_18TensorIteratorBaseEENKUlvE_clEvENKUlvE_clEvEUlddE_EESt5arrayIPcLm2EEEEviT0_T1_
		.amdhsa_group_segment_fixed_size 0
		.amdhsa_private_segment_fixed_size 0
		.amdhsa_kernarg_size 40
		.amdhsa_user_sgpr_count 6
		.amdhsa_user_sgpr_private_segment_buffer 1
		.amdhsa_user_sgpr_dispatch_ptr 0
		.amdhsa_user_sgpr_queue_ptr 0
		.amdhsa_user_sgpr_kernarg_segment_ptr 1
		.amdhsa_user_sgpr_dispatch_id 0
		.amdhsa_user_sgpr_flat_scratch_init 0
		.amdhsa_user_sgpr_kernarg_preload_length 0
		.amdhsa_user_sgpr_kernarg_preload_offset 0
		.amdhsa_user_sgpr_private_segment_size 0
		.amdhsa_uses_dynamic_stack 0
		.amdhsa_system_sgpr_private_segment_wavefront_offset 0
		.amdhsa_system_sgpr_workgroup_id_x 1
		.amdhsa_system_sgpr_workgroup_id_y 0
		.amdhsa_system_sgpr_workgroup_id_z 0
		.amdhsa_system_sgpr_workgroup_info 0
		.amdhsa_system_vgpr_workitem_id 0
		.amdhsa_next_free_vgpr 24
		.amdhsa_next_free_sgpr 23
		.amdhsa_accum_offset 24
		.amdhsa_reserve_vcc 1
		.amdhsa_reserve_flat_scratch 0
		.amdhsa_float_round_mode_32 0
		.amdhsa_float_round_mode_16_64 0
		.amdhsa_float_denorm_mode_32 3
		.amdhsa_float_denorm_mode_16_64 3
		.amdhsa_dx10_clamp 1
		.amdhsa_ieee_mode 1
		.amdhsa_fp16_overflow 0
		.amdhsa_tg_split 0
		.amdhsa_exception_fp_ieee_invalid_op 0
		.amdhsa_exception_fp_denorm_src 0
		.amdhsa_exception_fp_ieee_div_zero 0
		.amdhsa_exception_fp_ieee_overflow 0
		.amdhsa_exception_fp_ieee_underflow 0
		.amdhsa_exception_fp_ieee_inexact 0
		.amdhsa_exception_int_div_zero 0
	.end_amdhsa_kernel
	.section	.text._ZN2at6native29vectorized_elementwise_kernelILi4ENS0_13AUnaryFunctorIdddZZZNS0_12_GLOBAL__N_133hermite_polynomial_he_kernel_cudaERNS_18TensorIteratorBaseEENKUlvE_clEvENKUlvE_clEvEUlddE_EESt5arrayIPcLm2EEEEviT0_T1_,"axG",@progbits,_ZN2at6native29vectorized_elementwise_kernelILi4ENS0_13AUnaryFunctorIdddZZZNS0_12_GLOBAL__N_133hermite_polynomial_he_kernel_cudaERNS_18TensorIteratorBaseEENKUlvE_clEvENKUlvE_clEvEUlddE_EESt5arrayIPcLm2EEEEviT0_T1_,comdat
.Lfunc_end2:
	.size	_ZN2at6native29vectorized_elementwise_kernelILi4ENS0_13AUnaryFunctorIdddZZZNS0_12_GLOBAL__N_133hermite_polynomial_he_kernel_cudaERNS_18TensorIteratorBaseEENKUlvE_clEvENKUlvE_clEvEUlddE_EESt5arrayIPcLm2EEEEviT0_T1_, .Lfunc_end2-_ZN2at6native29vectorized_elementwise_kernelILi4ENS0_13AUnaryFunctorIdddZZZNS0_12_GLOBAL__N_133hermite_polynomial_he_kernel_cudaERNS_18TensorIteratorBaseEENKUlvE_clEvENKUlvE_clEvEUlddE_EESt5arrayIPcLm2EEEEviT0_T1_
                                        ; -- End function
	.section	.AMDGPU.csdata,"",@progbits
; Kernel info:
; codeLenInByte = 3040
; NumSgprs: 27
; NumVgprs: 24
; NumAgprs: 0
; TotalNumVgprs: 24
; ScratchSize: 0
; MemoryBound: 1
; FloatMode: 240
; IeeeMode: 1
; LDSByteSize: 0 bytes/workgroup (compile time only)
; SGPRBlocks: 3
; VGPRBlocks: 2
; NumSGPRsForWavesPerEU: 27
; NumVGPRsForWavesPerEU: 24
; AccumOffset: 24
; Occupancy: 8
; WaveLimiterHint : 0
; COMPUTE_PGM_RSRC2:SCRATCH_EN: 0
; COMPUTE_PGM_RSRC2:USER_SGPR: 6
; COMPUTE_PGM_RSRC2:TRAP_HANDLER: 0
; COMPUTE_PGM_RSRC2:TGID_X_EN: 1
; COMPUTE_PGM_RSRC2:TGID_Y_EN: 0
; COMPUTE_PGM_RSRC2:TGID_Z_EN: 0
; COMPUTE_PGM_RSRC2:TIDIG_COMP_CNT: 0
; COMPUTE_PGM_RSRC3_GFX90A:ACCUM_OFFSET: 5
; COMPUTE_PGM_RSRC3_GFX90A:TG_SPLIT: 0
	.section	.text._ZN2at6native29vectorized_elementwise_kernelILi2ENS0_13AUnaryFunctorIdddZZZNS0_12_GLOBAL__N_133hermite_polynomial_he_kernel_cudaERNS_18TensorIteratorBaseEENKUlvE_clEvENKUlvE_clEvEUlddE_EESt5arrayIPcLm2EEEEviT0_T1_,"axG",@progbits,_ZN2at6native29vectorized_elementwise_kernelILi2ENS0_13AUnaryFunctorIdddZZZNS0_12_GLOBAL__N_133hermite_polynomial_he_kernel_cudaERNS_18TensorIteratorBaseEENKUlvE_clEvENKUlvE_clEvEUlddE_EESt5arrayIPcLm2EEEEviT0_T1_,comdat
	.globl	_ZN2at6native29vectorized_elementwise_kernelILi2ENS0_13AUnaryFunctorIdddZZZNS0_12_GLOBAL__N_133hermite_polynomial_he_kernel_cudaERNS_18TensorIteratorBaseEENKUlvE_clEvENKUlvE_clEvEUlddE_EESt5arrayIPcLm2EEEEviT0_T1_ ; -- Begin function _ZN2at6native29vectorized_elementwise_kernelILi2ENS0_13AUnaryFunctorIdddZZZNS0_12_GLOBAL__N_133hermite_polynomial_he_kernel_cudaERNS_18TensorIteratorBaseEENKUlvE_clEvENKUlvE_clEvEUlddE_EESt5arrayIPcLm2EEEEviT0_T1_
	.p2align	8
	.type	_ZN2at6native29vectorized_elementwise_kernelILi2ENS0_13AUnaryFunctorIdddZZZNS0_12_GLOBAL__N_133hermite_polynomial_he_kernel_cudaERNS_18TensorIteratorBaseEENKUlvE_clEvENKUlvE_clEvEUlddE_EESt5arrayIPcLm2EEEEviT0_T1_,@function
_ZN2at6native29vectorized_elementwise_kernelILi2ENS0_13AUnaryFunctorIdddZZZNS0_12_GLOBAL__N_133hermite_polynomial_he_kernel_cudaERNS_18TensorIteratorBaseEENKUlvE_clEvENKUlvE_clEvEUlddE_EESt5arrayIPcLm2EEEEviT0_T1_: ; @_ZN2at6native29vectorized_elementwise_kernelILi2ENS0_13AUnaryFunctorIdddZZZNS0_12_GLOBAL__N_133hermite_polynomial_he_kernel_cudaERNS_18TensorIteratorBaseEENKUlvE_clEvENKUlvE_clEvEUlddE_EESt5arrayIPcLm2EEEEviT0_T1_
; %bb.0:
	s_load_dword s0, s[4:5], 0x0
	s_load_dwordx4 s[8:11], s[4:5], 0x10
	s_load_dwordx2 s[12:13], s[4:5], 0x20
	s_lshl_b32 s2, s6, 10
	s_waitcnt lgkmcnt(0)
	s_sub_i32 s22, s0, s2
	s_cmpk_gt_i32 s22, 0x3ff
	s_mov_b64 s[0:1], -1
	s_cbranch_scc0 .LBB3_50
; %bb.1:
	s_ashr_i32 s3, s2, 31
	s_lshl_b64 s[0:1], s[2:3], 3
	s_add_u32 s4, s12, s0
	s_addc_u32 s5, s13, s1
	v_lshlrev_b32_e32 v1, 4, v0
	global_load_dwordx4 v[2:5], v1, s[4:5]
	v_mov_b32_e32 v6, s5
	v_add_co_u32_e32 v7, vcc, s4, v1
	v_addc_co_u32_e32 v8, vcc, 0, v6, vcc
	v_add_co_u32_e32 v6, vcc, 0x1000, v7
	v_addc_co_u32_e32 v7, vcc, 0, v8, vcc
	global_load_dwordx4 v[6:9], v[6:7], off
	s_movk_i32 s3, 0xffe0
	s_waitcnt vmcnt(1)
	v_trunc_f64_e32 v[2:3], v[2:3]
	v_ldexp_f64 v[10:11], v[2:3], s3
	v_floor_f64_e32 v[10:11], v[10:11]
	v_fmac_f64_e32 v[2:3], 0xc1f00000, v[10:11]
	v_cvt_i32_f64_e32 v11, v[10:11]
	v_cvt_u32_f64_e32 v10, v[2:3]
	v_cmp_lt_i64_e32 vcc, -1, v[10:11]
	v_pk_mov_b32 v[2:3], 0, 0
	s_and_saveexec_b64 s[4:5], vcc
	s_cbranch_execz .LBB3_13
; %bb.2:
	v_mov_b32_e32 v2, 0
	v_cmp_lt_i64_e32 vcc, 0, v[10:11]
	v_mov_b32_e32 v3, 0x3ff00000
	s_and_saveexec_b64 s[6:7], vcc
	s_cbranch_execz .LBB3_12
; %bb.3:
	v_cmp_ne_u64_e32 vcc, 1, v[10:11]
                                        ; implicit-def: $vgpr2_vgpr3
	s_and_saveexec_b64 s[14:15], vcc
	s_xor_b64 s[14:15], exec, s[14:15]
	s_cbranch_execz .LBB3_9
; %bb.4:
	s_mov_b64 s[16:17], 0x201
	v_mov_b32_e32 v2, 0
	v_cmp_gt_u64_e32 vcc, s[16:17], v[10:11]
	v_mov_b32_e32 v3, 0x7ff80000
	s_and_saveexec_b64 s[16:17], vcc
	s_cbranch_execz .LBB3_8
; %bb.5:
	v_mov_b32_e32 v12, 0
	s_mov_b64 s[20:21], 1
	s_mov_b64 s[18:19], 0
	v_pk_mov_b32 v[2:3], s[8:9], s[8:9] op_sel:[0,1]
	v_mov_b32_e32 v13, 0x3ff00000
.LBB3_6:                                ; =>This Inner Loop Header: Depth=1
	v_cvt_f64_u32_e32 v[14:15], s21
	v_cvt_f64_u32_e32 v[16:17], s20
	s_add_u32 s20, s20, 1
	v_ldexp_f64 v[14:15], v[14:15], 32
	s_addc_u32 s21, s21, 0
	v_add_f64 v[14:15], v[14:15], v[16:17]
	v_cmp_eq_u64_e32 vcc, s[20:21], v[10:11]
	v_mul_f64 v[14:15], v[12:13], v[14:15]
	s_or_b64 s[18:19], vcc, s[18:19]
	v_pk_mov_b32 v[12:13], v[2:3], v[2:3] op_sel:[0,1]
	v_fma_f64 v[2:3], s[8:9], v[2:3], -v[14:15]
	s_andn2_b64 exec, exec, s[18:19]
	s_cbranch_execnz .LBB3_6
; %bb.7:
	s_or_b64 exec, exec, s[18:19]
.LBB3_8:
	s_or_b64 exec, exec, s[16:17]
.LBB3_9:
	s_andn2_saveexec_b64 s[14:15], s[14:15]
; %bb.10:
	v_pk_mov_b32 v[2:3], s[8:9], s[8:9] op_sel:[0,1]
; %bb.11:
	s_or_b64 exec, exec, s[14:15]
.LBB3_12:
	s_or_b64 exec, exec, s[6:7]
.LBB3_13:
	s_or_b64 exec, exec, s[4:5]
	v_trunc_f64_e32 v[4:5], v[4:5]
	s_movk_i32 s3, 0xffe0
	v_ldexp_f64 v[10:11], v[4:5], s3
	v_floor_f64_e32 v[12:13], v[10:11]
	v_fmac_f64_e32 v[4:5], 0xc1f00000, v[12:13]
	v_cvt_u32_f64_e32 v10, v[4:5]
	v_cvt_i32_f64_e32 v11, v[12:13]
	v_cmp_lt_i64_e32 vcc, -1, v[10:11]
	v_pk_mov_b32 v[4:5], 0, 0
	s_and_saveexec_b64 s[4:5], vcc
	s_cbranch_execz .LBB3_25
; %bb.14:
	v_mov_b32_e32 v4, 0
	v_cmp_lt_i64_e32 vcc, 0, v[10:11]
	v_mov_b32_e32 v5, 0x3ff00000
	s_and_saveexec_b64 s[6:7], vcc
	s_cbranch_execz .LBB3_24
; %bb.15:
	v_cmp_ne_u64_e32 vcc, 1, v[10:11]
	s_and_saveexec_b64 s[14:15], vcc
	s_xor_b64 s[14:15], exec, s[14:15]
	s_cbranch_execz .LBB3_21
; %bb.16:
	s_mov_b64 s[16:17], 0x201
	v_mov_b32_e32 v4, 0
	v_cmp_gt_u64_e32 vcc, s[16:17], v[10:11]
	v_mov_b32_e32 v5, 0x7ff80000
	s_and_saveexec_b64 s[16:17], vcc
	s_cbranch_execz .LBB3_20
; %bb.17:
	v_mov_b32_e32 v12, 0
	s_mov_b64 s[20:21], 1
	s_mov_b64 s[18:19], 0
	v_pk_mov_b32 v[4:5], s[8:9], s[8:9] op_sel:[0,1]
	v_mov_b32_e32 v13, 0x3ff00000
.LBB3_18:                               ; =>This Inner Loop Header: Depth=1
	v_cvt_f64_u32_e32 v[14:15], s21
	v_cvt_f64_u32_e32 v[16:17], s20
	s_add_u32 s20, s20, 1
	v_ldexp_f64 v[14:15], v[14:15], 32
	s_addc_u32 s21, s21, 0
	v_add_f64 v[14:15], v[14:15], v[16:17]
	v_cmp_eq_u64_e32 vcc, s[20:21], v[10:11]
	v_mul_f64 v[14:15], v[12:13], v[14:15]
	s_or_b64 s[18:19], vcc, s[18:19]
	v_pk_mov_b32 v[12:13], v[4:5], v[4:5] op_sel:[0,1]
	v_fma_f64 v[4:5], s[8:9], v[4:5], -v[14:15]
	s_andn2_b64 exec, exec, s[18:19]
	s_cbranch_execnz .LBB3_18
; %bb.19:
	s_or_b64 exec, exec, s[18:19]
.LBB3_20:
	s_or_b64 exec, exec, s[16:17]
.LBB3_21:
	s_andn2_saveexec_b64 s[14:15], s[14:15]
; %bb.22:
	v_pk_mov_b32 v[4:5], s[8:9], s[8:9] op_sel:[0,1]
; %bb.23:
	s_or_b64 exec, exec, s[14:15]
.LBB3_24:
	s_or_b64 exec, exec, s[6:7]
.LBB3_25:
	s_or_b64 exec, exec, s[4:5]
	s_waitcnt vmcnt(0)
	v_trunc_f64_e32 v[6:7], v[6:7]
	s_movk_i32 s3, 0xffe0
	v_ldexp_f64 v[10:11], v[6:7], s3
	v_floor_f64_e32 v[12:13], v[10:11]
	v_fmac_f64_e32 v[6:7], 0xc1f00000, v[12:13]
	v_cvt_u32_f64_e32 v10, v[6:7]
	v_cvt_i32_f64_e32 v11, v[12:13]
	v_cmp_lt_i64_e32 vcc, -1, v[10:11]
	v_pk_mov_b32 v[6:7], 0, 0
	s_and_saveexec_b64 s[4:5], vcc
	s_cbranch_execz .LBB3_37
; %bb.26:
	v_mov_b32_e32 v6, 0
	v_cmp_lt_i64_e32 vcc, 0, v[10:11]
	v_mov_b32_e32 v7, 0x3ff00000
	s_and_saveexec_b64 s[6:7], vcc
	s_cbranch_execz .LBB3_36
; %bb.27:
	v_cmp_ne_u64_e32 vcc, 1, v[10:11]
                                        ; implicit-def: $vgpr6_vgpr7
	s_and_saveexec_b64 s[14:15], vcc
	s_xor_b64 s[14:15], exec, s[14:15]
	s_cbranch_execz .LBB3_33
; %bb.28:
	s_mov_b64 s[16:17], 0x201
	v_mov_b32_e32 v6, 0
	v_cmp_gt_u64_e32 vcc, s[16:17], v[10:11]
	v_mov_b32_e32 v7, 0x7ff80000
	s_and_saveexec_b64 s[16:17], vcc
	s_cbranch_execz .LBB3_32
; %bb.29:
	v_mov_b32_e32 v12, 0
	s_mov_b64 s[20:21], 1
	s_mov_b64 s[18:19], 0
	v_pk_mov_b32 v[6:7], s[8:9], s[8:9] op_sel:[0,1]
	v_mov_b32_e32 v13, 0x3ff00000
.LBB3_30:                               ; =>This Inner Loop Header: Depth=1
	v_cvt_f64_u32_e32 v[14:15], s21
	v_cvt_f64_u32_e32 v[16:17], s20
	s_add_u32 s20, s20, 1
	v_ldexp_f64 v[14:15], v[14:15], 32
	s_addc_u32 s21, s21, 0
	v_add_f64 v[14:15], v[14:15], v[16:17]
	v_cmp_eq_u64_e32 vcc, s[20:21], v[10:11]
	v_mul_f64 v[14:15], v[12:13], v[14:15]
	s_or_b64 s[18:19], vcc, s[18:19]
	v_pk_mov_b32 v[12:13], v[6:7], v[6:7] op_sel:[0,1]
	v_fma_f64 v[6:7], s[8:9], v[6:7], -v[14:15]
	s_andn2_b64 exec, exec, s[18:19]
	s_cbranch_execnz .LBB3_30
; %bb.31:
	s_or_b64 exec, exec, s[18:19]
.LBB3_32:
	s_or_b64 exec, exec, s[16:17]
.LBB3_33:
	s_andn2_saveexec_b64 s[14:15], s[14:15]
; %bb.34:
	v_pk_mov_b32 v[6:7], s[8:9], s[8:9] op_sel:[0,1]
; %bb.35:
	s_or_b64 exec, exec, s[14:15]
.LBB3_36:
	s_or_b64 exec, exec, s[6:7]
.LBB3_37:
	s_or_b64 exec, exec, s[4:5]
	v_trunc_f64_e32 v[8:9], v[8:9]
	s_movk_i32 s3, 0xffe0
	v_ldexp_f64 v[10:11], v[8:9], s3
	v_floor_f64_e32 v[12:13], v[10:11]
	v_fmac_f64_e32 v[8:9], 0xc1f00000, v[12:13]
	v_cvt_u32_f64_e32 v10, v[8:9]
	v_cvt_i32_f64_e32 v11, v[12:13]
	v_cmp_lt_i64_e32 vcc, -1, v[10:11]
	v_pk_mov_b32 v[8:9], 0, 0
	s_and_saveexec_b64 s[4:5], vcc
	s_cbranch_execz .LBB3_49
; %bb.38:
	v_mov_b32_e32 v8, 0
	v_cmp_lt_i64_e32 vcc, 0, v[10:11]
	v_mov_b32_e32 v9, 0x3ff00000
	s_and_saveexec_b64 s[6:7], vcc
	s_cbranch_execz .LBB3_48
; %bb.39:
	v_cmp_ne_u64_e32 vcc, 1, v[10:11]
	s_and_saveexec_b64 s[14:15], vcc
	s_xor_b64 s[14:15], exec, s[14:15]
	s_cbranch_execz .LBB3_45
; %bb.40:
	s_mov_b64 s[16:17], 0x201
	v_mov_b32_e32 v8, 0
	v_cmp_gt_u64_e32 vcc, s[16:17], v[10:11]
	v_mov_b32_e32 v9, 0x7ff80000
	s_and_saveexec_b64 s[16:17], vcc
	s_cbranch_execz .LBB3_44
; %bb.41:
	v_mov_b32_e32 v12, 0
	s_mov_b64 s[20:21], 1
	s_mov_b64 s[18:19], 0
	v_pk_mov_b32 v[8:9], s[8:9], s[8:9] op_sel:[0,1]
	v_mov_b32_e32 v13, 0x3ff00000
.LBB3_42:                               ; =>This Inner Loop Header: Depth=1
	v_cvt_f64_u32_e32 v[14:15], s21
	v_cvt_f64_u32_e32 v[16:17], s20
	s_add_u32 s20, s20, 1
	v_ldexp_f64 v[14:15], v[14:15], 32
	s_addc_u32 s21, s21, 0
	v_add_f64 v[14:15], v[14:15], v[16:17]
	v_cmp_eq_u64_e32 vcc, s[20:21], v[10:11]
	v_mul_f64 v[14:15], v[12:13], v[14:15]
	s_or_b64 s[18:19], vcc, s[18:19]
	v_pk_mov_b32 v[12:13], v[8:9], v[8:9] op_sel:[0,1]
	v_fma_f64 v[8:9], s[8:9], v[8:9], -v[14:15]
	s_andn2_b64 exec, exec, s[18:19]
	s_cbranch_execnz .LBB3_42
; %bb.43:
	s_or_b64 exec, exec, s[18:19]
.LBB3_44:
	s_or_b64 exec, exec, s[16:17]
.LBB3_45:
	s_andn2_saveexec_b64 s[14:15], s[14:15]
; %bb.46:
	v_pk_mov_b32 v[8:9], s[8:9], s[8:9] op_sel:[0,1]
; %bb.47:
	s_or_b64 exec, exec, s[14:15]
.LBB3_48:
	s_or_b64 exec, exec, s[6:7]
.LBB3_49:
	s_or_b64 exec, exec, s[4:5]
	s_add_u32 s0, s10, s0
	s_addc_u32 s1, s11, s1
	v_mov_b32_e32 v10, s1
	v_add_co_u32_e32 v11, vcc, s0, v1
	v_addc_co_u32_e32 v10, vcc, 0, v10, vcc
	global_store_dwordx4 v1, v[2:5], s[0:1]
	s_mov_b64 s[0:1], 0
	v_add_co_u32_e32 v2, vcc, 0x1000, v11
	v_addc_co_u32_e32 v3, vcc, 0, v10, vcc
	global_store_dwordx4 v[2:3], v[6:9], off
.LBB3_50:
	s_and_b64 vcc, exec, s[0:1]
	s_cbranch_vccz .LBB3_107
; %bb.51:
	v_pk_mov_b32 v[16:17], 0, 0
	v_cmp_gt_i32_e32 vcc, s22, v0
	v_or_b32_e32 v10, s2, v0
	v_pk_mov_b32 v[18:19], v[16:17], v[16:17] op_sel:[0,1]
	v_mov_b32_e32 v1, v0
	s_and_saveexec_b64 s[4:5], vcc
	s_cbranch_execz .LBB3_53
; %bb.52:
	v_mov_b32_e32 v11, 0
	v_lshlrev_b64 v[2:3], 3, v[10:11]
	v_mov_b32_e32 v1, s13
	v_add_co_u32_e64 v2, s[0:1], s12, v2
	v_addc_co_u32_e64 v3, s[0:1], v1, v3, s[0:1]
	global_load_dwordx2 v[18:19], v[2:3], off
	v_or_b32_e32 v1, 0x100, v0
.LBB3_53:
	s_or_b64 exec, exec, s[4:5]
	v_cmp_gt_i32_e64 s[0:1], s22, v1
	s_and_saveexec_b64 s[4:5], s[0:1]
	s_cbranch_execz .LBB3_55
; %bb.54:
	v_add_u32_e32 v2, s2, v1
	v_mov_b32_e32 v3, 0
	v_lshlrev_b64 v[2:3], 3, v[2:3]
	v_mov_b32_e32 v4, s13
	v_add_co_u32_e64 v2, s[0:1], s12, v2
	v_addc_co_u32_e64 v3, s[0:1], v4, v3, s[0:1]
	global_load_dwordx2 v[16:17], v[2:3], off
	v_add_u32_e32 v1, 0x100, v1
.LBB3_55:
	s_or_b64 exec, exec, s[4:5]
	v_pk_mov_b32 v[12:13], 0, 0
	v_cmp_gt_i32_e64 s[0:1], s22, v1
	v_pk_mov_b32 v[14:15], v[12:13], v[12:13] op_sel:[0,1]
	s_and_saveexec_b64 s[4:5], s[0:1]
	s_cbranch_execnz .LBB3_58
; %bb.56:
	s_or_b64 exec, exec, s[4:5]
	v_cmp_gt_i32_e64 s[0:1], s22, v1
	s_and_saveexec_b64 s[4:5], s[0:1]
	s_cbranch_execnz .LBB3_59
.LBB3_57:
	s_or_b64 exec, exec, s[4:5]
                                        ; implicit-def: $vgpr2_vgpr3_vgpr4_vgpr5_vgpr6_vgpr7_vgpr8_vgpr9
	s_and_saveexec_b64 s[4:5], vcc
	s_cbranch_execnz .LBB3_60
	s_branch .LBB3_73
.LBB3_58:
	v_add_u32_e32 v2, s2, v1
	v_mov_b32_e32 v3, 0
	v_lshlrev_b64 v[2:3], 3, v[2:3]
	v_mov_b32_e32 v4, s13
	v_add_co_u32_e64 v2, s[0:1], s12, v2
	v_addc_co_u32_e64 v3, s[0:1], v4, v3, s[0:1]
	global_load_dwordx2 v[14:15], v[2:3], off
	v_add_u32_e32 v1, 0x100, v1
	s_or_b64 exec, exec, s[4:5]
	v_cmp_gt_i32_e64 s[0:1], s22, v1
	s_and_saveexec_b64 s[4:5], s[0:1]
	s_cbranch_execz .LBB3_57
.LBB3_59:
	v_add_u32_e32 v2, s2, v1
	v_mov_b32_e32 v3, 0
	v_lshlrev_b64 v[2:3], 3, v[2:3]
	v_mov_b32_e32 v1, s13
	v_add_co_u32_e64 v2, s[0:1], s12, v2
	v_addc_co_u32_e64 v3, s[0:1], v1, v3, s[0:1]
	global_load_dwordx2 v[12:13], v[2:3], off
	s_or_b64 exec, exec, s[4:5]
                                        ; implicit-def: $vgpr2_vgpr3_vgpr4_vgpr5_vgpr6_vgpr7_vgpr8_vgpr9
	s_and_saveexec_b64 s[4:5], vcc
	s_cbranch_execz .LBB3_73
.LBB3_60:
	s_waitcnt vmcnt(0)
	v_trunc_f64_e32 v[2:3], v[18:19]
	s_movk_i32 s0, 0xffe0
	v_ldexp_f64 v[4:5], v[2:3], s0
	v_floor_f64_e32 v[6:7], v[4:5]
	v_fmac_f64_e32 v[2:3], 0xc1f00000, v[6:7]
	v_cvt_i32_f64_e32 v5, v[6:7]
	v_cvt_u32_f64_e32 v4, v[2:3]
	v_cmp_lt_i64_e64 s[0:1], -1, v[4:5]
	v_pk_mov_b32 v[2:3], 0, 0
	s_and_saveexec_b64 s[6:7], s[0:1]
	s_cbranch_execz .LBB3_72
; %bb.61:
	v_mov_b32_e32 v2, 0
	v_cmp_lt_i64_e64 s[0:1], 0, v[4:5]
	v_mov_b32_e32 v3, 0x3ff00000
	s_and_saveexec_b64 s[12:13], s[0:1]
	s_cbranch_execz .LBB3_71
; %bb.62:
	v_cmp_ne_u64_e64 s[0:1], 1, v[4:5]
                                        ; implicit-def: $vgpr2_vgpr3
	s_and_saveexec_b64 s[14:15], s[0:1]
	s_xor_b64 s[14:15], exec, s[14:15]
	s_cbranch_execz .LBB3_68
; %bb.63:
	s_mov_b64 s[0:1], 0x201
	v_mov_b32_e32 v2, 0
	v_cmp_gt_u64_e64 s[0:1], s[0:1], v[4:5]
	v_mov_b32_e32 v3, 0x7ff80000
	s_and_saveexec_b64 s[16:17], s[0:1]
	s_cbranch_execz .LBB3_67
; %bb.64:
	v_mov_b32_e32 v6, 0
	s_mov_b64 s[20:21], 1
	s_mov_b64 s[18:19], 0
	v_pk_mov_b32 v[2:3], s[8:9], s[8:9] op_sel:[0,1]
	v_mov_b32_e32 v7, 0x3ff00000
.LBB3_65:                               ; =>This Inner Loop Header: Depth=1
	v_cvt_f64_u32_e32 v[8:9], s21
	v_cvt_f64_u32_e32 v[18:19], s20
	s_add_u32 s20, s20, 1
	v_ldexp_f64 v[8:9], v[8:9], 32
	s_addc_u32 s21, s21, 0
	v_add_f64 v[8:9], v[8:9], v[18:19]
	v_cmp_eq_u64_e64 s[0:1], s[20:21], v[4:5]
	v_mul_f64 v[8:9], v[6:7], v[8:9]
	s_or_b64 s[18:19], s[0:1], s[18:19]
	v_pk_mov_b32 v[6:7], v[2:3], v[2:3] op_sel:[0,1]
	v_fma_f64 v[2:3], s[8:9], v[2:3], -v[8:9]
	s_andn2_b64 exec, exec, s[18:19]
	s_cbranch_execnz .LBB3_65
; %bb.66:
	s_or_b64 exec, exec, s[18:19]
.LBB3_67:
	s_or_b64 exec, exec, s[16:17]
.LBB3_68:
	s_andn2_saveexec_b64 s[0:1], s[14:15]
; %bb.69:
	v_pk_mov_b32 v[2:3], s[8:9], s[8:9] op_sel:[0,1]
; %bb.70:
	s_or_b64 exec, exec, s[0:1]
.LBB3_71:
	s_or_b64 exec, exec, s[12:13]
.LBB3_72:
	s_or_b64 exec, exec, s[6:7]
.LBB3_73:
	s_or_b64 exec, exec, s[4:5]
	v_or_b32_e32 v1, 0x100, v0
	v_cmp_gt_i32_e64 s[0:1], s22, v1
	s_and_saveexec_b64 s[4:5], s[0:1]
	s_cbranch_execz .LBB3_87
; %bb.74:
	s_waitcnt vmcnt(0)
	v_trunc_f64_e32 v[4:5], v[16:17]
	s_movk_i32 s0, 0xffe0
	v_ldexp_f64 v[16:17], v[4:5], s0
	v_floor_f64_e32 v[18:19], v[16:17]
	v_fmac_f64_e32 v[4:5], 0xc1f00000, v[18:19]
	v_cvt_i32_f64_e32 v17, v[18:19]
	v_cvt_u32_f64_e32 v16, v[4:5]
	v_cmp_lt_i64_e64 s[0:1], -1, v[16:17]
	v_pk_mov_b32 v[4:5], 0, 0
	s_and_saveexec_b64 s[6:7], s[0:1]
	s_cbranch_execz .LBB3_86
; %bb.75:
	v_mov_b32_e32 v4, 0
	v_cmp_lt_i64_e64 s[0:1], 0, v[16:17]
	v_mov_b32_e32 v5, 0x3ff00000
	s_and_saveexec_b64 s[12:13], s[0:1]
	s_cbranch_execz .LBB3_85
; %bb.76:
	v_cmp_ne_u64_e64 s[0:1], 1, v[16:17]
	s_and_saveexec_b64 s[14:15], s[0:1]
	s_xor_b64 s[14:15], exec, s[14:15]
	s_cbranch_execz .LBB3_82
; %bb.77:
	s_mov_b64 s[0:1], 0x201
	v_mov_b32_e32 v4, 0
	v_cmp_gt_u64_e64 s[0:1], s[0:1], v[16:17]
	v_mov_b32_e32 v5, 0x7ff80000
	s_and_saveexec_b64 s[16:17], s[0:1]
	s_cbranch_execz .LBB3_81
; %bb.78:
	v_mov_b32_e32 v18, 0
	s_mov_b64 s[20:21], 1
	s_mov_b64 s[18:19], 0
	v_pk_mov_b32 v[4:5], s[8:9], s[8:9] op_sel:[0,1]
	v_mov_b32_e32 v19, 0x3ff00000
.LBB3_79:                               ; =>This Inner Loop Header: Depth=1
	v_cvt_f64_u32_e32 v[20:21], s21
	v_cvt_f64_u32_e32 v[22:23], s20
	s_add_u32 s20, s20, 1
	v_ldexp_f64 v[20:21], v[20:21], 32
	s_addc_u32 s21, s21, 0
	v_add_f64 v[20:21], v[20:21], v[22:23]
	v_cmp_eq_u64_e64 s[0:1], s[20:21], v[16:17]
	v_mul_f64 v[20:21], v[18:19], v[20:21]
	s_or_b64 s[18:19], s[0:1], s[18:19]
	v_pk_mov_b32 v[18:19], v[4:5], v[4:5] op_sel:[0,1]
	v_fma_f64 v[4:5], s[8:9], v[4:5], -v[20:21]
	s_andn2_b64 exec, exec, s[18:19]
	s_cbranch_execnz .LBB3_79
; %bb.80:
	s_or_b64 exec, exec, s[18:19]
.LBB3_81:
	s_or_b64 exec, exec, s[16:17]
.LBB3_82:
	s_andn2_saveexec_b64 s[0:1], s[14:15]
; %bb.83:
	v_pk_mov_b32 v[4:5], s[8:9], s[8:9] op_sel:[0,1]
; %bb.84:
	s_or_b64 exec, exec, s[0:1]
.LBB3_85:
	s_or_b64 exec, exec, s[12:13]
.LBB3_86:
	s_or_b64 exec, exec, s[6:7]
.LBB3_87:
	s_or_b64 exec, exec, s[4:5]
	v_or_b32_e32 v11, 0x200, v0
	v_cmp_gt_i32_e64 s[0:1], s22, v11
	s_and_saveexec_b64 s[4:5], s[0:1]
	s_cbranch_execz .LBB3_101
; %bb.88:
	s_waitcnt vmcnt(0)
	v_trunc_f64_e32 v[6:7], v[14:15]
	s_movk_i32 s0, 0xffe0
	v_ldexp_f64 v[14:15], v[6:7], s0
	v_floor_f64_e32 v[16:17], v[14:15]
	v_fmac_f64_e32 v[6:7], 0xc1f00000, v[16:17]
	v_cvt_i32_f64_e32 v15, v[16:17]
	v_cvt_u32_f64_e32 v14, v[6:7]
	v_cmp_lt_i64_e64 s[0:1], -1, v[14:15]
	v_pk_mov_b32 v[6:7], 0, 0
	s_and_saveexec_b64 s[6:7], s[0:1]
	s_cbranch_execz .LBB3_100
; %bb.89:
	v_mov_b32_e32 v6, 0
	v_cmp_lt_i64_e64 s[0:1], 0, v[14:15]
	v_mov_b32_e32 v7, 0x3ff00000
	s_and_saveexec_b64 s[12:13], s[0:1]
	s_cbranch_execz .LBB3_99
; %bb.90:
	v_cmp_ne_u64_e64 s[0:1], 1, v[14:15]
	s_and_saveexec_b64 s[14:15], s[0:1]
	s_xor_b64 s[14:15], exec, s[14:15]
	s_cbranch_execz .LBB3_96
; %bb.91:
	s_mov_b64 s[0:1], 0x201
	v_mov_b32_e32 v6, 0
	v_cmp_gt_u64_e64 s[0:1], s[0:1], v[14:15]
	v_mov_b32_e32 v7, 0x7ff80000
	s_and_saveexec_b64 s[16:17], s[0:1]
	s_cbranch_execz .LBB3_95
; %bb.92:
	v_mov_b32_e32 v16, 0
	s_mov_b64 s[20:21], 1
	s_mov_b64 s[18:19], 0
	v_pk_mov_b32 v[6:7], s[8:9], s[8:9] op_sel:[0,1]
	v_mov_b32_e32 v17, 0x3ff00000
.LBB3_93:                               ; =>This Inner Loop Header: Depth=1
	v_cvt_f64_u32_e32 v[18:19], s21
	v_cvt_f64_u32_e32 v[20:21], s20
	s_add_u32 s20, s20, 1
	v_ldexp_f64 v[18:19], v[18:19], 32
	s_addc_u32 s21, s21, 0
	v_add_f64 v[18:19], v[18:19], v[20:21]
	v_cmp_eq_u64_e64 s[0:1], s[20:21], v[14:15]
	v_mul_f64 v[18:19], v[16:17], v[18:19]
	s_or_b64 s[18:19], s[0:1], s[18:19]
	v_pk_mov_b32 v[16:17], v[6:7], v[6:7] op_sel:[0,1]
	v_fma_f64 v[6:7], s[8:9], v[6:7], -v[18:19]
	s_andn2_b64 exec, exec, s[18:19]
	s_cbranch_execnz .LBB3_93
; %bb.94:
	s_or_b64 exec, exec, s[18:19]
.LBB3_95:
	s_or_b64 exec, exec, s[16:17]
.LBB3_96:
	s_andn2_saveexec_b64 s[0:1], s[14:15]
; %bb.97:
	v_pk_mov_b32 v[6:7], s[8:9], s[8:9] op_sel:[0,1]
; %bb.98:
	s_or_b64 exec, exec, s[0:1]
.LBB3_99:
	s_or_b64 exec, exec, s[12:13]
.LBB3_100:
	s_or_b64 exec, exec, s[6:7]
.LBB3_101:
	s_or_b64 exec, exec, s[4:5]
	v_or_b32_e32 v11, 0x300, v0
	v_cmp_gt_i32_e64 s[0:1], s22, v11
	s_and_saveexec_b64 s[4:5], s[0:1]
	s_cbranch_execnz .LBB3_108
; %bb.102:
	s_or_b64 exec, exec, s[4:5]
	s_and_saveexec_b64 s[0:1], vcc
	s_xor_b64 s[0:1], exec, s[0:1]
	s_cbranch_execnz .LBB3_121
.LBB3_103:
	s_or_b64 exec, exec, s[0:1]
	v_cmp_gt_i32_e32 vcc, s22, v0
	s_and_saveexec_b64 s[0:1], vcc
	s_cbranch_execnz .LBB3_122
.LBB3_104:
	s_or_b64 exec, exec, s[0:1]
	v_cmp_gt_i32_e32 vcc, s22, v0
	s_and_saveexec_b64 s[0:1], vcc
	s_cbranch_execnz .LBB3_123
.LBB3_105:
	s_or_b64 exec, exec, s[0:1]
	v_cmp_gt_i32_e32 vcc, s22, v0
	s_and_saveexec_b64 s[0:1], vcc
	s_cbranch_execz .LBB3_107
.LBB3_106:
	v_add_u32_e32 v0, s2, v0
	v_mov_b32_e32 v1, 0
	v_lshlrev_b64 v[0:1], 3, v[0:1]
	v_mov_b32_e32 v2, s11
	v_add_co_u32_e32 v0, vcc, s10, v0
	v_addc_co_u32_e32 v1, vcc, v2, v1, vcc
	global_store_dwordx2 v[0:1], v[8:9], off
.LBB3_107:
	s_endpgm
.LBB3_108:
	s_waitcnt vmcnt(0)
	v_trunc_f64_e32 v[8:9], v[12:13]
	s_movk_i32 s0, 0xffe0
	v_ldexp_f64 v[12:13], v[8:9], s0
	v_floor_f64_e32 v[14:15], v[12:13]
	v_fmac_f64_e32 v[8:9], 0xc1f00000, v[14:15]
	v_cvt_i32_f64_e32 v13, v[14:15]
	v_cvt_u32_f64_e32 v12, v[8:9]
	v_cmp_lt_i64_e64 s[0:1], -1, v[12:13]
	v_pk_mov_b32 v[8:9], 0, 0
	s_and_saveexec_b64 s[6:7], s[0:1]
	s_cbranch_execz .LBB3_120
; %bb.109:
	v_mov_b32_e32 v8, 0
	v_cmp_lt_i64_e64 s[0:1], 0, v[12:13]
	v_mov_b32_e32 v9, 0x3ff00000
	s_and_saveexec_b64 s[12:13], s[0:1]
	s_cbranch_execz .LBB3_119
; %bb.110:
	v_cmp_ne_u64_e64 s[0:1], 1, v[12:13]
	s_and_saveexec_b64 s[14:15], s[0:1]
	s_xor_b64 s[14:15], exec, s[14:15]
	s_cbranch_execz .LBB3_116
; %bb.111:
	s_mov_b64 s[0:1], 0x201
	v_mov_b32_e32 v8, 0
	v_cmp_gt_u64_e64 s[0:1], s[0:1], v[12:13]
	v_mov_b32_e32 v9, 0x7ff80000
	s_and_saveexec_b64 s[16:17], s[0:1]
	s_cbranch_execz .LBB3_115
; %bb.112:
	v_mov_b32_e32 v14, 0
	s_mov_b64 s[20:21], 1
	s_mov_b64 s[18:19], 0
	v_pk_mov_b32 v[8:9], s[8:9], s[8:9] op_sel:[0,1]
	v_mov_b32_e32 v15, 0x3ff00000
.LBB3_113:                              ; =>This Inner Loop Header: Depth=1
	v_cvt_f64_u32_e32 v[16:17], s21
	v_cvt_f64_u32_e32 v[18:19], s20
	s_add_u32 s20, s20, 1
	v_ldexp_f64 v[16:17], v[16:17], 32
	s_addc_u32 s21, s21, 0
	v_add_f64 v[16:17], v[16:17], v[18:19]
	v_cmp_eq_u64_e64 s[0:1], s[20:21], v[12:13]
	v_mul_f64 v[16:17], v[14:15], v[16:17]
	s_or_b64 s[18:19], s[0:1], s[18:19]
	v_pk_mov_b32 v[14:15], v[8:9], v[8:9] op_sel:[0,1]
	v_fma_f64 v[8:9], s[8:9], v[8:9], -v[16:17]
	s_andn2_b64 exec, exec, s[18:19]
	s_cbranch_execnz .LBB3_113
; %bb.114:
	s_or_b64 exec, exec, s[18:19]
.LBB3_115:
	s_or_b64 exec, exec, s[16:17]
.LBB3_116:
	s_andn2_saveexec_b64 s[0:1], s[14:15]
; %bb.117:
	v_pk_mov_b32 v[8:9], s[8:9], s[8:9] op_sel:[0,1]
; %bb.118:
	s_or_b64 exec, exec, s[0:1]
.LBB3_119:
	s_or_b64 exec, exec, s[12:13]
.LBB3_120:
	s_or_b64 exec, exec, s[6:7]
	s_or_b64 exec, exec, s[4:5]
	s_and_saveexec_b64 s[0:1], vcc
	s_xor_b64 s[0:1], exec, s[0:1]
	s_cbranch_execz .LBB3_103
.LBB3_121:
	v_mov_b32_e32 v11, 0
	v_lshlrev_b64 v[10:11], 3, v[10:11]
	v_mov_b32_e32 v0, s11
	v_add_co_u32_e32 v10, vcc, s10, v10
	v_addc_co_u32_e32 v11, vcc, v0, v11, vcc
	v_mov_b32_e32 v0, v1
	global_store_dwordx2 v[10:11], v[2:3], off
	s_or_b64 exec, exec, s[0:1]
	v_cmp_gt_i32_e32 vcc, s22, v0
	s_and_saveexec_b64 s[0:1], vcc
	s_cbranch_execz .LBB3_104
.LBB3_122:
	v_add_u32_e32 v2, s2, v0
	v_mov_b32_e32 v3, 0
	v_lshlrev_b64 v[2:3], 3, v[2:3]
	v_mov_b32_e32 v1, s11
	v_add_co_u32_e32 v2, vcc, s10, v2
	v_addc_co_u32_e32 v3, vcc, v1, v3, vcc
	v_add_u32_e32 v0, 0x100, v0
	global_store_dwordx2 v[2:3], v[4:5], off
	s_or_b64 exec, exec, s[0:1]
	v_cmp_gt_i32_e32 vcc, s22, v0
	s_and_saveexec_b64 s[0:1], vcc
	s_cbranch_execz .LBB3_105
.LBB3_123:
	v_add_u32_e32 v2, s2, v0
	v_mov_b32_e32 v3, 0
	v_lshlrev_b64 v[2:3], 3, v[2:3]
	v_mov_b32_e32 v1, s11
	v_add_co_u32_e32 v2, vcc, s10, v2
	v_addc_co_u32_e32 v3, vcc, v1, v3, vcc
	v_add_u32_e32 v0, 0x100, v0
	global_store_dwordx2 v[2:3], v[6:7], off
	s_or_b64 exec, exec, s[0:1]
	v_cmp_gt_i32_e32 vcc, s22, v0
	s_and_saveexec_b64 s[0:1], vcc
	s_cbranch_execnz .LBB3_106
	s_branch .LBB3_107
	.section	.rodata,"a",@progbits
	.p2align	6, 0x0
	.amdhsa_kernel _ZN2at6native29vectorized_elementwise_kernelILi2ENS0_13AUnaryFunctorIdddZZZNS0_12_GLOBAL__N_133hermite_polynomial_he_kernel_cudaERNS_18TensorIteratorBaseEENKUlvE_clEvENKUlvE_clEvEUlddE_EESt5arrayIPcLm2EEEEviT0_T1_
		.amdhsa_group_segment_fixed_size 0
		.amdhsa_private_segment_fixed_size 0
		.amdhsa_kernarg_size 40
		.amdhsa_user_sgpr_count 6
		.amdhsa_user_sgpr_private_segment_buffer 1
		.amdhsa_user_sgpr_dispatch_ptr 0
		.amdhsa_user_sgpr_queue_ptr 0
		.amdhsa_user_sgpr_kernarg_segment_ptr 1
		.amdhsa_user_sgpr_dispatch_id 0
		.amdhsa_user_sgpr_flat_scratch_init 0
		.amdhsa_user_sgpr_kernarg_preload_length 0
		.amdhsa_user_sgpr_kernarg_preload_offset 0
		.amdhsa_user_sgpr_private_segment_size 0
		.amdhsa_uses_dynamic_stack 0
		.amdhsa_system_sgpr_private_segment_wavefront_offset 0
		.amdhsa_system_sgpr_workgroup_id_x 1
		.amdhsa_system_sgpr_workgroup_id_y 0
		.amdhsa_system_sgpr_workgroup_id_z 0
		.amdhsa_system_sgpr_workgroup_info 0
		.amdhsa_system_vgpr_workitem_id 0
		.amdhsa_next_free_vgpr 24
		.amdhsa_next_free_sgpr 23
		.amdhsa_accum_offset 24
		.amdhsa_reserve_vcc 1
		.amdhsa_reserve_flat_scratch 0
		.amdhsa_float_round_mode_32 0
		.amdhsa_float_round_mode_16_64 0
		.amdhsa_float_denorm_mode_32 3
		.amdhsa_float_denorm_mode_16_64 3
		.amdhsa_dx10_clamp 1
		.amdhsa_ieee_mode 1
		.amdhsa_fp16_overflow 0
		.amdhsa_tg_split 0
		.amdhsa_exception_fp_ieee_invalid_op 0
		.amdhsa_exception_fp_denorm_src 0
		.amdhsa_exception_fp_ieee_div_zero 0
		.amdhsa_exception_fp_ieee_overflow 0
		.amdhsa_exception_fp_ieee_underflow 0
		.amdhsa_exception_fp_ieee_inexact 0
		.amdhsa_exception_int_div_zero 0
	.end_amdhsa_kernel
	.section	.text._ZN2at6native29vectorized_elementwise_kernelILi2ENS0_13AUnaryFunctorIdddZZZNS0_12_GLOBAL__N_133hermite_polynomial_he_kernel_cudaERNS_18TensorIteratorBaseEENKUlvE_clEvENKUlvE_clEvEUlddE_EESt5arrayIPcLm2EEEEviT0_T1_,"axG",@progbits,_ZN2at6native29vectorized_elementwise_kernelILi2ENS0_13AUnaryFunctorIdddZZZNS0_12_GLOBAL__N_133hermite_polynomial_he_kernel_cudaERNS_18TensorIteratorBaseEENKUlvE_clEvENKUlvE_clEvEUlddE_EESt5arrayIPcLm2EEEEviT0_T1_,comdat
.Lfunc_end3:
	.size	_ZN2at6native29vectorized_elementwise_kernelILi2ENS0_13AUnaryFunctorIdddZZZNS0_12_GLOBAL__N_133hermite_polynomial_he_kernel_cudaERNS_18TensorIteratorBaseEENKUlvE_clEvENKUlvE_clEvEUlddE_EESt5arrayIPcLm2EEEEviT0_T1_, .Lfunc_end3-_ZN2at6native29vectorized_elementwise_kernelILi2ENS0_13AUnaryFunctorIdddZZZNS0_12_GLOBAL__N_133hermite_polynomial_he_kernel_cudaERNS_18TensorIteratorBaseEENKUlvE_clEvENKUlvE_clEvEUlddE_EESt5arrayIPcLm2EEEEviT0_T1_
                                        ; -- End function
	.section	.AMDGPU.csdata,"",@progbits
; Kernel info:
; codeLenInByte = 3088
; NumSgprs: 27
; NumVgprs: 24
; NumAgprs: 0
; TotalNumVgprs: 24
; ScratchSize: 0
; MemoryBound: 0
; FloatMode: 240
; IeeeMode: 1
; LDSByteSize: 0 bytes/workgroup (compile time only)
; SGPRBlocks: 3
; VGPRBlocks: 2
; NumSGPRsForWavesPerEU: 27
; NumVGPRsForWavesPerEU: 24
; AccumOffset: 24
; Occupancy: 8
; WaveLimiterHint : 1
; COMPUTE_PGM_RSRC2:SCRATCH_EN: 0
; COMPUTE_PGM_RSRC2:USER_SGPR: 6
; COMPUTE_PGM_RSRC2:TRAP_HANDLER: 0
; COMPUTE_PGM_RSRC2:TGID_X_EN: 1
; COMPUTE_PGM_RSRC2:TGID_Y_EN: 0
; COMPUTE_PGM_RSRC2:TGID_Z_EN: 0
; COMPUTE_PGM_RSRC2:TIDIG_COMP_CNT: 0
; COMPUTE_PGM_RSRC3_GFX90A:ACCUM_OFFSET: 5
; COMPUTE_PGM_RSRC3_GFX90A:TG_SPLIT: 0
	.section	.text._ZN2at6native27unrolled_elementwise_kernelINS0_13AUnaryFunctorIdddZZZNS0_12_GLOBAL__N_133hermite_polynomial_he_kernel_cudaERNS_18TensorIteratorBaseEENKUlvE_clEvENKUlvE_clEvEUlddE_EESt5arrayIPcLm2EELi4E23TrivialOffsetCalculatorILi1EjESE_NS0_6memory15LoadWithoutCastENSF_16StoreWithoutCastEEEviT_T0_T2_T3_T4_T5_,"axG",@progbits,_ZN2at6native27unrolled_elementwise_kernelINS0_13AUnaryFunctorIdddZZZNS0_12_GLOBAL__N_133hermite_polynomial_he_kernel_cudaERNS_18TensorIteratorBaseEENKUlvE_clEvENKUlvE_clEvEUlddE_EESt5arrayIPcLm2EELi4E23TrivialOffsetCalculatorILi1EjESE_NS0_6memory15LoadWithoutCastENSF_16StoreWithoutCastEEEviT_T0_T2_T3_T4_T5_,comdat
	.globl	_ZN2at6native27unrolled_elementwise_kernelINS0_13AUnaryFunctorIdddZZZNS0_12_GLOBAL__N_133hermite_polynomial_he_kernel_cudaERNS_18TensorIteratorBaseEENKUlvE_clEvENKUlvE_clEvEUlddE_EESt5arrayIPcLm2EELi4E23TrivialOffsetCalculatorILi1EjESE_NS0_6memory15LoadWithoutCastENSF_16StoreWithoutCastEEEviT_T0_T2_T3_T4_T5_ ; -- Begin function _ZN2at6native27unrolled_elementwise_kernelINS0_13AUnaryFunctorIdddZZZNS0_12_GLOBAL__N_133hermite_polynomial_he_kernel_cudaERNS_18TensorIteratorBaseEENKUlvE_clEvENKUlvE_clEvEUlddE_EESt5arrayIPcLm2EELi4E23TrivialOffsetCalculatorILi1EjESE_NS0_6memory15LoadWithoutCastENSF_16StoreWithoutCastEEEviT_T0_T2_T3_T4_T5_
	.p2align	8
	.type	_ZN2at6native27unrolled_elementwise_kernelINS0_13AUnaryFunctorIdddZZZNS0_12_GLOBAL__N_133hermite_polynomial_he_kernel_cudaERNS_18TensorIteratorBaseEENKUlvE_clEvENKUlvE_clEvEUlddE_EESt5arrayIPcLm2EELi4E23TrivialOffsetCalculatorILi1EjESE_NS0_6memory15LoadWithoutCastENSF_16StoreWithoutCastEEEviT_T0_T2_T3_T4_T5_,@function
_ZN2at6native27unrolled_elementwise_kernelINS0_13AUnaryFunctorIdddZZZNS0_12_GLOBAL__N_133hermite_polynomial_he_kernel_cudaERNS_18TensorIteratorBaseEENKUlvE_clEvENKUlvE_clEvEUlddE_EESt5arrayIPcLm2EELi4E23TrivialOffsetCalculatorILi1EjESE_NS0_6memory15LoadWithoutCastENSF_16StoreWithoutCastEEEviT_T0_T2_T3_T4_T5_: ; @_ZN2at6native27unrolled_elementwise_kernelINS0_13AUnaryFunctorIdddZZZNS0_12_GLOBAL__N_133hermite_polynomial_he_kernel_cudaERNS_18TensorIteratorBaseEENKUlvE_clEvENKUlvE_clEvEUlddE_EESt5arrayIPcLm2EELi4E23TrivialOffsetCalculatorILi1EjESE_NS0_6memory15LoadWithoutCastENSF_16StoreWithoutCastEEEviT_T0_T2_T3_T4_T5_
; %bb.0:
	s_load_dword s0, s[4:5], 0x0
	s_load_dwordx2 s[2:3], s[4:5], 0x20
	s_lshl_b32 s20, s6, 10
	v_pk_mov_b32 v[16:17], 0, 0
	v_or_b32_e32 v10, s20, v0
	s_waitcnt lgkmcnt(0)
	s_sub_i32 s21, s0, s20
	v_cmp_gt_i32_e32 vcc, s21, v0
	v_pk_mov_b32 v[18:19], v[16:17], v[16:17] op_sel:[0,1]
	v_mov_b32_e32 v1, v0
	s_and_saveexec_b64 s[6:7], vcc
	s_cbranch_execz .LBB4_2
; %bb.1:
	v_mov_b32_e32 v11, 0
	v_lshlrev_b64 v[2:3], 3, v[10:11]
	v_mov_b32_e32 v1, s3
	v_add_co_u32_e64 v2, s[0:1], s2, v2
	v_addc_co_u32_e64 v3, s[0:1], v1, v3, s[0:1]
	global_load_dwordx2 v[18:19], v[2:3], off
	v_or_b32_e32 v1, 0x100, v0
.LBB4_2:
	s_or_b64 exec, exec, s[6:7]
	s_load_dwordx4 s[4:7], s[4:5], 0x10
	v_cmp_gt_i32_e64 s[0:1], s21, v1
	s_and_saveexec_b64 s[8:9], s[0:1]
	s_cbranch_execz .LBB4_4
; %bb.3:
	v_add_u32_e32 v2, s20, v1
	v_mov_b32_e32 v3, 0
	v_lshlrev_b64 v[2:3], 3, v[2:3]
	v_mov_b32_e32 v4, s3
	v_add_co_u32_e64 v2, s[0:1], s2, v2
	v_addc_co_u32_e64 v3, s[0:1], v4, v3, s[0:1]
	global_load_dwordx2 v[16:17], v[2:3], off
	v_add_u32_e32 v1, 0x100, v1
.LBB4_4:
	s_or_b64 exec, exec, s[8:9]
	v_pk_mov_b32 v[12:13], 0, 0
	v_cmp_gt_i32_e64 s[0:1], s21, v1
	v_pk_mov_b32 v[14:15], v[12:13], v[12:13] op_sel:[0,1]
	s_and_saveexec_b64 s[8:9], s[0:1]
	s_cbranch_execnz .LBB4_7
; %bb.5:
	s_or_b64 exec, exec, s[8:9]
	v_cmp_gt_i32_e64 s[0:1], s21, v1
	s_and_saveexec_b64 s[8:9], s[0:1]
	s_cbranch_execnz .LBB4_8
.LBB4_6:
	s_or_b64 exec, exec, s[8:9]
                                        ; implicit-def: $vgpr2_vgpr3_vgpr4_vgpr5_vgpr6_vgpr7_vgpr8_vgpr9
	s_and_saveexec_b64 s[2:3], vcc
	s_cbranch_execnz .LBB4_9
	s_branch .LBB4_22
.LBB4_7:
	v_add_u32_e32 v2, s20, v1
	v_mov_b32_e32 v3, 0
	v_lshlrev_b64 v[2:3], 3, v[2:3]
	v_mov_b32_e32 v4, s3
	v_add_co_u32_e64 v2, s[0:1], s2, v2
	v_addc_co_u32_e64 v3, s[0:1], v4, v3, s[0:1]
	global_load_dwordx2 v[14:15], v[2:3], off
	v_add_u32_e32 v1, 0x100, v1
	s_or_b64 exec, exec, s[8:9]
	v_cmp_gt_i32_e64 s[0:1], s21, v1
	s_and_saveexec_b64 s[8:9], s[0:1]
	s_cbranch_execz .LBB4_6
.LBB4_8:
	v_add_u32_e32 v2, s20, v1
	v_mov_b32_e32 v3, 0
	v_lshlrev_b64 v[2:3], 3, v[2:3]
	v_mov_b32_e32 v1, s3
	v_add_co_u32_e64 v2, s[0:1], s2, v2
	v_addc_co_u32_e64 v3, s[0:1], v1, v3, s[0:1]
	global_load_dwordx2 v[12:13], v[2:3], off
	s_or_b64 exec, exec, s[8:9]
                                        ; implicit-def: $vgpr2_vgpr3_vgpr4_vgpr5_vgpr6_vgpr7_vgpr8_vgpr9
	s_and_saveexec_b64 s[2:3], vcc
	s_cbranch_execz .LBB4_22
.LBB4_9:
	s_waitcnt vmcnt(0)
	v_trunc_f64_e32 v[2:3], v[18:19]
	s_movk_i32 s0, 0xffe0
	v_ldexp_f64 v[4:5], v[2:3], s0
	v_floor_f64_e32 v[6:7], v[4:5]
	v_fmac_f64_e32 v[2:3], 0xc1f00000, v[6:7]
	v_cvt_i32_f64_e32 v5, v[6:7]
	v_cvt_u32_f64_e32 v4, v[2:3]
	v_cmp_lt_i64_e64 s[0:1], -1, v[4:5]
	v_pk_mov_b32 v[2:3], 0, 0
	s_and_saveexec_b64 s[8:9], s[0:1]
	s_cbranch_execz .LBB4_21
; %bb.10:
	v_mov_b32_e32 v2, 0
	v_cmp_lt_i64_e64 s[0:1], 0, v[4:5]
	v_mov_b32_e32 v3, 0x3ff00000
	s_and_saveexec_b64 s[10:11], s[0:1]
	s_cbranch_execz .LBB4_20
; %bb.11:
	v_cmp_ne_u64_e64 s[0:1], 1, v[4:5]
                                        ; implicit-def: $vgpr2_vgpr3
	s_and_saveexec_b64 s[12:13], s[0:1]
	s_xor_b64 s[12:13], exec, s[12:13]
	s_cbranch_execz .LBB4_17
; %bb.12:
	s_mov_b64 s[0:1], 0x201
	v_mov_b32_e32 v2, 0
	v_cmp_gt_u64_e64 s[0:1], s[0:1], v[4:5]
	v_mov_b32_e32 v3, 0x7ff80000
	s_and_saveexec_b64 s[14:15], s[0:1]
	s_cbranch_execz .LBB4_16
; %bb.13:
	v_mov_b32_e32 v6, 0
	s_mov_b64 s[18:19], 1
	s_mov_b64 s[16:17], 0
	s_waitcnt lgkmcnt(0)
	v_pk_mov_b32 v[2:3], s[4:5], s[4:5] op_sel:[0,1]
	v_mov_b32_e32 v7, 0x3ff00000
.LBB4_14:                               ; =>This Inner Loop Header: Depth=1
	v_cvt_f64_u32_e32 v[8:9], s19
	v_cvt_f64_u32_e32 v[18:19], s18
	s_add_u32 s18, s18, 1
	v_ldexp_f64 v[8:9], v[8:9], 32
	s_addc_u32 s19, s19, 0
	v_add_f64 v[8:9], v[8:9], v[18:19]
	v_cmp_eq_u64_e64 s[0:1], s[18:19], v[4:5]
	v_mul_f64 v[8:9], v[6:7], v[8:9]
	s_or_b64 s[16:17], s[0:1], s[16:17]
	v_pk_mov_b32 v[6:7], v[2:3], v[2:3] op_sel:[0,1]
	v_fma_f64 v[2:3], s[4:5], v[2:3], -v[8:9]
	s_andn2_b64 exec, exec, s[16:17]
	s_cbranch_execnz .LBB4_14
; %bb.15:
	s_or_b64 exec, exec, s[16:17]
.LBB4_16:
	s_or_b64 exec, exec, s[14:15]
.LBB4_17:
	s_andn2_saveexec_b64 s[0:1], s[12:13]
	s_cbranch_execz .LBB4_19
; %bb.18:
	s_waitcnt lgkmcnt(0)
	v_pk_mov_b32 v[2:3], s[4:5], s[4:5] op_sel:[0,1]
.LBB4_19:
	s_or_b64 exec, exec, s[0:1]
.LBB4_20:
	s_or_b64 exec, exec, s[10:11]
.LBB4_21:
	s_or_b64 exec, exec, s[8:9]
.LBB4_22:
	s_or_b64 exec, exec, s[2:3]
	v_or_b32_e32 v1, 0x100, v0
	v_cmp_gt_i32_e64 s[0:1], s21, v1
	s_and_saveexec_b64 s[2:3], s[0:1]
	s_cbranch_execz .LBB4_36
; %bb.23:
	s_waitcnt vmcnt(0)
	v_trunc_f64_e32 v[4:5], v[16:17]
	s_movk_i32 s0, 0xffe0
	v_ldexp_f64 v[16:17], v[4:5], s0
	v_floor_f64_e32 v[18:19], v[16:17]
	v_fmac_f64_e32 v[4:5], 0xc1f00000, v[18:19]
	v_cvt_i32_f64_e32 v17, v[18:19]
	v_cvt_u32_f64_e32 v16, v[4:5]
	v_cmp_lt_i64_e64 s[0:1], -1, v[16:17]
	v_pk_mov_b32 v[4:5], 0, 0
	s_and_saveexec_b64 s[8:9], s[0:1]
	s_cbranch_execz .LBB4_35
; %bb.24:
	v_mov_b32_e32 v4, 0
	v_cmp_lt_i64_e64 s[0:1], 0, v[16:17]
	v_mov_b32_e32 v5, 0x3ff00000
	s_and_saveexec_b64 s[10:11], s[0:1]
	s_cbranch_execz .LBB4_34
; %bb.25:
	v_cmp_ne_u64_e64 s[0:1], 1, v[16:17]
	s_and_saveexec_b64 s[12:13], s[0:1]
	s_xor_b64 s[12:13], exec, s[12:13]
	s_cbranch_execz .LBB4_31
; %bb.26:
	s_mov_b64 s[0:1], 0x201
	v_mov_b32_e32 v4, 0
	v_cmp_gt_u64_e64 s[0:1], s[0:1], v[16:17]
	v_mov_b32_e32 v5, 0x7ff80000
	s_and_saveexec_b64 s[14:15], s[0:1]
	s_cbranch_execz .LBB4_30
; %bb.27:
	v_mov_b32_e32 v18, 0
	s_mov_b64 s[18:19], 1
	s_mov_b64 s[16:17], 0
	s_waitcnt lgkmcnt(0)
	v_pk_mov_b32 v[4:5], s[4:5], s[4:5] op_sel:[0,1]
	v_mov_b32_e32 v19, 0x3ff00000
.LBB4_28:                               ; =>This Inner Loop Header: Depth=1
	v_cvt_f64_u32_e32 v[20:21], s19
	v_cvt_f64_u32_e32 v[22:23], s18
	s_add_u32 s18, s18, 1
	v_ldexp_f64 v[20:21], v[20:21], 32
	s_addc_u32 s19, s19, 0
	v_add_f64 v[20:21], v[20:21], v[22:23]
	v_cmp_eq_u64_e64 s[0:1], s[18:19], v[16:17]
	v_mul_f64 v[20:21], v[18:19], v[20:21]
	s_or_b64 s[16:17], s[0:1], s[16:17]
	v_pk_mov_b32 v[18:19], v[4:5], v[4:5] op_sel:[0,1]
	v_fma_f64 v[4:5], s[4:5], v[4:5], -v[20:21]
	s_andn2_b64 exec, exec, s[16:17]
	s_cbranch_execnz .LBB4_28
; %bb.29:
	s_or_b64 exec, exec, s[16:17]
.LBB4_30:
	s_or_b64 exec, exec, s[14:15]
.LBB4_31:
	s_andn2_saveexec_b64 s[0:1], s[12:13]
	s_cbranch_execz .LBB4_33
; %bb.32:
	s_waitcnt lgkmcnt(0)
	v_pk_mov_b32 v[4:5], s[4:5], s[4:5] op_sel:[0,1]
.LBB4_33:
	s_or_b64 exec, exec, s[0:1]
.LBB4_34:
	s_or_b64 exec, exec, s[10:11]
.LBB4_35:
	s_or_b64 exec, exec, s[8:9]
.LBB4_36:
	s_or_b64 exec, exec, s[2:3]
	v_or_b32_e32 v11, 0x200, v0
	v_cmp_gt_i32_e64 s[0:1], s21, v11
	s_and_saveexec_b64 s[2:3], s[0:1]
	s_cbranch_execz .LBB4_50
; %bb.37:
	s_waitcnt vmcnt(0)
	v_trunc_f64_e32 v[6:7], v[14:15]
	s_movk_i32 s0, 0xffe0
	v_ldexp_f64 v[14:15], v[6:7], s0
	v_floor_f64_e32 v[16:17], v[14:15]
	v_fmac_f64_e32 v[6:7], 0xc1f00000, v[16:17]
	v_cvt_i32_f64_e32 v15, v[16:17]
	v_cvt_u32_f64_e32 v14, v[6:7]
	v_cmp_lt_i64_e64 s[0:1], -1, v[14:15]
	v_pk_mov_b32 v[6:7], 0, 0
	s_and_saveexec_b64 s[8:9], s[0:1]
	s_cbranch_execz .LBB4_49
; %bb.38:
	v_mov_b32_e32 v6, 0
	v_cmp_lt_i64_e64 s[0:1], 0, v[14:15]
	v_mov_b32_e32 v7, 0x3ff00000
	s_and_saveexec_b64 s[10:11], s[0:1]
	s_cbranch_execz .LBB4_48
; %bb.39:
	v_cmp_ne_u64_e64 s[0:1], 1, v[14:15]
	s_and_saveexec_b64 s[12:13], s[0:1]
	s_xor_b64 s[12:13], exec, s[12:13]
	s_cbranch_execz .LBB4_45
; %bb.40:
	s_mov_b64 s[0:1], 0x201
	v_mov_b32_e32 v6, 0
	v_cmp_gt_u64_e64 s[0:1], s[0:1], v[14:15]
	v_mov_b32_e32 v7, 0x7ff80000
	s_and_saveexec_b64 s[14:15], s[0:1]
	s_cbranch_execz .LBB4_44
; %bb.41:
	v_mov_b32_e32 v16, 0
	s_mov_b64 s[18:19], 1
	s_mov_b64 s[16:17], 0
	s_waitcnt lgkmcnt(0)
	v_pk_mov_b32 v[6:7], s[4:5], s[4:5] op_sel:[0,1]
	v_mov_b32_e32 v17, 0x3ff00000
.LBB4_42:                               ; =>This Inner Loop Header: Depth=1
	v_cvt_f64_u32_e32 v[18:19], s19
	v_cvt_f64_u32_e32 v[20:21], s18
	s_add_u32 s18, s18, 1
	v_ldexp_f64 v[18:19], v[18:19], 32
	s_addc_u32 s19, s19, 0
	v_add_f64 v[18:19], v[18:19], v[20:21]
	v_cmp_eq_u64_e64 s[0:1], s[18:19], v[14:15]
	v_mul_f64 v[18:19], v[16:17], v[18:19]
	s_or_b64 s[16:17], s[0:1], s[16:17]
	v_pk_mov_b32 v[16:17], v[6:7], v[6:7] op_sel:[0,1]
	v_fma_f64 v[6:7], s[4:5], v[6:7], -v[18:19]
	s_andn2_b64 exec, exec, s[16:17]
	s_cbranch_execnz .LBB4_42
; %bb.43:
	s_or_b64 exec, exec, s[16:17]
.LBB4_44:
	s_or_b64 exec, exec, s[14:15]
.LBB4_45:
	s_andn2_saveexec_b64 s[0:1], s[12:13]
	s_cbranch_execz .LBB4_47
; %bb.46:
	s_waitcnt lgkmcnt(0)
	v_pk_mov_b32 v[6:7], s[4:5], s[4:5] op_sel:[0,1]
.LBB4_47:
	s_or_b64 exec, exec, s[0:1]
.LBB4_48:
	s_or_b64 exec, exec, s[10:11]
.LBB4_49:
	s_or_b64 exec, exec, s[8:9]
.LBB4_50:
	s_or_b64 exec, exec, s[2:3]
	v_or_b32_e32 v11, 0x300, v0
	v_cmp_gt_i32_e64 s[0:1], s21, v11
	s_and_saveexec_b64 s[2:3], s[0:1]
	s_cbranch_execnz .LBB4_56
; %bb.51:
	s_or_b64 exec, exec, s[2:3]
	s_and_saveexec_b64 s[0:1], vcc
	s_xor_b64 s[0:1], exec, s[0:1]
	s_cbranch_execnz .LBB4_69
.LBB4_52:
	s_or_b64 exec, exec, s[0:1]
	v_cmp_gt_i32_e32 vcc, s21, v0
	s_and_saveexec_b64 s[0:1], vcc
	s_cbranch_execnz .LBB4_70
.LBB4_53:
	s_or_b64 exec, exec, s[0:1]
	v_cmp_gt_i32_e32 vcc, s21, v0
	s_and_saveexec_b64 s[0:1], vcc
	s_cbranch_execnz .LBB4_71
.LBB4_54:
	s_or_b64 exec, exec, s[0:1]
	v_cmp_gt_i32_e32 vcc, s21, v0
	s_and_saveexec_b64 s[0:1], vcc
	s_cbranch_execnz .LBB4_72
.LBB4_55:
	s_endpgm
.LBB4_56:
	s_waitcnt vmcnt(0)
	v_trunc_f64_e32 v[8:9], v[12:13]
	s_movk_i32 s0, 0xffe0
	v_ldexp_f64 v[12:13], v[8:9], s0
	v_floor_f64_e32 v[14:15], v[12:13]
	v_fmac_f64_e32 v[8:9], 0xc1f00000, v[14:15]
	v_cvt_i32_f64_e32 v13, v[14:15]
	v_cvt_u32_f64_e32 v12, v[8:9]
	v_cmp_lt_i64_e64 s[0:1], -1, v[12:13]
	v_pk_mov_b32 v[8:9], 0, 0
	s_and_saveexec_b64 s[8:9], s[0:1]
	s_cbranch_execz .LBB4_68
; %bb.57:
	v_mov_b32_e32 v8, 0
	v_cmp_lt_i64_e64 s[0:1], 0, v[12:13]
	v_mov_b32_e32 v9, 0x3ff00000
	s_and_saveexec_b64 s[10:11], s[0:1]
	s_cbranch_execz .LBB4_67
; %bb.58:
	v_cmp_ne_u64_e64 s[0:1], 1, v[12:13]
	s_and_saveexec_b64 s[12:13], s[0:1]
	s_xor_b64 s[12:13], exec, s[12:13]
	s_cbranch_execz .LBB4_64
; %bb.59:
	s_mov_b64 s[0:1], 0x201
	v_mov_b32_e32 v8, 0
	v_cmp_gt_u64_e64 s[0:1], s[0:1], v[12:13]
	v_mov_b32_e32 v9, 0x7ff80000
	s_and_saveexec_b64 s[14:15], s[0:1]
	s_cbranch_execz .LBB4_63
; %bb.60:
	v_mov_b32_e32 v14, 0
	s_mov_b64 s[18:19], 1
	s_mov_b64 s[16:17], 0
	s_waitcnt lgkmcnt(0)
	v_pk_mov_b32 v[8:9], s[4:5], s[4:5] op_sel:[0,1]
	v_mov_b32_e32 v15, 0x3ff00000
.LBB4_61:                               ; =>This Inner Loop Header: Depth=1
	v_cvt_f64_u32_e32 v[16:17], s19
	v_cvt_f64_u32_e32 v[18:19], s18
	s_add_u32 s18, s18, 1
	v_ldexp_f64 v[16:17], v[16:17], 32
	s_addc_u32 s19, s19, 0
	v_add_f64 v[16:17], v[16:17], v[18:19]
	v_cmp_eq_u64_e64 s[0:1], s[18:19], v[12:13]
	v_mul_f64 v[16:17], v[14:15], v[16:17]
	s_or_b64 s[16:17], s[0:1], s[16:17]
	v_pk_mov_b32 v[14:15], v[8:9], v[8:9] op_sel:[0,1]
	v_fma_f64 v[8:9], s[4:5], v[8:9], -v[16:17]
	s_andn2_b64 exec, exec, s[16:17]
	s_cbranch_execnz .LBB4_61
; %bb.62:
	s_or_b64 exec, exec, s[16:17]
.LBB4_63:
	s_or_b64 exec, exec, s[14:15]
.LBB4_64:
	s_andn2_saveexec_b64 s[0:1], s[12:13]
	s_cbranch_execz .LBB4_66
; %bb.65:
	s_waitcnt lgkmcnt(0)
	v_pk_mov_b32 v[8:9], s[4:5], s[4:5] op_sel:[0,1]
.LBB4_66:
	s_or_b64 exec, exec, s[0:1]
.LBB4_67:
	s_or_b64 exec, exec, s[10:11]
.LBB4_68:
	s_or_b64 exec, exec, s[8:9]
	s_or_b64 exec, exec, s[2:3]
	s_and_saveexec_b64 s[0:1], vcc
	s_xor_b64 s[0:1], exec, s[0:1]
	s_cbranch_execz .LBB4_52
.LBB4_69:
	v_mov_b32_e32 v11, 0
	v_lshlrev_b64 v[10:11], 3, v[10:11]
	s_waitcnt lgkmcnt(0)
	v_mov_b32_e32 v0, s7
	v_add_co_u32_e32 v10, vcc, s6, v10
	v_addc_co_u32_e32 v11, vcc, v0, v11, vcc
	v_mov_b32_e32 v0, v1
	global_store_dwordx2 v[10:11], v[2:3], off
	s_or_b64 exec, exec, s[0:1]
	v_cmp_gt_i32_e32 vcc, s21, v0
	s_and_saveexec_b64 s[0:1], vcc
	s_cbranch_execz .LBB4_53
.LBB4_70:
	v_add_u32_e32 v2, 0x100, v0
	v_add_u32_e32 v0, s20, v0
	v_mov_b32_e32 v1, 0
	v_lshlrev_b64 v[0:1], 3, v[0:1]
	s_waitcnt lgkmcnt(0)
	v_mov_b32_e32 v3, s7
	v_add_co_u32_e32 v0, vcc, s6, v0
	v_addc_co_u32_e32 v1, vcc, v3, v1, vcc
	global_store_dwordx2 v[0:1], v[4:5], off
	v_mov_b32_e32 v0, v2
	s_or_b64 exec, exec, s[0:1]
	v_cmp_gt_i32_e32 vcc, s21, v0
	s_and_saveexec_b64 s[0:1], vcc
	s_cbranch_execz .LBB4_54
.LBB4_71:
	v_add_u32_e32 v2, 0x100, v0
	v_add_u32_e32 v0, s20, v0
	v_mov_b32_e32 v1, 0
	v_lshlrev_b64 v[0:1], 3, v[0:1]
	s_waitcnt lgkmcnt(0)
	v_mov_b32_e32 v3, s7
	v_add_co_u32_e32 v0, vcc, s6, v0
	v_addc_co_u32_e32 v1, vcc, v3, v1, vcc
	global_store_dwordx2 v[0:1], v[6:7], off
	v_mov_b32_e32 v0, v2
	s_or_b64 exec, exec, s[0:1]
	v_cmp_gt_i32_e32 vcc, s21, v0
	s_and_saveexec_b64 s[0:1], vcc
	s_cbranch_execz .LBB4_55
.LBB4_72:
	v_add_u32_e32 v0, s20, v0
	v_mov_b32_e32 v1, 0
	v_lshlrev_b64 v[0:1], 3, v[0:1]
	s_waitcnt lgkmcnt(0)
	v_mov_b32_e32 v2, s7
	v_add_co_u32_e32 v0, vcc, s6, v0
	v_addc_co_u32_e32 v1, vcc, v2, v1, vcc
	global_store_dwordx2 v[0:1], v[8:9], off
	s_endpgm
	.section	.rodata,"a",@progbits
	.p2align	6, 0x0
	.amdhsa_kernel _ZN2at6native27unrolled_elementwise_kernelINS0_13AUnaryFunctorIdddZZZNS0_12_GLOBAL__N_133hermite_polynomial_he_kernel_cudaERNS_18TensorIteratorBaseEENKUlvE_clEvENKUlvE_clEvEUlddE_EESt5arrayIPcLm2EELi4E23TrivialOffsetCalculatorILi1EjESE_NS0_6memory15LoadWithoutCastENSF_16StoreWithoutCastEEEviT_T0_T2_T3_T4_T5_
		.amdhsa_group_segment_fixed_size 0
		.amdhsa_private_segment_fixed_size 0
		.amdhsa_kernarg_size 44
		.amdhsa_user_sgpr_count 6
		.amdhsa_user_sgpr_private_segment_buffer 1
		.amdhsa_user_sgpr_dispatch_ptr 0
		.amdhsa_user_sgpr_queue_ptr 0
		.amdhsa_user_sgpr_kernarg_segment_ptr 1
		.amdhsa_user_sgpr_dispatch_id 0
		.amdhsa_user_sgpr_flat_scratch_init 0
		.amdhsa_user_sgpr_kernarg_preload_length 0
		.amdhsa_user_sgpr_kernarg_preload_offset 0
		.amdhsa_user_sgpr_private_segment_size 0
		.amdhsa_uses_dynamic_stack 0
		.amdhsa_system_sgpr_private_segment_wavefront_offset 0
		.amdhsa_system_sgpr_workgroup_id_x 1
		.amdhsa_system_sgpr_workgroup_id_y 0
		.amdhsa_system_sgpr_workgroup_id_z 0
		.amdhsa_system_sgpr_workgroup_info 0
		.amdhsa_system_vgpr_workitem_id 0
		.amdhsa_next_free_vgpr 24
		.amdhsa_next_free_sgpr 22
		.amdhsa_accum_offset 24
		.amdhsa_reserve_vcc 1
		.amdhsa_reserve_flat_scratch 0
		.amdhsa_float_round_mode_32 0
		.amdhsa_float_round_mode_16_64 0
		.amdhsa_float_denorm_mode_32 3
		.amdhsa_float_denorm_mode_16_64 3
		.amdhsa_dx10_clamp 1
		.amdhsa_ieee_mode 1
		.amdhsa_fp16_overflow 0
		.amdhsa_tg_split 0
		.amdhsa_exception_fp_ieee_invalid_op 0
		.amdhsa_exception_fp_denorm_src 0
		.amdhsa_exception_fp_ieee_div_zero 0
		.amdhsa_exception_fp_ieee_overflow 0
		.amdhsa_exception_fp_ieee_underflow 0
		.amdhsa_exception_fp_ieee_inexact 0
		.amdhsa_exception_int_div_zero 0
	.end_amdhsa_kernel
	.section	.text._ZN2at6native27unrolled_elementwise_kernelINS0_13AUnaryFunctorIdddZZZNS0_12_GLOBAL__N_133hermite_polynomial_he_kernel_cudaERNS_18TensorIteratorBaseEENKUlvE_clEvENKUlvE_clEvEUlddE_EESt5arrayIPcLm2EELi4E23TrivialOffsetCalculatorILi1EjESE_NS0_6memory15LoadWithoutCastENSF_16StoreWithoutCastEEEviT_T0_T2_T3_T4_T5_,"axG",@progbits,_ZN2at6native27unrolled_elementwise_kernelINS0_13AUnaryFunctorIdddZZZNS0_12_GLOBAL__N_133hermite_polynomial_he_kernel_cudaERNS_18TensorIteratorBaseEENKUlvE_clEvENKUlvE_clEvEUlddE_EESt5arrayIPcLm2EELi4E23TrivialOffsetCalculatorILi1EjESE_NS0_6memory15LoadWithoutCastENSF_16StoreWithoutCastEEEviT_T0_T2_T3_T4_T5_,comdat
.Lfunc_end4:
	.size	_ZN2at6native27unrolled_elementwise_kernelINS0_13AUnaryFunctorIdddZZZNS0_12_GLOBAL__N_133hermite_polynomial_he_kernel_cudaERNS_18TensorIteratorBaseEENKUlvE_clEvENKUlvE_clEvEUlddE_EESt5arrayIPcLm2EELi4E23TrivialOffsetCalculatorILi1EjESE_NS0_6memory15LoadWithoutCastENSF_16StoreWithoutCastEEEviT_T0_T2_T3_T4_T5_, .Lfunc_end4-_ZN2at6native27unrolled_elementwise_kernelINS0_13AUnaryFunctorIdddZZZNS0_12_GLOBAL__N_133hermite_polynomial_he_kernel_cudaERNS_18TensorIteratorBaseEENKUlvE_clEvENKUlvE_clEvEUlddE_EESt5arrayIPcLm2EELi4E23TrivialOffsetCalculatorILi1EjESE_NS0_6memory15LoadWithoutCastENSF_16StoreWithoutCastEEEviT_T0_T2_T3_T4_T5_
                                        ; -- End function
	.section	.AMDGPU.csdata,"",@progbits
; Kernel info:
; codeLenInByte = 1980
; NumSgprs: 26
; NumVgprs: 24
; NumAgprs: 0
; TotalNumVgprs: 24
; ScratchSize: 0
; MemoryBound: 0
; FloatMode: 240
; IeeeMode: 1
; LDSByteSize: 0 bytes/workgroup (compile time only)
; SGPRBlocks: 3
; VGPRBlocks: 2
; NumSGPRsForWavesPerEU: 26
; NumVGPRsForWavesPerEU: 24
; AccumOffset: 24
; Occupancy: 8
; WaveLimiterHint : 0
; COMPUTE_PGM_RSRC2:SCRATCH_EN: 0
; COMPUTE_PGM_RSRC2:USER_SGPR: 6
; COMPUTE_PGM_RSRC2:TRAP_HANDLER: 0
; COMPUTE_PGM_RSRC2:TGID_X_EN: 1
; COMPUTE_PGM_RSRC2:TGID_Y_EN: 0
; COMPUTE_PGM_RSRC2:TGID_Z_EN: 0
; COMPUTE_PGM_RSRC2:TIDIG_COMP_CNT: 0
; COMPUTE_PGM_RSRC3_GFX90A:ACCUM_OFFSET: 5
; COMPUTE_PGM_RSRC3_GFX90A:TG_SPLIT: 0
	.section	.text._ZN2at6native32elementwise_kernel_manual_unrollILi128ELi4EZNS0_22gpu_kernel_impl_nocastINS0_13AUnaryFunctorIdddZZZNS0_12_GLOBAL__N_133hermite_polynomial_he_kernel_cudaERNS_18TensorIteratorBaseEENKUlvE_clEvENKUlvE_clEvEUlddE_EEEEvS6_RKT_EUlibE_EEviT1_,"axG",@progbits,_ZN2at6native32elementwise_kernel_manual_unrollILi128ELi4EZNS0_22gpu_kernel_impl_nocastINS0_13AUnaryFunctorIdddZZZNS0_12_GLOBAL__N_133hermite_polynomial_he_kernel_cudaERNS_18TensorIteratorBaseEENKUlvE_clEvENKUlvE_clEvEUlddE_EEEEvS6_RKT_EUlibE_EEviT1_,comdat
	.globl	_ZN2at6native32elementwise_kernel_manual_unrollILi128ELi4EZNS0_22gpu_kernel_impl_nocastINS0_13AUnaryFunctorIdddZZZNS0_12_GLOBAL__N_133hermite_polynomial_he_kernel_cudaERNS_18TensorIteratorBaseEENKUlvE_clEvENKUlvE_clEvEUlddE_EEEEvS6_RKT_EUlibE_EEviT1_ ; -- Begin function _ZN2at6native32elementwise_kernel_manual_unrollILi128ELi4EZNS0_22gpu_kernel_impl_nocastINS0_13AUnaryFunctorIdddZZZNS0_12_GLOBAL__N_133hermite_polynomial_he_kernel_cudaERNS_18TensorIteratorBaseEENKUlvE_clEvENKUlvE_clEvEUlddE_EEEEvS6_RKT_EUlibE_EEviT1_
	.p2align	8
	.type	_ZN2at6native32elementwise_kernel_manual_unrollILi128ELi4EZNS0_22gpu_kernel_impl_nocastINS0_13AUnaryFunctorIdddZZZNS0_12_GLOBAL__N_133hermite_polynomial_he_kernel_cudaERNS_18TensorIteratorBaseEENKUlvE_clEvENKUlvE_clEvEUlddE_EEEEvS6_RKT_EUlibE_EEviT1_,@function
_ZN2at6native32elementwise_kernel_manual_unrollILi128ELi4EZNS0_22gpu_kernel_impl_nocastINS0_13AUnaryFunctorIdddZZZNS0_12_GLOBAL__N_133hermite_polynomial_he_kernel_cudaERNS_18TensorIteratorBaseEENKUlvE_clEvENKUlvE_clEvEUlddE_EEEEvS6_RKT_EUlibE_EEviT1_: ; @_ZN2at6native32elementwise_kernel_manual_unrollILi128ELi4EZNS0_22gpu_kernel_impl_nocastINS0_13AUnaryFunctorIdddZZZNS0_12_GLOBAL__N_133hermite_polynomial_he_kernel_cudaERNS_18TensorIteratorBaseEENKUlvE_clEvENKUlvE_clEvEUlddE_EEEEvS6_RKT_EUlibE_EEviT1_
; %bb.0:
	s_load_dword s59, s[4:5], 0x0
	s_load_dword s33, s[4:5], 0x8
	s_or_b32 s4, s4, 8
	v_lshl_or_b32 v10, s6, 9, v0
	v_or_b32_e32 v15, 0x180, v10
	s_waitcnt lgkmcnt(0)
	v_cmp_le_i32_e32 vcc, s59, v15
	s_add_i32 s58, s33, -1
	s_cmp_gt_u32 s58, 1
	s_cselect_b64 s[6:7], -1, 0
	s_and_saveexec_b64 s[0:1], vcc
	s_xor_b64 s[34:35], exec, s[0:1]
	s_cbranch_execz .LBB5_8
; %bb.1:
	s_load_dwordx4 s[28:31], s[4:5], 0x4
	s_load_dwordx2 s[42:43], s[4:5], 0x14
	s_load_dwordx4 s[24:27], s[4:5], 0xc4
	s_load_dwordx4 s[0:3], s[4:5], 0x148
	s_load_dwordx2 s[40:41], s[4:5], 0x160
	s_cmp_lg_u32 s33, 0
	s_cselect_b64 s[48:49], -1, 0
	s_add_u32 s46, s4, 0xc4
	s_addc_u32 s47, s5, 0
	s_min_u32 s60, s58, 15
	s_cmp_gt_u32 s33, 1
	s_cselect_b64 s[44:45], -1, 0
	v_cmp_gt_i32_e32 vcc, s59, v10
	s_and_saveexec_b64 s[50:51], vcc
	s_cbranch_execz .LBB5_16
; %bb.2:
	s_andn2_b64 vcc, exec, s[6:7]
	s_cbranch_vccnz .LBB5_24
; %bb.3:
	s_mov_b32 s52, 0
	s_andn2_b64 vcc, exec, s[48:49]
	v_mov_b32_e32 v2, 0
	v_mov_b32_e32 v0, 0
	s_cbranch_vccnz .LBB5_128
; %bb.4:
	s_add_i32 s61, s60, 1
	s_cmp_eq_u32 s58, 2
	s_cbranch_scc1 .LBB5_123
; %bb.5:
	s_and_b32 s52, s61, 28
	s_mov_b32 s53, 0
	v_mov_b32_e32 v0, 0
	s_mov_b64 s[54:55], s[4:5]
	s_mov_b64 s[56:57], s[46:47]
	v_mov_b32_e32 v3, v10
	v_mov_b32_e32 v2, 0
.LBB5_6:                                ; =>This Inner Loop Header: Depth=1
	s_load_dwordx8 s[16:23], s[54:55], 0x4
	s_load_dwordx4 s[36:39], s[54:55], 0x24
	s_load_dwordx8 s[8:15], s[56:57], 0x0
	s_add_u32 s54, s54, 48
	s_addc_u32 s55, s55, 0
	s_waitcnt lgkmcnt(0)
	v_mul_hi_u32 v1, s17, v3
	v_add_u32_e32 v1, v3, v1
	v_lshrrev_b32_e32 v1, s18, v1
	v_mul_lo_u32 v4, v1, s16
	v_mul_hi_u32 v5, s20, v1
	v_sub_u32_e32 v3, v3, v4
	v_add_u32_e32 v4, v1, v5
	v_lshrrev_b32_e32 v4, s21, v4
	v_mul_lo_u32 v6, v4, s19
	v_mul_hi_u32 v7, s23, v4
	v_sub_u32_e32 v1, v1, v6
	v_add_u32_e32 v6, v4, v7
	v_mul_lo_u32 v5, v3, s9
	v_mul_lo_u32 v3, v3, s8
	;; [unrolled: 1-line block ×4, first 2 shown]
	v_lshrrev_b32_e32 v6, s36, v6
	v_add3_u32 v0, v3, v0, v1
	v_mul_hi_u32 v3, s38, v6
	v_add_u32_e32 v3, v6, v3
	v_lshrrev_b32_e32 v3, s39, v3
	s_add_i32 s53, s53, 4
	v_add3_u32 v1, v5, v2, v7
	v_mul_lo_u32 v2, v6, s22
	v_mul_lo_u32 v5, v3, s37
	s_add_u32 s56, s56, 32
	v_sub_u32_e32 v2, v4, v2
	v_sub_u32_e32 v5, v6, v5
	s_addc_u32 s57, s57, 0
	v_mul_lo_u32 v4, v2, s12
	v_mul_lo_u32 v2, v2, s13
	;; [unrolled: 1-line block ×4, first 2 shown]
	s_cmp_lg_u32 s52, s53
	v_add3_u32 v2, v2, v1, v5
	v_add3_u32 v0, v4, v0, v6
	s_cbranch_scc1 .LBB5_6
; %bb.7:
	v_mov_b32_e32 v1, v2
	s_branch .LBB5_124
.LBB5_8:
	s_andn2_saveexec_b64 s[0:1], s[34:35]
	s_cbranch_execz .LBB5_175
.LBB5_9:
	v_cndmask_b32_e64 v0, 0, 1, s[6:7]
	v_cmp_ne_u32_e64 s[0:1], 1, v0
	s_andn2_b64 vcc, exec, s[6:7]
	s_cbranch_vccnz .LBB5_23
; %bb.10:
	s_mov_b32 s2, 0
	s_cmp_lg_u32 s33, 0
	v_mov_b32_e32 v4, 0
	v_mov_b32_e32 v0, 0
	s_cbranch_scc0 .LBB5_15
; %bb.11:
	s_min_u32 s30, s58, 15
	s_add_i32 s30, s30, 1
	s_cmp_eq_u32 s58, 2
	s_cbranch_scc1 .LBB5_26
; %bb.12:
	s_add_u32 s6, s4, 0xc4
	s_addc_u32 s7, s5, 0
	s_and_b32 s2, s30, 28
	s_mov_b32 s3, 0
	v_mov_b32_e32 v0, 0
	s_mov_b64 s[28:29], s[4:5]
	v_mov_b32_e32 v2, v10
	v_mov_b32_e32 v4, 0
.LBB5_13:                               ; =>This Inner Loop Header: Depth=1
	s_load_dwordx8 s[16:23], s[28:29], 0x4
	s_load_dwordx4 s[24:27], s[28:29], 0x24
	s_load_dwordx8 s[8:15], s[6:7], 0x0
	s_add_u32 s28, s28, 48
	s_addc_u32 s29, s29, 0
	s_waitcnt lgkmcnt(0)
	v_mul_hi_u32 v1, s17, v2
	v_add_u32_e32 v1, v2, v1
	v_lshrrev_b32_e32 v1, s18, v1
	v_mul_lo_u32 v3, v1, s16
	v_mul_hi_u32 v5, s20, v1
	v_sub_u32_e32 v2, v2, v3
	v_add_u32_e32 v3, v1, v5
	v_lshrrev_b32_e32 v3, s21, v3
	v_mul_lo_u32 v6, v3, s19
	v_mul_hi_u32 v7, s23, v3
	v_sub_u32_e32 v1, v1, v6
	v_add_u32_e32 v6, v3, v7
	v_mul_lo_u32 v5, v2, s9
	v_mul_lo_u32 v2, v2, s8
	;; [unrolled: 1-line block ×4, first 2 shown]
	v_lshrrev_b32_e32 v6, s24, v6
	v_add3_u32 v0, v2, v0, v1
	v_add3_u32 v1, v5, v4, v7
	v_mul_lo_u32 v2, v6, s22
	v_mul_hi_u32 v4, s26, v6
	v_sub_u32_e32 v2, v3, v2
	v_add_u32_e32 v3, v6, v4
	v_mul_lo_u32 v5, v2, s12
	v_mul_lo_u32 v4, v2, s13
	v_lshrrev_b32_e32 v2, s27, v3
	s_add_i32 s3, s3, 4
	v_mul_lo_u32 v3, v2, s25
	s_add_u32 s6, s6, 32
	v_sub_u32_e32 v3, v6, v3
	s_addc_u32 s7, s7, 0
	v_mul_lo_u32 v6, v3, s14
	v_mul_lo_u32 v3, v3, s15
	s_cmp_lg_u32 s2, s3
	v_add3_u32 v4, v4, v1, v3
	v_add3_u32 v0, v5, v0, v6
	s_cbranch_scc1 .LBB5_13
; %bb.14:
	v_mov_b32_e32 v1, v4
	s_and_b32 s8, s30, 3
	s_cmp_eq_u32 s8, 0
	s_cbranch_scc0 .LBB5_27
.LBB5_15:
	s_cbranch_execz .LBB5_30
	s_branch .LBB5_32
.LBB5_16:
	s_or_b64 exec, exec, s[50:51]
	v_cmp_gt_i32_e32 vcc, s59, v10
	s_and_saveexec_b64 s[50:51], vcc
	s_cbranch_execz .LBB5_144
.LBB5_17:
	s_andn2_b64 vcc, exec, s[6:7]
	s_cbranch_vccnz .LBB5_25
; %bb.18:
	s_mov_b32 s52, 0
	s_andn2_b64 vcc, exec, s[48:49]
	v_mov_b32_e32 v2, 0
	v_mov_b32_e32 v0, 0
	s_cbranch_vccnz .LBB5_157
; %bb.19:
	s_add_i32 s61, s60, 1
	s_cmp_eq_u32 s58, 2
	s_cbranch_scc1 .LBB5_152
; %bb.20:
	s_and_b32 s52, s61, 28
	s_mov_b32 s53, 0
	v_mov_b32_e32 v0, 0
	s_mov_b64 s[54:55], s[4:5]
	s_mov_b64 s[56:57], s[46:47]
	v_mov_b32_e32 v3, v10
	v_mov_b32_e32 v2, 0
.LBB5_21:                               ; =>This Inner Loop Header: Depth=1
	s_load_dwordx8 s[16:23], s[54:55], 0x4
	s_load_dwordx4 s[36:39], s[54:55], 0x24
	s_load_dwordx8 s[8:15], s[56:57], 0x0
	s_add_u32 s54, s54, 48
	s_addc_u32 s55, s55, 0
	s_waitcnt lgkmcnt(0)
	v_mul_hi_u32 v1, s17, v3
	v_add_u32_e32 v1, v3, v1
	v_lshrrev_b32_e32 v1, s18, v1
	v_mul_lo_u32 v4, v1, s16
	v_mul_hi_u32 v5, s20, v1
	v_sub_u32_e32 v3, v3, v4
	v_add_u32_e32 v4, v1, v5
	v_lshrrev_b32_e32 v4, s21, v4
	v_mul_lo_u32 v6, v4, s19
	v_mul_hi_u32 v7, s23, v4
	v_sub_u32_e32 v1, v1, v6
	v_add_u32_e32 v6, v4, v7
	v_mul_lo_u32 v5, v3, s9
	v_mul_lo_u32 v3, v3, s8
	;; [unrolled: 1-line block ×4, first 2 shown]
	v_lshrrev_b32_e32 v6, s36, v6
	v_add3_u32 v0, v3, v0, v1
	v_mul_hi_u32 v3, s38, v6
	v_add_u32_e32 v3, v6, v3
	v_lshrrev_b32_e32 v3, s39, v3
	s_add_i32 s53, s53, 4
	v_add3_u32 v1, v5, v2, v7
	v_mul_lo_u32 v2, v6, s22
	v_mul_lo_u32 v5, v3, s37
	s_add_u32 s56, s56, 32
	v_sub_u32_e32 v2, v4, v2
	v_sub_u32_e32 v5, v6, v5
	s_addc_u32 s57, s57, 0
	v_mul_lo_u32 v4, v2, s12
	v_mul_lo_u32 v2, v2, s13
	;; [unrolled: 1-line block ×4, first 2 shown]
	s_cmp_eq_u32 s52, s53
	v_add3_u32 v2, v2, v1, v5
	v_add3_u32 v0, v4, v0, v6
	s_cbranch_scc0 .LBB5_21
; %bb.22:
	v_mov_b32_e32 v1, v2
	s_branch .LBB5_153
.LBB5_23:
                                        ; implicit-def: $vgpr4
                                        ; implicit-def: $vgpr0
	s_branch .LBB5_30
.LBB5_24:
                                        ; implicit-def: $vgpr2
                                        ; implicit-def: $vgpr0
	s_branch .LBB5_129
.LBB5_25:
                                        ; implicit-def: $vgpr2
                                        ; implicit-def: $vgpr0
	s_branch .LBB5_158
.LBB5_26:
	s_mov_b32 s3, s2
	v_pk_mov_b32 v[0:1], s[2:3], s[2:3] op_sel:[0,1]
                                        ; implicit-def: $vgpr4
	v_mov_b32_e32 v2, v10
	s_and_b32 s8, s30, 3
	s_cmp_eq_u32 s8, 0
	s_cbranch_scc1 .LBB5_15
.LBB5_27:
	s_lshl_b32 s3, s2, 3
	s_add_u32 s3, s3, s4
	s_addc_u32 s7, 0, s5
	s_add_u32 s6, s3, 0xc4
	s_addc_u32 s7, s7, 0
	s_mul_i32 s2, s2, 12
	s_add_u32 s2, s4, s2
	s_addc_u32 s3, 0, s5
.LBB5_28:                               ; =>This Inner Loop Header: Depth=1
	s_load_dwordx2 s[10:11], s[2:3], 0x4
	s_load_dword s9, s[2:3], 0xc
	s_load_dwordx2 s[12:13], s[6:7], 0x0
	v_mov_b32_e32 v4, v1
	s_add_u32 s2, s2, 12
	s_waitcnt lgkmcnt(0)
	v_mul_hi_u32 v1, s11, v2
	v_add_u32_e32 v1, v2, v1
	v_lshrrev_b32_e32 v1, s9, v1
	s_addc_u32 s3, s3, 0
	v_mul_lo_u32 v3, v1, s10
	s_add_u32 s6, s6, 8
	v_sub_u32_e32 v3, v2, v3
	s_addc_u32 s7, s7, 0
	s_add_i32 s8, s8, -1
	v_mov_b32_e32 v2, v1
	v_mad_u64_u32 v[4:5], s[10:11], v3, s13, v[4:5]
	v_mad_u64_u32 v[0:1], s[10:11], v3, s12, v[0:1]
	s_cmp_lg_u32 s8, 0
	v_mov_b32_e32 v1, v4
	s_cbranch_scc1 .LBB5_28
; %bb.29:
	v_mov_b32_e32 v4, v1
	s_cbranch_execnz .LBB5_32
.LBB5_30:
	s_load_dwordx4 s[8:11], s[4:5], 0x4
	s_load_dwordx2 s[2:3], s[4:5], 0xc4
	s_cmp_lt_u32 s33, 2
	s_waitcnt lgkmcnt(0)
	v_mul_hi_u32 v0, s9, v10
	v_add_u32_e32 v0, v10, v0
	v_lshrrev_b32_e32 v1, s10, v0
	v_mul_lo_u32 v0, v1, s8
	v_sub_u32_e32 v0, v10, v0
	v_mul_lo_u32 v4, v0, s3
	v_mul_lo_u32 v0, v0, s2
	s_cbranch_scc1 .LBB5_32
; %bb.31:
	s_load_dwordx4 s[8:11], s[4:5], 0x10
	s_load_dwordx2 s[2:3], s[4:5], 0xcc
	s_waitcnt lgkmcnt(0)
	v_mul_hi_u32 v2, s9, v1
	v_add_u32_e32 v2, v1, v2
	v_lshrrev_b32_e32 v2, s10, v2
	v_mul_lo_u32 v2, v2, s8
	v_sub_u32_e32 v2, v1, v2
	v_mad_u64_u32 v[0:1], s[6:7], v2, s2, v[0:1]
	v_mad_u64_u32 v[4:5], s[2:3], v2, s3, v[4:5]
.LBB5_32:
	s_and_b64 vcc, exec, s[0:1]
	v_add_u32_e32 v1, 0x80, v10
	s_cbranch_vccnz .LBB5_39
; %bb.33:
	s_mov_b32 s2, 0
	s_cmp_lg_u32 s33, 0
	v_mov_b32_e32 v8, 0
	v_mov_b32_e32 v2, 0
	s_cbranch_scc0 .LBB5_38
; %bb.34:
	s_min_u32 s30, s58, 15
	s_add_i32 s30, s30, 1
	s_cmp_eq_u32 s58, 2
	s_cbranch_scc1 .LBB5_40
; %bb.35:
	s_add_u32 s6, s4, 0xc4
	s_addc_u32 s7, s5, 0
	s_and_b32 s2, s30, 28
	s_mov_b32 s3, 0
	v_mov_b32_e32 v2, 0
	s_mov_b64 s[28:29], s[4:5]
	v_mov_b32_e32 v5, v1
	v_mov_b32_e32 v8, 0
.LBB5_36:                               ; =>This Inner Loop Header: Depth=1
	s_load_dwordx8 s[16:23], s[28:29], 0x4
	s_load_dwordx4 s[24:27], s[28:29], 0x24
	s_load_dwordx8 s[8:15], s[6:7], 0x0
	s_add_u32 s28, s28, 48
	s_addc_u32 s29, s29, 0
	s_waitcnt lgkmcnt(0)
	v_mul_hi_u32 v3, s17, v5
	v_add_u32_e32 v3, v5, v3
	v_lshrrev_b32_e32 v3, s18, v3
	v_mul_lo_u32 v6, v3, s16
	v_mul_hi_u32 v7, s20, v3
	v_sub_u32_e32 v5, v5, v6
	v_add_u32_e32 v6, v3, v7
	v_lshrrev_b32_e32 v6, s21, v6
	v_mul_lo_u32 v9, v6, s19
	v_mul_hi_u32 v11, s23, v6
	v_sub_u32_e32 v3, v3, v9
	v_add_u32_e32 v9, v6, v11
	v_mul_lo_u32 v7, v5, s9
	v_mul_lo_u32 v5, v5, s8
	;; [unrolled: 1-line block ×4, first 2 shown]
	v_lshrrev_b32_e32 v9, s24, v9
	v_add3_u32 v2, v5, v2, v3
	v_add3_u32 v3, v7, v8, v11
	v_mul_lo_u32 v5, v9, s22
	v_mul_hi_u32 v7, s26, v9
	v_sub_u32_e32 v5, v6, v5
	v_add_u32_e32 v6, v9, v7
	v_mul_lo_u32 v7, v5, s12
	v_mul_lo_u32 v8, v5, s13
	v_lshrrev_b32_e32 v5, s27, v6
	s_add_i32 s3, s3, 4
	v_mul_lo_u32 v6, v5, s25
	s_add_u32 s6, s6, 32
	v_sub_u32_e32 v6, v9, v6
	s_addc_u32 s7, s7, 0
	v_mul_lo_u32 v9, v6, s14
	v_mul_lo_u32 v6, v6, s15
	s_cmp_lg_u32 s2, s3
	v_add3_u32 v8, v8, v3, v6
	v_add3_u32 v2, v7, v2, v9
	s_cbranch_scc1 .LBB5_36
; %bb.37:
	v_mov_b32_e32 v3, v8
	s_and_b32 s8, s30, 3
	s_cmp_eq_u32 s8, 0
	s_cbranch_scc0 .LBB5_41
.LBB5_38:
	s_cbranch_execz .LBB5_44
	s_branch .LBB5_46
.LBB5_39:
                                        ; implicit-def: $vgpr8
                                        ; implicit-def: $vgpr2
	s_branch .LBB5_44
.LBB5_40:
	s_mov_b32 s3, s2
	v_pk_mov_b32 v[2:3], s[2:3], s[2:3] op_sel:[0,1]
                                        ; implicit-def: $vgpr8
	v_mov_b32_e32 v5, v1
	s_and_b32 s8, s30, 3
	s_cmp_eq_u32 s8, 0
	s_cbranch_scc1 .LBB5_38
.LBB5_41:
	s_lshl_b32 s3, s2, 3
	s_add_u32 s3, s3, s4
	s_addc_u32 s7, 0, s5
	s_add_u32 s6, s3, 0xc4
	s_addc_u32 s7, s7, 0
	s_mul_i32 s2, s2, 12
	s_add_u32 s2, s4, s2
	s_addc_u32 s3, 0, s5
.LBB5_42:                               ; =>This Inner Loop Header: Depth=1
	s_load_dwordx2 s[10:11], s[2:3], 0x4
	s_load_dword s9, s[2:3], 0xc
	s_load_dwordx2 s[12:13], s[6:7], 0x0
	v_mov_b32_e32 v6, v3
	s_add_u32 s2, s2, 12
	s_waitcnt lgkmcnt(0)
	v_mul_hi_u32 v3, s11, v5
	v_add_u32_e32 v3, v5, v3
	v_lshrrev_b32_e32 v3, s9, v3
	s_addc_u32 s3, s3, 0
	v_mul_lo_u32 v7, v3, s10
	s_add_u32 s6, s6, 8
	v_sub_u32_e32 v8, v5, v7
	s_addc_u32 s7, s7, 0
	s_add_i32 s8, s8, -1
	v_mov_b32_e32 v5, v3
	v_mad_u64_u32 v[6:7], s[10:11], v8, s13, v[6:7]
	v_mad_u64_u32 v[2:3], s[10:11], v8, s12, v[2:3]
	s_cmp_lg_u32 s8, 0
	v_mov_b32_e32 v3, v6
	s_cbranch_scc1 .LBB5_42
; %bb.43:
	v_mov_b32_e32 v8, v3
	s_cbranch_execnz .LBB5_46
.LBB5_44:
	s_load_dwordx4 s[8:11], s[4:5], 0x4
	s_load_dwordx2 s[2:3], s[4:5], 0xc4
	s_cmp_lt_u32 s33, 2
	s_waitcnt lgkmcnt(0)
	v_mul_hi_u32 v2, s9, v1
	v_add_u32_e32 v2, v1, v2
	v_lshrrev_b32_e32 v3, s10, v2
	v_mul_lo_u32 v2, v3, s8
	v_sub_u32_e32 v1, v1, v2
	v_mul_lo_u32 v8, v1, s3
	v_mul_lo_u32 v2, v1, s2
	s_cbranch_scc1 .LBB5_46
; %bb.45:
	s_load_dwordx4 s[8:11], s[4:5], 0x10
	s_load_dwordx2 s[2:3], s[4:5], 0xcc
	s_waitcnt lgkmcnt(0)
	v_mul_hi_u32 v1, s9, v3
	v_add_u32_e32 v1, v3, v1
	v_lshrrev_b32_e32 v1, s10, v1
	v_mul_lo_u32 v1, v1, s8
	v_sub_u32_e32 v1, v3, v1
	v_mad_u64_u32 v[2:3], s[6:7], v1, s2, v[2:3]
	v_mad_u64_u32 v[8:9], s[2:3], v1, s3, v[8:9]
.LBB5_46:
	s_and_b64 vcc, exec, s[0:1]
	v_add_u32_e32 v1, 0x100, v10
	s_cbranch_vccnz .LBB5_53
; %bb.47:
	s_mov_b32 s2, 0
	s_cmp_lg_u32 s33, 0
	v_mov_b32_e32 v12, 0
	v_mov_b32_e32 v6, 0
	s_cbranch_scc0 .LBB5_52
; %bb.48:
	s_min_u32 s30, s58, 15
	s_add_i32 s30, s30, 1
	s_cmp_eq_u32 s58, 2
	s_cbranch_scc1 .LBB5_54
; %bb.49:
	s_add_u32 s6, s4, 0xc4
	s_addc_u32 s7, s5, 0
	s_and_b32 s2, s30, 28
	s_mov_b32 s3, 0
	v_mov_b32_e32 v6, 0
	s_mov_b64 s[28:29], s[4:5]
	v_mov_b32_e32 v3, v1
	v_mov_b32_e32 v12, 0
.LBB5_50:                               ; =>This Inner Loop Header: Depth=1
	s_load_dwordx8 s[16:23], s[28:29], 0x4
	s_load_dwordx4 s[24:27], s[28:29], 0x24
	s_load_dwordx8 s[8:15], s[6:7], 0x0
	s_add_u32 s28, s28, 48
	s_addc_u32 s29, s29, 0
	s_waitcnt lgkmcnt(0)
	v_mul_hi_u32 v5, s17, v3
	v_add_u32_e32 v5, v3, v5
	v_lshrrev_b32_e32 v5, s18, v5
	v_mul_lo_u32 v7, v5, s16
	v_mul_hi_u32 v9, s20, v5
	v_sub_u32_e32 v3, v3, v7
	v_add_u32_e32 v7, v5, v9
	v_lshrrev_b32_e32 v7, s21, v7
	v_mul_lo_u32 v10, v7, s19
	v_mul_hi_u32 v11, s23, v7
	v_sub_u32_e32 v5, v5, v10
	v_add_u32_e32 v10, v7, v11
	v_mul_lo_u32 v9, v3, s9
	v_mul_lo_u32 v3, v3, s8
	;; [unrolled: 1-line block ×4, first 2 shown]
	v_lshrrev_b32_e32 v10, s24, v10
	v_add3_u32 v5, v3, v6, v5
	v_add3_u32 v6, v9, v12, v11
	v_mul_lo_u32 v3, v10, s22
	v_mul_hi_u32 v9, s26, v10
	v_sub_u32_e32 v3, v7, v3
	v_add_u32_e32 v7, v10, v9
	v_mul_lo_u32 v9, v3, s12
	v_mul_lo_u32 v11, v3, s13
	v_lshrrev_b32_e32 v3, s27, v7
	s_add_i32 s3, s3, 4
	v_mul_lo_u32 v7, v3, s25
	s_add_u32 s6, s6, 32
	v_sub_u32_e32 v7, v10, v7
	s_addc_u32 s7, s7, 0
	v_mul_lo_u32 v10, v7, s14
	v_mul_lo_u32 v7, v7, s15
	s_cmp_lg_u32 s2, s3
	v_add3_u32 v12, v11, v6, v7
	v_add3_u32 v6, v9, v5, v10
	s_cbranch_scc1 .LBB5_50
; %bb.51:
	v_mov_b32_e32 v7, v12
	s_and_b32 s8, s30, 3
	s_cmp_eq_u32 s8, 0
	s_cbranch_scc0 .LBB5_55
.LBB5_52:
	s_cbranch_execz .LBB5_58
	s_branch .LBB5_60
.LBB5_53:
                                        ; implicit-def: $vgpr12
                                        ; implicit-def: $vgpr6
	s_branch .LBB5_58
.LBB5_54:
	s_mov_b32 s3, s2
	v_pk_mov_b32 v[6:7], s[2:3], s[2:3] op_sel:[0,1]
                                        ; implicit-def: $vgpr12
	v_mov_b32_e32 v3, v1
	s_and_b32 s8, s30, 3
	s_cmp_eq_u32 s8, 0
	s_cbranch_scc1 .LBB5_52
.LBB5_55:
	s_lshl_b32 s3, s2, 3
	s_add_u32 s3, s3, s4
	s_addc_u32 s7, 0, s5
	s_add_u32 s6, s3, 0xc4
	s_addc_u32 s7, s7, 0
	s_mul_i32 s2, s2, 12
	s_add_u32 s2, s4, s2
	s_addc_u32 s3, 0, s5
.LBB5_56:                               ; =>This Inner Loop Header: Depth=1
	s_load_dwordx2 s[10:11], s[2:3], 0x4
	s_load_dword s9, s[2:3], 0xc
	s_load_dwordx2 s[12:13], s[6:7], 0x0
	s_add_u32 s2, s2, 12
	v_mov_b32_e32 v10, v7
	s_waitcnt lgkmcnt(0)
	v_mul_hi_u32 v5, s11, v3
	v_add_u32_e32 v5, v3, v5
	v_lshrrev_b32_e32 v5, s9, v5
	s_addc_u32 s3, s3, 0
	v_mul_lo_u32 v7, v5, s10
	s_add_u32 s6, s6, 8
	v_sub_u32_e32 v7, v3, v7
	s_addc_u32 s7, s7, 0
	s_add_i32 s8, s8, -1
	v_mad_u64_u32 v[10:11], s[10:11], v7, s13, v[10:11]
	v_mad_u64_u32 v[6:7], s[10:11], v7, s12, v[6:7]
	s_cmp_lg_u32 s8, 0
	v_mov_b32_e32 v3, v5
	v_mov_b32_e32 v7, v10
	s_cbranch_scc1 .LBB5_56
; %bb.57:
	v_mov_b32_e32 v12, v7
	s_cbranch_execnz .LBB5_60
.LBB5_58:
	s_load_dwordx4 s[8:11], s[4:5], 0x4
	s_load_dwordx2 s[2:3], s[4:5], 0xc4
	s_cmp_lt_u32 s33, 2
	s_waitcnt lgkmcnt(0)
	v_mul_hi_u32 v3, s9, v1
	v_add_u32_e32 v3, v1, v3
	v_lshrrev_b32_e32 v3, s10, v3
	v_mul_lo_u32 v5, v3, s8
	v_sub_u32_e32 v1, v1, v5
	v_mul_lo_u32 v12, v1, s3
	v_mul_lo_u32 v6, v1, s2
	s_cbranch_scc1 .LBB5_60
; %bb.59:
	s_load_dwordx4 s[8:11], s[4:5], 0x10
	s_load_dwordx2 s[2:3], s[4:5], 0xcc
	s_waitcnt lgkmcnt(0)
	v_mul_hi_u32 v1, s9, v3
	v_add_u32_e32 v1, v3, v1
	v_lshrrev_b32_e32 v1, s10, v1
	v_mul_lo_u32 v1, v1, s8
	v_sub_u32_e32 v1, v3, v1
	v_mad_u64_u32 v[6:7], s[6:7], v1, s2, v[6:7]
	v_mad_u64_u32 v[12:13], s[2:3], v1, s3, v[12:13]
.LBB5_60:
	s_and_b64 vcc, exec, s[0:1]
	s_cbranch_vccnz .LBB5_67
; %bb.61:
	s_mov_b32 s6, 0
	s_cmp_lg_u32 s33, 0
	v_mov_b32_e32 v14, 0
	v_mov_b32_e32 v10, 0
	s_cbranch_scc0 .LBB5_66
; %bb.62:
	s_min_u32 s28, s58, 15
	s_add_i32 s28, s28, 1
	s_cmp_eq_u32 s58, 2
	s_cbranch_scc1 .LBB5_68
; %bb.63:
	s_add_u32 s24, s4, 0xc4
	s_addc_u32 s25, s5, 0
	s_and_b32 s6, s28, 28
	s_mov_b32 s7, 0
	v_mov_b32_e32 v10, 0
	s_mov_b64 s[26:27], s[4:5]
	v_mov_b32_e32 v1, v15
	v_mov_b32_e32 v14, 0
.LBB5_64:                               ; =>This Inner Loop Header: Depth=1
	s_load_dwordx8 s[16:23], s[26:27], 0x4
	s_load_dwordx4 s[0:3], s[26:27], 0x24
	s_load_dwordx8 s[8:15], s[24:25], 0x0
	s_add_u32 s26, s26, 48
	s_addc_u32 s27, s27, 0
	s_waitcnt lgkmcnt(0)
	v_mul_hi_u32 v3, s17, v1
	v_add_u32_e32 v3, v1, v3
	v_lshrrev_b32_e32 v3, s18, v3
	v_mul_lo_u32 v5, v3, s16
	v_mul_hi_u32 v7, s20, v3
	v_sub_u32_e32 v1, v1, v5
	v_add_u32_e32 v5, v3, v7
	v_lshrrev_b32_e32 v5, s21, v5
	v_mul_lo_u32 v9, v5, s19
	v_mul_hi_u32 v11, s23, v5
	v_sub_u32_e32 v3, v3, v9
	v_add_u32_e32 v9, v5, v11
	v_mul_lo_u32 v7, v1, s9
	v_mul_lo_u32 v1, v1, s8
	;; [unrolled: 1-line block ×4, first 2 shown]
	v_lshrrev_b32_e32 v9, s0, v9
	v_add3_u32 v3, v1, v10, v3
	v_mul_lo_u32 v1, v9, s22
	v_mul_hi_u32 v10, s2, v9
	v_sub_u32_e32 v1, v5, v1
	v_add_u32_e32 v5, v9, v10
	v_add3_u32 v7, v7, v14, v11
	v_mul_lo_u32 v10, v1, s12
	v_mul_lo_u32 v11, v1, s13
	v_lshrrev_b32_e32 v1, s3, v5
	s_add_i32 s7, s7, 4
	v_mul_lo_u32 v5, v1, s1
	s_add_u32 s24, s24, 32
	v_sub_u32_e32 v5, v9, v5
	s_addc_u32 s25, s25, 0
	v_mul_lo_u32 v9, v5, s14
	v_mul_lo_u32 v5, v5, s15
	s_cmp_lg_u32 s6, s7
	v_add3_u32 v14, v11, v7, v5
	v_add3_u32 v10, v10, v3, v9
	s_cbranch_scc1 .LBB5_64
; %bb.65:
	v_mov_b32_e32 v11, v14
	s_and_b32 s7, s28, 3
	s_cmp_eq_u32 s7, 0
	s_cbranch_scc0 .LBB5_69
.LBB5_66:
	s_cbranch_execz .LBB5_72
	s_branch .LBB5_74
.LBB5_67:
                                        ; implicit-def: $vgpr14
                                        ; implicit-def: $vgpr10
	s_branch .LBB5_72
.LBB5_68:
	s_mov_b32 s7, s6
	v_pk_mov_b32 v[10:11], s[6:7], s[6:7] op_sel:[0,1]
                                        ; implicit-def: $vgpr14
	v_mov_b32_e32 v1, v15
	s_and_b32 s7, s28, 3
	s_cmp_eq_u32 s7, 0
	s_cbranch_scc1 .LBB5_66
.LBB5_69:
	s_lshl_b32 s0, s6, 3
	s_add_u32 s0, s0, s4
	s_addc_u32 s1, 0, s5
	s_add_u32 s0, s0, 0xc4
	s_addc_u32 s1, s1, 0
	s_mul_i32 s2, s6, 12
	s_add_u32 s2, s4, s2
	s_addc_u32 s3, 0, s5
.LBB5_70:                               ; =>This Inner Loop Header: Depth=1
	s_load_dwordx2 s[8:9], s[2:3], 0x4
	s_load_dword s6, s[2:3], 0xc
	s_load_dwordx2 s[10:11], s[0:1], 0x0
	s_add_u32 s2, s2, 12
	s_addc_u32 s3, s3, 0
	s_waitcnt lgkmcnt(0)
	v_mul_hi_u32 v3, s9, v1
	v_add_u32_e32 v3, v1, v3
	v_lshrrev_b32_e32 v3, s6, v3
	v_mul_lo_u32 v5, v3, s8
	v_mov_b32_e32 v14, v11
	s_add_u32 s0, s0, 8
	v_sub_u32_e32 v5, v1, v5
	s_addc_u32 s1, s1, 0
	s_add_i32 s7, s7, -1
	v_mad_u64_u32 v[16:17], s[8:9], v5, s11, v[14:15]
	v_mad_u64_u32 v[10:11], s[8:9], v5, s10, v[10:11]
	s_cmp_lg_u32 s7, 0
	v_mov_b32_e32 v1, v3
	v_mov_b32_e32 v11, v16
	s_cbranch_scc1 .LBB5_70
; %bb.71:
	v_mov_b32_e32 v14, v11
	s_cbranch_execnz .LBB5_74
.LBB5_72:
	s_load_dwordx4 s[0:3], s[4:5], 0x4
	s_load_dwordx2 s[6:7], s[4:5], 0xc4
	s_cmp_lt_u32 s33, 2
	s_waitcnt lgkmcnt(0)
	v_mul_hi_u32 v1, s1, v15
	v_add_u32_e32 v1, v15, v1
	v_lshrrev_b32_e32 v1, s2, v1
	v_mul_lo_u32 v3, v1, s0
	v_sub_u32_e32 v3, v15, v3
	v_mul_lo_u32 v14, v3, s7
	v_mul_lo_u32 v10, v3, s6
	s_cbranch_scc1 .LBB5_74
; %bb.73:
	s_load_dwordx4 s[0:3], s[4:5], 0x10
	s_load_dwordx2 s[6:7], s[4:5], 0xcc
	s_waitcnt lgkmcnt(0)
	v_mul_hi_u32 v3, s1, v1
	v_add_u32_e32 v3, v1, v3
	v_lshrrev_b32_e32 v3, s2, v3
	v_mul_lo_u32 v3, v3, s0
	v_sub_u32_e32 v1, v1, v3
	v_mad_u64_u32 v[10:11], s[0:1], v1, s6, v[10:11]
	v_mad_u64_u32 v[14:15], s[0:1], v1, s7, v[14:15]
.LBB5_74:
	s_load_dwordx4 s[0:3], s[4:5], 0x148
	s_load_dwordx2 s[6:7], s[4:5], 0x160
	s_movk_i32 s4, 0xffe0
	s_waitcnt lgkmcnt(0)
	global_load_dwordx2 v[4:5], v4, s[2:3]
	s_waitcnt vmcnt(0)
	v_trunc_f64_e32 v[4:5], v[4:5]
	v_ldexp_f64 v[16:17], v[4:5], s4
	v_floor_f64_e32 v[16:17], v[16:17]
	v_fmac_f64_e32 v[4:5], 0xc1f00000, v[16:17]
	v_cvt_i32_f64_e32 v17, v[16:17]
	v_cvt_u32_f64_e32 v16, v[4:5]
	v_cmp_lt_i64_e32 vcc, -1, v[16:17]
	v_pk_mov_b32 v[4:5], 0, 0
	s_and_saveexec_b64 s[4:5], vcc
	s_cbranch_execz .LBB5_86
; %bb.75:
	v_mov_b32_e32 v4, 0
	v_cmp_lt_i64_e32 vcc, 0, v[16:17]
	v_mov_b32_e32 v5, 0x3ff00000
	s_and_saveexec_b64 s[8:9], vcc
	s_cbranch_execz .LBB5_85
; %bb.76:
	v_cmp_ne_u64_e32 vcc, 1, v[16:17]
                                        ; implicit-def: $vgpr4_vgpr5
	s_and_saveexec_b64 s[10:11], vcc
	s_xor_b64 s[10:11], exec, s[10:11]
	s_cbranch_execz .LBB5_82
; %bb.77:
	s_mov_b64 s[12:13], 0x201
	v_mov_b32_e32 v4, 0
	v_cmp_gt_u64_e32 vcc, s[12:13], v[16:17]
	v_mov_b32_e32 v5, 0x7ff80000
	s_and_saveexec_b64 s[12:13], vcc
	s_cbranch_execz .LBB5_81
; %bb.78:
	v_mov_b32_e32 v18, 0
	s_mov_b64 s[16:17], 1
	s_mov_b64 s[14:15], 0
	v_pk_mov_b32 v[4:5], s[6:7], s[6:7] op_sel:[0,1]
	v_mov_b32_e32 v19, 0x3ff00000
.LBB5_79:                               ; =>This Inner Loop Header: Depth=1
	v_cvt_f64_u32_e32 v[20:21], s17
	v_cvt_f64_u32_e32 v[22:23], s16
	s_add_u32 s16, s16, 1
	v_ldexp_f64 v[20:21], v[20:21], 32
	s_addc_u32 s17, s17, 0
	v_add_f64 v[20:21], v[20:21], v[22:23]
	v_cmp_eq_u64_e32 vcc, s[16:17], v[16:17]
	v_mul_f64 v[20:21], v[18:19], v[20:21]
	s_or_b64 s[14:15], vcc, s[14:15]
	v_pk_mov_b32 v[18:19], v[4:5], v[4:5] op_sel:[0,1]
	v_fma_f64 v[4:5], s[6:7], v[4:5], -v[20:21]
	s_andn2_b64 exec, exec, s[14:15]
	s_cbranch_execnz .LBB5_79
; %bb.80:
	s_or_b64 exec, exec, s[14:15]
.LBB5_81:
	s_or_b64 exec, exec, s[12:13]
.LBB5_82:
	s_andn2_saveexec_b64 s[10:11], s[10:11]
; %bb.83:
	v_pk_mov_b32 v[4:5], s[6:7], s[6:7] op_sel:[0,1]
; %bb.84:
	s_or_b64 exec, exec, s[10:11]
.LBB5_85:
	s_or_b64 exec, exec, s[8:9]
.LBB5_86:
	s_or_b64 exec, exec, s[4:5]
	global_load_dwordx2 v[8:9], v8, s[2:3]
	s_movk_i32 s4, 0xffe0
	s_waitcnt vmcnt(0)
	v_trunc_f64_e32 v[8:9], v[8:9]
	v_ldexp_f64 v[16:17], v[8:9], s4
	v_floor_f64_e32 v[16:17], v[16:17]
	v_fmac_f64_e32 v[8:9], 0xc1f00000, v[16:17]
	v_cvt_i32_f64_e32 v17, v[16:17]
	v_cvt_u32_f64_e32 v16, v[8:9]
	v_cmp_lt_i64_e32 vcc, -1, v[16:17]
	v_pk_mov_b32 v[8:9], 0, 0
	s_and_saveexec_b64 s[4:5], vcc
	s_cbranch_execz .LBB5_98
; %bb.87:
	v_mov_b32_e32 v8, 0
	v_cmp_lt_i64_e32 vcc, 0, v[16:17]
	v_mov_b32_e32 v9, 0x3ff00000
	s_and_saveexec_b64 s[8:9], vcc
	s_cbranch_execz .LBB5_97
; %bb.88:
	v_cmp_ne_u64_e32 vcc, 1, v[16:17]
                                        ; implicit-def: $vgpr8_vgpr9
	s_and_saveexec_b64 s[10:11], vcc
	s_xor_b64 s[10:11], exec, s[10:11]
	s_cbranch_execz .LBB5_94
; %bb.89:
	s_mov_b64 s[12:13], 0x201
	v_mov_b32_e32 v8, 0
	v_cmp_gt_u64_e32 vcc, s[12:13], v[16:17]
	v_mov_b32_e32 v9, 0x7ff80000
	s_and_saveexec_b64 s[12:13], vcc
	s_cbranch_execz .LBB5_93
; %bb.90:
	v_mov_b32_e32 v18, 0
	s_mov_b64 s[16:17], 1
	s_mov_b64 s[14:15], 0
	v_pk_mov_b32 v[8:9], s[6:7], s[6:7] op_sel:[0,1]
	v_mov_b32_e32 v19, 0x3ff00000
.LBB5_91:                               ; =>This Inner Loop Header: Depth=1
	v_cvt_f64_u32_e32 v[20:21], s17
	v_cvt_f64_u32_e32 v[22:23], s16
	s_add_u32 s16, s16, 1
	v_ldexp_f64 v[20:21], v[20:21], 32
	s_addc_u32 s17, s17, 0
	v_add_f64 v[20:21], v[20:21], v[22:23]
	v_cmp_eq_u64_e32 vcc, s[16:17], v[16:17]
	v_mul_f64 v[20:21], v[18:19], v[20:21]
	s_or_b64 s[14:15], vcc, s[14:15]
	v_pk_mov_b32 v[18:19], v[8:9], v[8:9] op_sel:[0,1]
	v_fma_f64 v[8:9], s[6:7], v[8:9], -v[20:21]
	s_andn2_b64 exec, exec, s[14:15]
	s_cbranch_execnz .LBB5_91
; %bb.92:
	s_or_b64 exec, exec, s[14:15]
.LBB5_93:
	s_or_b64 exec, exec, s[12:13]
.LBB5_94:
	s_andn2_saveexec_b64 s[10:11], s[10:11]
; %bb.95:
	v_pk_mov_b32 v[8:9], s[6:7], s[6:7] op_sel:[0,1]
; %bb.96:
	s_or_b64 exec, exec, s[10:11]
.LBB5_97:
	s_or_b64 exec, exec, s[8:9]
.LBB5_98:
	s_or_b64 exec, exec, s[4:5]
	global_load_dwordx2 v[12:13], v12, s[2:3]
	s_movk_i32 s4, 0xffe0
	s_waitcnt vmcnt(0)
	v_trunc_f64_e32 v[12:13], v[12:13]
	v_ldexp_f64 v[16:17], v[12:13], s4
	v_floor_f64_e32 v[16:17], v[16:17]
	v_fmac_f64_e32 v[12:13], 0xc1f00000, v[16:17]
	v_cvt_i32_f64_e32 v17, v[16:17]
	v_cvt_u32_f64_e32 v16, v[12:13]
	v_cmp_lt_i64_e32 vcc, -1, v[16:17]
	v_pk_mov_b32 v[12:13], 0, 0
	s_and_saveexec_b64 s[4:5], vcc
	s_cbranch_execz .LBB5_110
; %bb.99:
	v_mov_b32_e32 v12, 0
	v_cmp_lt_i64_e32 vcc, 0, v[16:17]
	v_mov_b32_e32 v13, 0x3ff00000
	s_and_saveexec_b64 s[8:9], vcc
	s_cbranch_execz .LBB5_109
; %bb.100:
	v_cmp_ne_u64_e32 vcc, 1, v[16:17]
                                        ; implicit-def: $vgpr12_vgpr13
	s_and_saveexec_b64 s[10:11], vcc
	s_xor_b64 s[10:11], exec, s[10:11]
	s_cbranch_execz .LBB5_106
; %bb.101:
	s_mov_b64 s[12:13], 0x201
	v_mov_b32_e32 v12, 0
	v_cmp_gt_u64_e32 vcc, s[12:13], v[16:17]
	v_mov_b32_e32 v13, 0x7ff80000
	s_and_saveexec_b64 s[12:13], vcc
	s_cbranch_execz .LBB5_105
; %bb.102:
	v_mov_b32_e32 v18, 0
	s_mov_b64 s[16:17], 1
	s_mov_b64 s[14:15], 0
	v_pk_mov_b32 v[12:13], s[6:7], s[6:7] op_sel:[0,1]
	v_mov_b32_e32 v19, 0x3ff00000
.LBB5_103:                              ; =>This Inner Loop Header: Depth=1
	v_cvt_f64_u32_e32 v[20:21], s17
	v_cvt_f64_u32_e32 v[22:23], s16
	s_add_u32 s16, s16, 1
	v_ldexp_f64 v[20:21], v[20:21], 32
	s_addc_u32 s17, s17, 0
	v_add_f64 v[20:21], v[20:21], v[22:23]
	v_cmp_eq_u64_e32 vcc, s[16:17], v[16:17]
	v_mul_f64 v[20:21], v[18:19], v[20:21]
	s_or_b64 s[14:15], vcc, s[14:15]
	v_pk_mov_b32 v[18:19], v[12:13], v[12:13] op_sel:[0,1]
	v_fma_f64 v[12:13], s[6:7], v[12:13], -v[20:21]
	s_andn2_b64 exec, exec, s[14:15]
	s_cbranch_execnz .LBB5_103
; %bb.104:
	s_or_b64 exec, exec, s[14:15]
.LBB5_105:
	s_or_b64 exec, exec, s[12:13]
.LBB5_106:
	s_andn2_saveexec_b64 s[10:11], s[10:11]
; %bb.107:
	v_pk_mov_b32 v[12:13], s[6:7], s[6:7] op_sel:[0,1]
; %bb.108:
	s_or_b64 exec, exec, s[10:11]
.LBB5_109:
	s_or_b64 exec, exec, s[8:9]
.LBB5_110:
	s_or_b64 exec, exec, s[4:5]
	global_load_dwordx2 v[14:15], v14, s[2:3]
	s_movk_i32 s2, 0xffe0
	s_waitcnt vmcnt(0)
	v_trunc_f64_e32 v[14:15], v[14:15]
	v_ldexp_f64 v[16:17], v[14:15], s2
	v_floor_f64_e32 v[16:17], v[16:17]
	v_fmac_f64_e32 v[14:15], 0xc1f00000, v[16:17]
	v_cvt_i32_f64_e32 v17, v[16:17]
	v_cvt_u32_f64_e32 v16, v[14:15]
	v_cmp_lt_i64_e32 vcc, -1, v[16:17]
	v_pk_mov_b32 v[14:15], 0, 0
	s_and_saveexec_b64 s[2:3], vcc
	s_cbranch_execz .LBB5_122
; %bb.111:
	v_mov_b32_e32 v14, 0
	v_cmp_lt_i64_e32 vcc, 0, v[16:17]
	v_mov_b32_e32 v15, 0x3ff00000
	s_and_saveexec_b64 s[4:5], vcc
	s_cbranch_execz .LBB5_121
; %bb.112:
	v_cmp_ne_u64_e32 vcc, 1, v[16:17]
                                        ; implicit-def: $vgpr14_vgpr15
	s_and_saveexec_b64 s[8:9], vcc
	s_xor_b64 s[8:9], exec, s[8:9]
	s_cbranch_execz .LBB5_118
; %bb.113:
	s_mov_b64 s[10:11], 0x201
	v_mov_b32_e32 v14, 0
	v_cmp_gt_u64_e32 vcc, s[10:11], v[16:17]
	v_mov_b32_e32 v15, 0x7ff80000
	s_and_saveexec_b64 s[10:11], vcc
	s_cbranch_execz .LBB5_117
; %bb.114:
	v_mov_b32_e32 v18, 0
	s_mov_b64 s[14:15], 1
	s_mov_b64 s[12:13], 0
	v_pk_mov_b32 v[14:15], s[6:7], s[6:7] op_sel:[0,1]
	v_mov_b32_e32 v19, 0x3ff00000
.LBB5_115:                              ; =>This Inner Loop Header: Depth=1
	v_cvt_f64_u32_e32 v[20:21], s15
	v_cvt_f64_u32_e32 v[22:23], s14
	s_add_u32 s14, s14, 1
	v_ldexp_f64 v[20:21], v[20:21], 32
	s_addc_u32 s15, s15, 0
	v_add_f64 v[20:21], v[20:21], v[22:23]
	v_cmp_eq_u64_e32 vcc, s[14:15], v[16:17]
	v_mul_f64 v[20:21], v[18:19], v[20:21]
	s_or_b64 s[12:13], vcc, s[12:13]
	v_pk_mov_b32 v[18:19], v[14:15], v[14:15] op_sel:[0,1]
	v_fma_f64 v[14:15], s[6:7], v[14:15], -v[20:21]
	s_andn2_b64 exec, exec, s[12:13]
	s_cbranch_execnz .LBB5_115
; %bb.116:
	s_or_b64 exec, exec, s[12:13]
.LBB5_117:
	s_or_b64 exec, exec, s[10:11]
.LBB5_118:
	s_andn2_saveexec_b64 s[8:9], s[8:9]
; %bb.119:
	v_pk_mov_b32 v[14:15], s[6:7], s[6:7] op_sel:[0,1]
; %bb.120:
	s_or_b64 exec, exec, s[8:9]
.LBB5_121:
	s_or_b64 exec, exec, s[4:5]
.LBB5_122:
	s_or_b64 exec, exec, s[2:3]
	global_store_dwordx2 v0, v[4:5], s[0:1]
	global_store_dwordx2 v2, v[8:9], s[0:1]
	global_store_dwordx2 v6, v[12:13], s[0:1]
	global_store_dwordx2 v10, v[14:15], s[0:1]
	s_endpgm
.LBB5_123:
	s_mov_b32 s53, s52
	v_pk_mov_b32 v[0:1], s[52:53], s[52:53] op_sel:[0,1]
                                        ; implicit-def: $vgpr2
	v_mov_b32_e32 v3, v10
.LBB5_124:
	s_and_b32 s12, s61, 3
	s_cmp_eq_u32 s12, 0
	s_cbranch_scc1 .LBB5_128
; %bb.125:
	s_lshl_b32 s8, s52, 3
	s_add_u32 s8, s8, s4
	s_addc_u32 s9, s5, 0
	s_add_u32 s8, s8, 0xc4
	s_addc_u32 s9, s9, 0
	s_mul_i32 s10, s52, 12
	s_add_u32 s10, s4, s10
	s_addc_u32 s11, s5, 0
.LBB5_126:                              ; =>This Inner Loop Header: Depth=1
	s_load_dwordx2 s[14:15], s[10:11], 0x4
	s_load_dword s13, s[10:11], 0xc
	s_load_dwordx2 s[16:17], s[8:9], 0x0
	v_mov_b32_e32 v2, v1
	s_add_u32 s10, s10, 12
	s_waitcnt lgkmcnt(0)
	v_mul_hi_u32 v1, s15, v3
	v_add_u32_e32 v1, v3, v1
	v_lshrrev_b32_e32 v1, s13, v1
	s_addc_u32 s11, s11, 0
	v_mul_lo_u32 v4, v1, s14
	s_add_u32 s8, s8, 8
	v_sub_u32_e32 v6, v3, v4
	v_mov_b32_e32 v3, v1
	s_addc_u32 s9, s9, 0
	s_add_i32 s12, s12, -1
	v_mad_u64_u32 v[4:5], s[14:15], v6, s17, v[2:3]
	v_mad_u64_u32 v[0:1], s[14:15], v6, s16, v[0:1]
	s_cmp_lg_u32 s12, 0
	v_mov_b32_e32 v1, v4
	s_cbranch_scc1 .LBB5_126
; %bb.127:
	v_mov_b32_e32 v2, v1
.LBB5_128:
	s_cbranch_execnz .LBB5_131
.LBB5_129:
	s_waitcnt lgkmcnt(0)
	v_mul_hi_u32 v0, s29, v10
	v_add_u32_e32 v0, v10, v0
	v_lshrrev_b32_e32 v1, s30, v0
	v_mul_lo_u32 v0, v1, s28
	v_sub_u32_e32 v0, v10, v0
	v_mul_lo_u32 v2, v0, s25
	s_andn2_b64 vcc, exec, s[44:45]
	v_mul_lo_u32 v0, v0, s24
	s_cbranch_vccnz .LBB5_131
; %bb.130:
	v_mul_hi_u32 v3, s42, v1
	v_add_u32_e32 v3, v1, v3
	v_lshrrev_b32_e32 v3, s43, v3
	v_mul_lo_u32 v3, v3, s31
	v_sub_u32_e32 v3, v1, v3
	v_mad_u64_u32 v[0:1], s[8:9], v3, s26, v[0:1]
	v_mad_u64_u32 v[2:3], s[8:9], v3, s27, v[2:3]
.LBB5_131:
	s_waitcnt lgkmcnt(0)
	global_load_dwordx2 v[2:3], v2, s[2:3]
	s_movk_i32 s8, 0xffe0
	s_waitcnt vmcnt(0)
	v_trunc_f64_e32 v[4:5], v[2:3]
	v_ldexp_f64 v[2:3], v[4:5], s8
	v_floor_f64_e32 v[2:3], v[2:3]
	v_fmac_f64_e32 v[4:5], 0xc1f00000, v[2:3]
	v_cvt_i32_f64_e32 v3, v[2:3]
	v_cvt_u32_f64_e32 v2, v[4:5]
	v_cmp_lt_i64_e32 vcc, -1, v[2:3]
	v_pk_mov_b32 v[4:5], 0, 0
	s_and_saveexec_b64 s[8:9], vcc
	s_cbranch_execz .LBB5_143
; %bb.132:
	v_mov_b32_e32 v4, 0
	v_cmp_lt_i64_e32 vcc, 0, v[2:3]
	v_mov_b32_e32 v5, 0x3ff00000
	s_and_saveexec_b64 s[10:11], vcc
	s_cbranch_execz .LBB5_142
; %bb.133:
	v_cmp_ne_u64_e32 vcc, 1, v[2:3]
                                        ; implicit-def: $vgpr4_vgpr5
	s_and_saveexec_b64 s[12:13], vcc
	s_xor_b64 s[12:13], exec, s[12:13]
	s_cbranch_execz .LBB5_139
; %bb.134:
	s_mov_b64 s[14:15], 0x201
	v_mov_b32_e32 v4, 0
	v_cmp_gt_u64_e32 vcc, s[14:15], v[2:3]
	v_mov_b32_e32 v5, 0x7ff80000
	s_and_saveexec_b64 s[14:15], vcc
	s_cbranch_execz .LBB5_138
; %bb.135:
	v_mov_b32_e32 v6, 0
	s_mov_b64 s[18:19], 1
	s_mov_b64 s[16:17], 0
	v_pk_mov_b32 v[4:5], s[40:41], s[40:41] op_sel:[0,1]
	v_mov_b32_e32 v7, 0x3ff00000
.LBB5_136:                              ; =>This Inner Loop Header: Depth=1
	v_cvt_f64_u32_e32 v[8:9], s19
	v_cvt_f64_u32_e32 v[12:13], s18
	s_add_u32 s18, s18, 1
	v_ldexp_f64 v[8:9], v[8:9], 32
	s_addc_u32 s19, s19, 0
	v_add_f64 v[8:9], v[8:9], v[12:13]
	v_cmp_eq_u64_e32 vcc, s[18:19], v[2:3]
	v_mul_f64 v[8:9], v[6:7], v[8:9]
	s_or_b64 s[16:17], vcc, s[16:17]
	v_pk_mov_b32 v[6:7], v[4:5], v[4:5] op_sel:[0,1]
	v_fma_f64 v[4:5], s[40:41], v[4:5], -v[8:9]
	s_andn2_b64 exec, exec, s[16:17]
	s_cbranch_execnz .LBB5_136
; %bb.137:
	s_or_b64 exec, exec, s[16:17]
.LBB5_138:
	s_or_b64 exec, exec, s[14:15]
.LBB5_139:
	s_andn2_saveexec_b64 s[12:13], s[12:13]
; %bb.140:
	v_pk_mov_b32 v[4:5], s[40:41], s[40:41] op_sel:[0,1]
; %bb.141:
	s_or_b64 exec, exec, s[12:13]
.LBB5_142:
	s_or_b64 exec, exec, s[10:11]
.LBB5_143:
	s_or_b64 exec, exec, s[8:9]
	v_add_u32_e32 v10, 0x80, v10
	global_store_dwordx2 v0, v[4:5], s[0:1]
	s_or_b64 exec, exec, s[50:51]
	v_cmp_gt_i32_e32 vcc, s59, v10
	s_and_saveexec_b64 s[50:51], vcc
	s_cbranch_execnz .LBB5_17
.LBB5_144:
	s_or_b64 exec, exec, s[50:51]
	v_cmp_gt_i32_e32 vcc, s59, v10
	s_and_saveexec_b64 s[50:51], vcc
	s_cbranch_execz .LBB5_173
.LBB5_145:
	s_andn2_b64 vcc, exec, s[6:7]
	s_cbranch_vccnz .LBB5_151
; %bb.146:
	s_mov_b32 s52, 0
	s_andn2_b64 vcc, exec, s[48:49]
	v_mov_b32_e32 v2, 0
	v_mov_b32_e32 v0, 0
	s_cbranch_vccnz .LBB5_181
; %bb.147:
	s_add_i32 s61, s60, 1
	s_cmp_eq_u32 s58, 2
	s_cbranch_scc1 .LBB5_176
; %bb.148:
	s_and_b32 s52, s61, 28
	s_mov_b32 s53, 0
	v_mov_b32_e32 v0, 0
	s_mov_b64 s[54:55], s[4:5]
	s_mov_b64 s[56:57], s[46:47]
	v_mov_b32_e32 v3, v10
	v_mov_b32_e32 v2, 0
.LBB5_149:                              ; =>This Inner Loop Header: Depth=1
	s_load_dwordx8 s[16:23], s[54:55], 0x4
	s_load_dwordx4 s[36:39], s[54:55], 0x24
	s_load_dwordx8 s[8:15], s[56:57], 0x0
	s_add_u32 s54, s54, 48
	s_addc_u32 s55, s55, 0
	s_waitcnt lgkmcnt(0)
	v_mul_hi_u32 v1, s17, v3
	v_add_u32_e32 v1, v3, v1
	v_lshrrev_b32_e32 v1, s18, v1
	v_mul_lo_u32 v4, v1, s16
	v_mul_hi_u32 v5, s20, v1
	v_sub_u32_e32 v3, v3, v4
	v_add_u32_e32 v4, v1, v5
	v_lshrrev_b32_e32 v4, s21, v4
	v_mul_lo_u32 v6, v4, s19
	v_mul_hi_u32 v7, s23, v4
	v_sub_u32_e32 v1, v1, v6
	v_add_u32_e32 v6, v4, v7
	v_mul_lo_u32 v5, v3, s9
	v_mul_lo_u32 v3, v3, s8
	v_mul_lo_u32 v7, v1, s11
	v_mul_lo_u32 v1, v1, s10
	v_lshrrev_b32_e32 v6, s36, v6
	v_add3_u32 v0, v3, v0, v1
	v_mul_hi_u32 v3, s38, v6
	v_add_u32_e32 v3, v6, v3
	v_lshrrev_b32_e32 v3, s39, v3
	s_add_i32 s53, s53, 4
	v_add3_u32 v1, v5, v2, v7
	v_mul_lo_u32 v2, v6, s22
	v_mul_lo_u32 v5, v3, s37
	s_add_u32 s56, s56, 32
	v_sub_u32_e32 v2, v4, v2
	v_sub_u32_e32 v5, v6, v5
	s_addc_u32 s57, s57, 0
	v_mul_lo_u32 v4, v2, s12
	v_mul_lo_u32 v2, v2, s13
	;; [unrolled: 1-line block ×4, first 2 shown]
	s_cmp_eq_u32 s52, s53
	v_add3_u32 v2, v2, v1, v5
	v_add3_u32 v0, v4, v0, v6
	s_cbranch_scc0 .LBB5_149
; %bb.150:
	v_mov_b32_e32 v1, v2
	s_branch .LBB5_177
.LBB5_151:
                                        ; implicit-def: $vgpr2
                                        ; implicit-def: $vgpr0
	s_branch .LBB5_182
.LBB5_152:
	s_mov_b32 s53, s52
	v_pk_mov_b32 v[0:1], s[52:53], s[52:53] op_sel:[0,1]
                                        ; implicit-def: $vgpr2
	v_mov_b32_e32 v3, v10
.LBB5_153:
	s_and_b32 s12, s61, 3
	s_cmp_eq_u32 s12, 0
	s_cbranch_scc1 .LBB5_157
; %bb.154:
	s_lshl_b32 s8, s52, 3
	s_add_u32 s8, s8, s4
	s_addc_u32 s9, s5, 0
	s_add_u32 s8, s8, 0xc4
	s_addc_u32 s9, s9, 0
	s_mul_i32 s10, s52, 12
	s_add_u32 s10, s4, s10
	s_addc_u32 s11, s5, 0
.LBB5_155:                              ; =>This Inner Loop Header: Depth=1
	s_load_dwordx2 s[14:15], s[10:11], 0x4
	s_load_dword s13, s[10:11], 0xc
	s_load_dwordx2 s[16:17], s[8:9], 0x0
	v_mov_b32_e32 v2, v1
	s_add_u32 s10, s10, 12
	s_waitcnt lgkmcnt(0)
	v_mul_hi_u32 v1, s15, v3
	v_add_u32_e32 v1, v3, v1
	v_lshrrev_b32_e32 v1, s13, v1
	s_addc_u32 s11, s11, 0
	v_mul_lo_u32 v4, v1, s14
	s_add_u32 s8, s8, 8
	v_sub_u32_e32 v6, v3, v4
	v_mov_b32_e32 v3, v1
	s_addc_u32 s9, s9, 0
	s_add_i32 s12, s12, -1
	v_mad_u64_u32 v[4:5], s[14:15], v6, s17, v[2:3]
	v_mad_u64_u32 v[0:1], s[14:15], v6, s16, v[0:1]
	s_cmp_lg_u32 s12, 0
	v_mov_b32_e32 v1, v4
	s_cbranch_scc1 .LBB5_155
; %bb.156:
	v_mov_b32_e32 v2, v1
.LBB5_157:
	s_cbranch_execnz .LBB5_160
.LBB5_158:
	s_waitcnt lgkmcnt(0)
	v_mul_hi_u32 v0, s29, v10
	v_add_u32_e32 v0, v10, v0
	v_lshrrev_b32_e32 v1, s30, v0
	v_mul_lo_u32 v0, v1, s28
	v_sub_u32_e32 v0, v10, v0
	v_mul_lo_u32 v2, v0, s25
	s_andn2_b64 vcc, exec, s[44:45]
	v_mul_lo_u32 v0, v0, s24
	s_cbranch_vccnz .LBB5_160
; %bb.159:
	v_mul_hi_u32 v3, s42, v1
	v_add_u32_e32 v3, v1, v3
	v_lshrrev_b32_e32 v3, s43, v3
	v_mul_lo_u32 v3, v3, s31
	v_sub_u32_e32 v3, v1, v3
	v_mad_u64_u32 v[0:1], s[8:9], v3, s26, v[0:1]
	v_mad_u64_u32 v[2:3], s[8:9], v3, s27, v[2:3]
.LBB5_160:
	s_waitcnt lgkmcnt(0)
	global_load_dwordx2 v[2:3], v2, s[2:3]
	s_movk_i32 s8, 0xffe0
	s_waitcnt vmcnt(0)
	v_trunc_f64_e32 v[4:5], v[2:3]
	v_ldexp_f64 v[2:3], v[4:5], s8
	v_floor_f64_e32 v[2:3], v[2:3]
	v_fmac_f64_e32 v[4:5], 0xc1f00000, v[2:3]
	v_cvt_i32_f64_e32 v3, v[2:3]
	v_cvt_u32_f64_e32 v2, v[4:5]
	v_cmp_lt_i64_e32 vcc, -1, v[2:3]
	v_pk_mov_b32 v[4:5], 0, 0
	s_and_saveexec_b64 s[8:9], vcc
	s_cbranch_execz .LBB5_172
; %bb.161:
	v_mov_b32_e32 v4, 0
	v_cmp_lt_i64_e32 vcc, 0, v[2:3]
	v_mov_b32_e32 v5, 0x3ff00000
	s_and_saveexec_b64 s[10:11], vcc
	s_cbranch_execz .LBB5_171
; %bb.162:
	v_cmp_ne_u64_e32 vcc, 1, v[2:3]
                                        ; implicit-def: $vgpr4_vgpr5
	s_and_saveexec_b64 s[12:13], vcc
	s_xor_b64 s[12:13], exec, s[12:13]
	s_cbranch_execz .LBB5_168
; %bb.163:
	s_mov_b64 s[14:15], 0x201
	v_mov_b32_e32 v4, 0
	v_cmp_gt_u64_e32 vcc, s[14:15], v[2:3]
	v_mov_b32_e32 v5, 0x7ff80000
	s_and_saveexec_b64 s[14:15], vcc
	s_cbranch_execz .LBB5_167
; %bb.164:
	v_mov_b32_e32 v6, 0
	s_mov_b64 s[18:19], 1
	s_mov_b64 s[16:17], 0
	v_pk_mov_b32 v[4:5], s[40:41], s[40:41] op_sel:[0,1]
	v_mov_b32_e32 v7, 0x3ff00000
.LBB5_165:                              ; =>This Inner Loop Header: Depth=1
	v_cvt_f64_u32_e32 v[8:9], s19
	v_cvt_f64_u32_e32 v[12:13], s18
	s_add_u32 s18, s18, 1
	v_ldexp_f64 v[8:9], v[8:9], 32
	s_addc_u32 s19, s19, 0
	v_add_f64 v[8:9], v[8:9], v[12:13]
	v_cmp_eq_u64_e32 vcc, s[18:19], v[2:3]
	v_mul_f64 v[8:9], v[6:7], v[8:9]
	s_or_b64 s[16:17], vcc, s[16:17]
	v_pk_mov_b32 v[6:7], v[4:5], v[4:5] op_sel:[0,1]
	v_fma_f64 v[4:5], s[40:41], v[4:5], -v[8:9]
	s_andn2_b64 exec, exec, s[16:17]
	s_cbranch_execnz .LBB5_165
; %bb.166:
	s_or_b64 exec, exec, s[16:17]
.LBB5_167:
	s_or_b64 exec, exec, s[14:15]
.LBB5_168:
	s_andn2_saveexec_b64 s[12:13], s[12:13]
; %bb.169:
	v_pk_mov_b32 v[4:5], s[40:41], s[40:41] op_sel:[0,1]
; %bb.170:
	s_or_b64 exec, exec, s[12:13]
.LBB5_171:
	s_or_b64 exec, exec, s[10:11]
.LBB5_172:
	s_or_b64 exec, exec, s[8:9]
	v_add_u32_e32 v10, 0x80, v10
	global_store_dwordx2 v0, v[4:5], s[0:1]
	s_or_b64 exec, exec, s[50:51]
	v_cmp_gt_i32_e32 vcc, s59, v10
	s_and_saveexec_b64 s[50:51], vcc
	s_cbranch_execnz .LBB5_145
.LBB5_173:
	s_or_b64 exec, exec, s[50:51]
	v_cmp_gt_i32_e32 vcc, s59, v10
	s_and_saveexec_b64 s[50:51], vcc
	s_cbranch_execnz .LBB5_197
.LBB5_174:
	s_or_b64 exec, exec, s[50:51]
                                        ; implicit-def: $vgpr15
                                        ; implicit-def: $vgpr10
	s_waitcnt lgkmcnt(0)
	s_andn2_saveexec_b64 s[0:1], s[34:35]
	s_cbranch_execnz .LBB5_9
.LBB5_175:
	s_endpgm
.LBB5_176:
	s_mov_b32 s53, s52
	v_pk_mov_b32 v[0:1], s[52:53], s[52:53] op_sel:[0,1]
                                        ; implicit-def: $vgpr2
	v_mov_b32_e32 v3, v10
.LBB5_177:
	s_and_b32 s12, s61, 3
	s_cmp_eq_u32 s12, 0
	s_cbranch_scc1 .LBB5_181
; %bb.178:
	s_lshl_b32 s8, s52, 3
	s_add_u32 s8, s8, s4
	s_addc_u32 s9, s5, 0
	s_add_u32 s8, s8, 0xc4
	s_addc_u32 s9, s9, 0
	s_mul_i32 s10, s52, 12
	s_add_u32 s10, s4, s10
	s_addc_u32 s11, s5, 0
.LBB5_179:                              ; =>This Inner Loop Header: Depth=1
	s_load_dwordx2 s[14:15], s[10:11], 0x4
	s_load_dword s13, s[10:11], 0xc
	s_load_dwordx2 s[16:17], s[8:9], 0x0
	v_mov_b32_e32 v2, v1
	s_add_u32 s10, s10, 12
	s_waitcnt lgkmcnt(0)
	v_mul_hi_u32 v1, s15, v3
	v_add_u32_e32 v1, v3, v1
	v_lshrrev_b32_e32 v1, s13, v1
	s_addc_u32 s11, s11, 0
	v_mul_lo_u32 v4, v1, s14
	s_add_u32 s8, s8, 8
	v_sub_u32_e32 v6, v3, v4
	v_mov_b32_e32 v3, v1
	s_addc_u32 s9, s9, 0
	s_add_i32 s12, s12, -1
	v_mad_u64_u32 v[4:5], s[14:15], v6, s17, v[2:3]
	v_mad_u64_u32 v[0:1], s[14:15], v6, s16, v[0:1]
	s_cmp_lg_u32 s12, 0
	v_mov_b32_e32 v1, v4
	s_cbranch_scc1 .LBB5_179
; %bb.180:
	v_mov_b32_e32 v2, v1
.LBB5_181:
	s_cbranch_execnz .LBB5_184
.LBB5_182:
	s_waitcnt lgkmcnt(0)
	v_mul_hi_u32 v0, s29, v10
	v_add_u32_e32 v0, v10, v0
	v_lshrrev_b32_e32 v1, s30, v0
	v_mul_lo_u32 v0, v1, s28
	v_sub_u32_e32 v0, v10, v0
	v_mul_lo_u32 v2, v0, s25
	s_andn2_b64 vcc, exec, s[44:45]
	v_mul_lo_u32 v0, v0, s24
	s_cbranch_vccnz .LBB5_184
; %bb.183:
	v_mul_hi_u32 v3, s42, v1
	v_add_u32_e32 v3, v1, v3
	v_lshrrev_b32_e32 v3, s43, v3
	v_mul_lo_u32 v3, v3, s31
	v_sub_u32_e32 v3, v1, v3
	v_mad_u64_u32 v[0:1], s[8:9], v3, s26, v[0:1]
	v_mad_u64_u32 v[2:3], s[8:9], v3, s27, v[2:3]
.LBB5_184:
	s_waitcnt lgkmcnt(0)
	global_load_dwordx2 v[2:3], v2, s[2:3]
	s_movk_i32 s8, 0xffe0
	s_waitcnt vmcnt(0)
	v_trunc_f64_e32 v[4:5], v[2:3]
	v_ldexp_f64 v[2:3], v[4:5], s8
	v_floor_f64_e32 v[2:3], v[2:3]
	v_fmac_f64_e32 v[4:5], 0xc1f00000, v[2:3]
	v_cvt_i32_f64_e32 v3, v[2:3]
	v_cvt_u32_f64_e32 v2, v[4:5]
	v_cmp_lt_i64_e32 vcc, -1, v[2:3]
	v_pk_mov_b32 v[4:5], 0, 0
	s_and_saveexec_b64 s[8:9], vcc
	s_cbranch_execz .LBB5_196
; %bb.185:
	v_mov_b32_e32 v4, 0
	v_cmp_lt_i64_e32 vcc, 0, v[2:3]
	v_mov_b32_e32 v5, 0x3ff00000
	s_and_saveexec_b64 s[10:11], vcc
	s_cbranch_execz .LBB5_195
; %bb.186:
	v_cmp_ne_u64_e32 vcc, 1, v[2:3]
                                        ; implicit-def: $vgpr4_vgpr5
	s_and_saveexec_b64 s[12:13], vcc
	s_xor_b64 s[12:13], exec, s[12:13]
	s_cbranch_execz .LBB5_192
; %bb.187:
	s_mov_b64 s[14:15], 0x201
	v_mov_b32_e32 v4, 0
	v_cmp_gt_u64_e32 vcc, s[14:15], v[2:3]
	v_mov_b32_e32 v5, 0x7ff80000
	s_and_saveexec_b64 s[14:15], vcc
	s_cbranch_execz .LBB5_191
; %bb.188:
	v_mov_b32_e32 v6, 0
	s_mov_b64 s[18:19], 1
	s_mov_b64 s[16:17], 0
	v_pk_mov_b32 v[4:5], s[40:41], s[40:41] op_sel:[0,1]
	v_mov_b32_e32 v7, 0x3ff00000
.LBB5_189:                              ; =>This Inner Loop Header: Depth=1
	v_cvt_f64_u32_e32 v[8:9], s19
	v_cvt_f64_u32_e32 v[12:13], s18
	s_add_u32 s18, s18, 1
	v_ldexp_f64 v[8:9], v[8:9], 32
	s_addc_u32 s19, s19, 0
	v_add_f64 v[8:9], v[8:9], v[12:13]
	v_cmp_eq_u64_e32 vcc, s[18:19], v[2:3]
	v_mul_f64 v[8:9], v[6:7], v[8:9]
	s_or_b64 s[16:17], vcc, s[16:17]
	v_pk_mov_b32 v[6:7], v[4:5], v[4:5] op_sel:[0,1]
	v_fma_f64 v[4:5], s[40:41], v[4:5], -v[8:9]
	s_andn2_b64 exec, exec, s[16:17]
	s_cbranch_execnz .LBB5_189
; %bb.190:
	s_or_b64 exec, exec, s[16:17]
.LBB5_191:
	s_or_b64 exec, exec, s[14:15]
.LBB5_192:
	s_andn2_saveexec_b64 s[12:13], s[12:13]
; %bb.193:
	v_pk_mov_b32 v[4:5], s[40:41], s[40:41] op_sel:[0,1]
; %bb.194:
	s_or_b64 exec, exec, s[12:13]
.LBB5_195:
	s_or_b64 exec, exec, s[10:11]
.LBB5_196:
	s_or_b64 exec, exec, s[8:9]
	v_add_u32_e32 v10, 0x80, v10
	global_store_dwordx2 v0, v[4:5], s[0:1]
	s_or_b64 exec, exec, s[50:51]
	v_cmp_gt_i32_e32 vcc, s59, v10
	s_and_saveexec_b64 s[50:51], vcc
	s_cbranch_execz .LBB5_174
.LBB5_197:
	s_andn2_b64 vcc, exec, s[6:7]
	s_cbranch_vccnz .LBB5_203
; %bb.198:
	s_mov_b32 s52, 0
	s_andn2_b64 vcc, exec, s[48:49]
	v_mov_b32_e32 v2, 0
	v_mov_b32_e32 v0, 0
	s_cbranch_vccnz .LBB5_209
; %bb.199:
	s_add_i32 s60, s60, 1
	s_cmp_eq_u32 s58, 2
	s_cbranch_scc1 .LBB5_204
; %bb.200:
	s_and_b32 s52, s60, 28
	s_mov_b32 s53, 0
	v_mov_b32_e32 v0, 0
	s_mov_b64 s[48:49], s[4:5]
	v_mov_b32_e32 v3, v10
	v_mov_b32_e32 v2, 0
.LBB5_201:                              ; =>This Inner Loop Header: Depth=1
	s_load_dwordx8 s[16:23], s[48:49], 0x4
	s_load_dwordx4 s[36:39], s[48:49], 0x24
	s_load_dwordx8 s[8:15], s[46:47], 0x0
	s_add_u32 s48, s48, 48
	s_addc_u32 s49, s49, 0
	s_waitcnt lgkmcnt(0)
	v_mul_hi_u32 v1, s17, v3
	v_add_u32_e32 v1, v3, v1
	v_lshrrev_b32_e32 v1, s18, v1
	v_mul_lo_u32 v4, v1, s16
	v_mul_hi_u32 v5, s20, v1
	v_sub_u32_e32 v3, v3, v4
	v_add_u32_e32 v4, v1, v5
	v_lshrrev_b32_e32 v4, s21, v4
	v_mul_lo_u32 v6, v4, s19
	v_mul_hi_u32 v7, s23, v4
	v_sub_u32_e32 v1, v1, v6
	v_add_u32_e32 v6, v4, v7
	v_mul_lo_u32 v5, v3, s9
	v_mul_lo_u32 v3, v3, s8
	;; [unrolled: 1-line block ×4, first 2 shown]
	v_lshrrev_b32_e32 v6, s36, v6
	v_add3_u32 v0, v3, v0, v1
	v_mul_hi_u32 v3, s38, v6
	v_add_u32_e32 v3, v6, v3
	v_lshrrev_b32_e32 v3, s39, v3
	s_add_i32 s53, s53, 4
	v_add3_u32 v1, v5, v2, v7
	v_mul_lo_u32 v2, v6, s22
	v_mul_lo_u32 v5, v3, s37
	s_add_u32 s46, s46, 32
	v_sub_u32_e32 v2, v4, v2
	v_sub_u32_e32 v5, v6, v5
	s_addc_u32 s47, s47, 0
	v_mul_lo_u32 v4, v2, s12
	v_mul_lo_u32 v2, v2, s13
	;; [unrolled: 1-line block ×4, first 2 shown]
	s_cmp_eq_u32 s52, s53
	v_add3_u32 v2, v2, v1, v5
	v_add3_u32 v0, v4, v0, v6
	s_cbranch_scc0 .LBB5_201
; %bb.202:
	v_mov_b32_e32 v1, v2
	s_branch .LBB5_205
.LBB5_203:
                                        ; implicit-def: $vgpr2
                                        ; implicit-def: $vgpr0
	s_branch .LBB5_210
.LBB5_204:
	s_mov_b32 s53, s52
	v_pk_mov_b32 v[0:1], s[52:53], s[52:53] op_sel:[0,1]
                                        ; implicit-def: $vgpr2
	v_mov_b32_e32 v3, v10
.LBB5_205:
	s_and_b32 s12, s60, 3
	s_cmp_eq_u32 s12, 0
	s_cbranch_scc1 .LBB5_209
; %bb.206:
	s_lshl_b32 s8, s52, 3
	s_add_u32 s8, s8, s4
	s_addc_u32 s9, s5, 0
	s_add_u32 s8, s8, 0xc4
	s_addc_u32 s9, s9, 0
	s_mul_i32 s10, s52, 12
	s_add_u32 s10, s4, s10
	s_addc_u32 s11, s5, 0
.LBB5_207:                              ; =>This Inner Loop Header: Depth=1
	s_load_dwordx2 s[14:15], s[10:11], 0x4
	s_load_dword s13, s[10:11], 0xc
	s_load_dwordx2 s[16:17], s[8:9], 0x0
	v_mov_b32_e32 v2, v1
	s_add_u32 s10, s10, 12
	s_waitcnt lgkmcnt(0)
	v_mul_hi_u32 v1, s15, v3
	v_add_u32_e32 v1, v3, v1
	v_lshrrev_b32_e32 v1, s13, v1
	s_addc_u32 s11, s11, 0
	v_mul_lo_u32 v4, v1, s14
	s_add_u32 s8, s8, 8
	v_sub_u32_e32 v6, v3, v4
	v_mov_b32_e32 v3, v1
	s_addc_u32 s9, s9, 0
	s_add_i32 s12, s12, -1
	v_mad_u64_u32 v[4:5], s[14:15], v6, s17, v[2:3]
	v_mad_u64_u32 v[0:1], s[14:15], v6, s16, v[0:1]
	s_cmp_lg_u32 s12, 0
	v_mov_b32_e32 v1, v4
	s_cbranch_scc1 .LBB5_207
; %bb.208:
	v_mov_b32_e32 v2, v1
.LBB5_209:
	s_cbranch_execnz .LBB5_212
.LBB5_210:
	s_waitcnt lgkmcnt(0)
	v_mul_hi_u32 v0, s29, v10
	v_add_u32_e32 v0, v10, v0
	v_lshrrev_b32_e32 v1, s30, v0
	v_mul_lo_u32 v0, v1, s28
	v_sub_u32_e32 v0, v10, v0
	v_mul_lo_u32 v2, v0, s25
	s_andn2_b64 vcc, exec, s[44:45]
	v_mul_lo_u32 v0, v0, s24
	s_cbranch_vccnz .LBB5_212
; %bb.211:
	v_mul_hi_u32 v3, s42, v1
	v_add_u32_e32 v3, v1, v3
	v_lshrrev_b32_e32 v3, s43, v3
	v_mul_lo_u32 v3, v3, s31
	v_sub_u32_e32 v3, v1, v3
	v_mad_u64_u32 v[0:1], s[8:9], v3, s26, v[0:1]
	v_mad_u64_u32 v[2:3], s[8:9], v3, s27, v[2:3]
.LBB5_212:
	s_waitcnt lgkmcnt(0)
	global_load_dwordx2 v[2:3], v2, s[2:3]
	s_movk_i32 s2, 0xffe0
	s_waitcnt vmcnt(0)
	v_trunc_f64_e32 v[4:5], v[2:3]
	v_ldexp_f64 v[2:3], v[4:5], s2
	v_floor_f64_e32 v[2:3], v[2:3]
	v_fmac_f64_e32 v[4:5], 0xc1f00000, v[2:3]
	v_cvt_i32_f64_e32 v3, v[2:3]
	v_cvt_u32_f64_e32 v2, v[4:5]
	v_cmp_lt_i64_e32 vcc, -1, v[2:3]
	v_pk_mov_b32 v[4:5], 0, 0
	s_and_saveexec_b64 s[2:3], vcc
	s_cbranch_execz .LBB5_224
; %bb.213:
	v_mov_b32_e32 v4, 0
	v_cmp_lt_i64_e32 vcc, 0, v[2:3]
	v_mov_b32_e32 v5, 0x3ff00000
	s_and_saveexec_b64 s[8:9], vcc
	s_cbranch_execz .LBB5_223
; %bb.214:
	v_cmp_ne_u64_e32 vcc, 1, v[2:3]
                                        ; implicit-def: $vgpr4_vgpr5
	s_and_saveexec_b64 s[10:11], vcc
	s_xor_b64 s[10:11], exec, s[10:11]
	s_cbranch_execz .LBB5_220
; %bb.215:
	s_mov_b64 s[12:13], 0x201
	v_mov_b32_e32 v4, 0
	v_cmp_gt_u64_e32 vcc, s[12:13], v[2:3]
	v_mov_b32_e32 v5, 0x7ff80000
	s_and_saveexec_b64 s[12:13], vcc
	s_cbranch_execz .LBB5_219
; %bb.216:
	v_mov_b32_e32 v6, 0
	s_mov_b64 s[16:17], 1
	s_mov_b64 s[14:15], 0
	v_pk_mov_b32 v[4:5], s[40:41], s[40:41] op_sel:[0,1]
	v_mov_b32_e32 v7, 0x3ff00000
.LBB5_217:                              ; =>This Inner Loop Header: Depth=1
	v_cvt_f64_u32_e32 v[8:9], s17
	v_cvt_f64_u32_e32 v[10:11], s16
	s_add_u32 s16, s16, 1
	v_ldexp_f64 v[8:9], v[8:9], 32
	s_addc_u32 s17, s17, 0
	v_add_f64 v[8:9], v[8:9], v[10:11]
	v_cmp_eq_u64_e32 vcc, s[16:17], v[2:3]
	v_mul_f64 v[8:9], v[6:7], v[8:9]
	s_or_b64 s[14:15], vcc, s[14:15]
	v_pk_mov_b32 v[6:7], v[4:5], v[4:5] op_sel:[0,1]
	v_fma_f64 v[4:5], s[40:41], v[4:5], -v[8:9]
	s_andn2_b64 exec, exec, s[14:15]
	s_cbranch_execnz .LBB5_217
; %bb.218:
	s_or_b64 exec, exec, s[14:15]
.LBB5_219:
	s_or_b64 exec, exec, s[12:13]
.LBB5_220:
	s_andn2_saveexec_b64 s[10:11], s[10:11]
; %bb.221:
	v_pk_mov_b32 v[4:5], s[40:41], s[40:41] op_sel:[0,1]
; %bb.222:
	s_or_b64 exec, exec, s[10:11]
.LBB5_223:
	s_or_b64 exec, exec, s[8:9]
.LBB5_224:
	s_or_b64 exec, exec, s[2:3]
	global_store_dwordx2 v0, v[4:5], s[0:1]
	s_or_b64 exec, exec, s[50:51]
                                        ; implicit-def: $vgpr15
                                        ; implicit-def: $vgpr10
	s_andn2_saveexec_b64 s[0:1], s[34:35]
	s_cbranch_execz .LBB5_175
	s_branch .LBB5_9
	.section	.rodata,"a",@progbits
	.p2align	6, 0x0
	.amdhsa_kernel _ZN2at6native32elementwise_kernel_manual_unrollILi128ELi4EZNS0_22gpu_kernel_impl_nocastINS0_13AUnaryFunctorIdddZZZNS0_12_GLOBAL__N_133hermite_polynomial_he_kernel_cudaERNS_18TensorIteratorBaseEENKUlvE_clEvENKUlvE_clEvEUlddE_EEEEvS6_RKT_EUlibE_EEviT1_
		.amdhsa_group_segment_fixed_size 0
		.amdhsa_private_segment_fixed_size 0
		.amdhsa_kernarg_size 368
		.amdhsa_user_sgpr_count 6
		.amdhsa_user_sgpr_private_segment_buffer 1
		.amdhsa_user_sgpr_dispatch_ptr 0
		.amdhsa_user_sgpr_queue_ptr 0
		.amdhsa_user_sgpr_kernarg_segment_ptr 1
		.amdhsa_user_sgpr_dispatch_id 0
		.amdhsa_user_sgpr_flat_scratch_init 0
		.amdhsa_user_sgpr_kernarg_preload_length 0
		.amdhsa_user_sgpr_kernarg_preload_offset 0
		.amdhsa_user_sgpr_private_segment_size 0
		.amdhsa_uses_dynamic_stack 0
		.amdhsa_system_sgpr_private_segment_wavefront_offset 0
		.amdhsa_system_sgpr_workgroup_id_x 1
		.amdhsa_system_sgpr_workgroup_id_y 0
		.amdhsa_system_sgpr_workgroup_id_z 0
		.amdhsa_system_sgpr_workgroup_info 0
		.amdhsa_system_vgpr_workitem_id 0
		.amdhsa_next_free_vgpr 24
		.amdhsa_next_free_sgpr 62
		.amdhsa_accum_offset 24
		.amdhsa_reserve_vcc 1
		.amdhsa_reserve_flat_scratch 0
		.amdhsa_float_round_mode_32 0
		.amdhsa_float_round_mode_16_64 0
		.amdhsa_float_denorm_mode_32 3
		.amdhsa_float_denorm_mode_16_64 3
		.amdhsa_dx10_clamp 1
		.amdhsa_ieee_mode 1
		.amdhsa_fp16_overflow 0
		.amdhsa_tg_split 0
		.amdhsa_exception_fp_ieee_invalid_op 0
		.amdhsa_exception_fp_denorm_src 0
		.amdhsa_exception_fp_ieee_div_zero 0
		.amdhsa_exception_fp_ieee_overflow 0
		.amdhsa_exception_fp_ieee_underflow 0
		.amdhsa_exception_fp_ieee_inexact 0
		.amdhsa_exception_int_div_zero 0
	.end_amdhsa_kernel
	.section	.text._ZN2at6native32elementwise_kernel_manual_unrollILi128ELi4EZNS0_22gpu_kernel_impl_nocastINS0_13AUnaryFunctorIdddZZZNS0_12_GLOBAL__N_133hermite_polynomial_he_kernel_cudaERNS_18TensorIteratorBaseEENKUlvE_clEvENKUlvE_clEvEUlddE_EEEEvS6_RKT_EUlibE_EEviT1_,"axG",@progbits,_ZN2at6native32elementwise_kernel_manual_unrollILi128ELi4EZNS0_22gpu_kernel_impl_nocastINS0_13AUnaryFunctorIdddZZZNS0_12_GLOBAL__N_133hermite_polynomial_he_kernel_cudaERNS_18TensorIteratorBaseEENKUlvE_clEvENKUlvE_clEvEUlddE_EEEEvS6_RKT_EUlibE_EEviT1_,comdat
.Lfunc_end5:
	.size	_ZN2at6native32elementwise_kernel_manual_unrollILi128ELi4EZNS0_22gpu_kernel_impl_nocastINS0_13AUnaryFunctorIdddZZZNS0_12_GLOBAL__N_133hermite_polynomial_he_kernel_cudaERNS_18TensorIteratorBaseEENKUlvE_clEvENKUlvE_clEvEUlddE_EEEEvS6_RKT_EUlibE_EEviT1_, .Lfunc_end5-_ZN2at6native32elementwise_kernel_manual_unrollILi128ELi4EZNS0_22gpu_kernel_impl_nocastINS0_13AUnaryFunctorIdddZZZNS0_12_GLOBAL__N_133hermite_polynomial_he_kernel_cudaERNS_18TensorIteratorBaseEENKUlvE_clEvENKUlvE_clEvEUlddE_EEEEvS6_RKT_EUlibE_EEviT1_
                                        ; -- End function
	.section	.AMDGPU.csdata,"",@progbits
; Kernel info:
; codeLenInByte = 7904
; NumSgprs: 66
; NumVgprs: 24
; NumAgprs: 0
; TotalNumVgprs: 24
; ScratchSize: 0
; MemoryBound: 0
; FloatMode: 240
; IeeeMode: 1
; LDSByteSize: 0 bytes/workgroup (compile time only)
; SGPRBlocks: 8
; VGPRBlocks: 2
; NumSGPRsForWavesPerEU: 66
; NumVGPRsForWavesPerEU: 24
; AccumOffset: 24
; Occupancy: 8
; WaveLimiterHint : 1
; COMPUTE_PGM_RSRC2:SCRATCH_EN: 0
; COMPUTE_PGM_RSRC2:USER_SGPR: 6
; COMPUTE_PGM_RSRC2:TRAP_HANDLER: 0
; COMPUTE_PGM_RSRC2:TGID_X_EN: 1
; COMPUTE_PGM_RSRC2:TGID_Y_EN: 0
; COMPUTE_PGM_RSRC2:TGID_Z_EN: 0
; COMPUTE_PGM_RSRC2:TIDIG_COMP_CNT: 0
; COMPUTE_PGM_RSRC3_GFX90A:ACCUM_OFFSET: 5
; COMPUTE_PGM_RSRC3_GFX90A:TG_SPLIT: 0
	.section	.text._ZN2at6native32elementwise_kernel_manual_unrollILi128ELi4EZNS0_15gpu_kernel_implINS0_13AUnaryFunctorIdddZZZNS0_12_GLOBAL__N_133hermite_polynomial_he_kernel_cudaERNS_18TensorIteratorBaseEENKUlvE_clEvENKUlvE_clEvEUlddE_EEEEvS6_RKT_EUlibE_EEviT1_,"axG",@progbits,_ZN2at6native32elementwise_kernel_manual_unrollILi128ELi4EZNS0_15gpu_kernel_implINS0_13AUnaryFunctorIdddZZZNS0_12_GLOBAL__N_133hermite_polynomial_he_kernel_cudaERNS_18TensorIteratorBaseEENKUlvE_clEvENKUlvE_clEvEUlddE_EEEEvS6_RKT_EUlibE_EEviT1_,comdat
	.globl	_ZN2at6native32elementwise_kernel_manual_unrollILi128ELi4EZNS0_15gpu_kernel_implINS0_13AUnaryFunctorIdddZZZNS0_12_GLOBAL__N_133hermite_polynomial_he_kernel_cudaERNS_18TensorIteratorBaseEENKUlvE_clEvENKUlvE_clEvEUlddE_EEEEvS6_RKT_EUlibE_EEviT1_ ; -- Begin function _ZN2at6native32elementwise_kernel_manual_unrollILi128ELi4EZNS0_15gpu_kernel_implINS0_13AUnaryFunctorIdddZZZNS0_12_GLOBAL__N_133hermite_polynomial_he_kernel_cudaERNS_18TensorIteratorBaseEENKUlvE_clEvENKUlvE_clEvEUlddE_EEEEvS6_RKT_EUlibE_EEviT1_
	.p2align	8
	.type	_ZN2at6native32elementwise_kernel_manual_unrollILi128ELi4EZNS0_15gpu_kernel_implINS0_13AUnaryFunctorIdddZZZNS0_12_GLOBAL__N_133hermite_polynomial_he_kernel_cudaERNS_18TensorIteratorBaseEENKUlvE_clEvENKUlvE_clEvEUlddE_EEEEvS6_RKT_EUlibE_EEviT1_,@function
_ZN2at6native32elementwise_kernel_manual_unrollILi128ELi4EZNS0_15gpu_kernel_implINS0_13AUnaryFunctorIdddZZZNS0_12_GLOBAL__N_133hermite_polynomial_he_kernel_cudaERNS_18TensorIteratorBaseEENKUlvE_clEvENKUlvE_clEvEUlddE_EEEEvS6_RKT_EUlibE_EEviT1_: ; @_ZN2at6native32elementwise_kernel_manual_unrollILi128ELi4EZNS0_15gpu_kernel_implINS0_13AUnaryFunctorIdddZZZNS0_12_GLOBAL__N_133hermite_polynomial_he_kernel_cudaERNS_18TensorIteratorBaseEENKUlvE_clEvENKUlvE_clEvEUlddE_EEEEvS6_RKT_EUlibE_EEviT1_
; %bb.0:
	s_load_dword s33, s[4:5], 0x30
	s_load_dwordx2 s[2:3], s[4:5], 0x18
	s_load_dwordx2 s[12:13], s[4:5], 0x28
	s_load_dword s42, s[4:5], 0x0
	s_load_dwordx4 s[8:11], s[4:5], 0x8
	v_lshl_or_b32 v10, s6, 9, v0
	v_or_b32_e32 v0, 0x180, v10
	s_waitcnt lgkmcnt(0)
	v_lshrrev_b16_e64 v11, 8, s33
	v_cmp_le_i32_e32 vcc, s42, v0
	s_mov_b64 s[4:5], 0
	s_mov_b64 s[14:15], 0
	s_and_saveexec_b64 s[0:1], vcc
	s_xor_b64 s[6:7], exec, s[0:1]
	s_cbranch_execz .LBB6_1075
; %bb.1:
	v_cmp_gt_i32_e32 vcc, s42, v10
	s_mov_b64 s[20:21], -1
	s_mov_b64 s[22:23], 0
	s_mov_b64 s[16:17], 0
	s_and_saveexec_b64 s[18:19], vcc
	s_cbranch_execz .LBB6_264
; %bb.2:
	v_mul_lo_u32 v0, v10, s3
	v_ashrrev_i32_e32 v1, 31, v0
	v_mov_b32_e32 v2, s11
	v_add_co_u32_e32 v0, vcc, s10, v0
	v_addc_co_u32_e32 v1, vcc, v2, v1, vcc
	v_cmp_gt_i16_e32 vcc, 11, v11
	s_cbranch_vccnz .LBB6_9
; %bb.3:
	v_cmp_lt_i16_e32 vcc, 25, v11
	s_cbranch_vccz .LBB6_30
; %bb.4:
	v_cmp_lt_i16_e32 vcc, 28, v11
	s_cbranch_vccz .LBB6_34
	;; [unrolled: 3-line block ×4, first 2 shown]
; %bb.7:
	v_cmp_eq_u16_e32 vcc, 46, v11
	s_cbranch_vccz .LBB6_40
; %bb.8:
	global_load_dword v2, v[0:1], off
	s_mov_b64 s[0:1], -1
	s_waitcnt vmcnt(0)
	v_lshlrev_b32_e32 v2, 16, v2
	v_cvt_f64_f32_e32 v[2:3], v2
	s_branch .LBB6_42
.LBB6_9:
                                        ; implicit-def: $vgpr2_vgpr3
	s_mov_b64 s[0:1], 0
	s_cbranch_execnz .LBB6_215
.LBB6_10:
	s_andn2_b64 vcc, exec, s[0:1]
	s_cbranch_vccnz .LBB6_262
.LBB6_11:
	s_waitcnt vmcnt(0)
	v_trunc_f64_e32 v[0:1], v[2:3]
	s_movk_i32 s0, 0xffe0
	v_ldexp_f64 v[2:3], v[0:1], s0
	v_floor_f64_e32 v[4:5], v[2:3]
	v_fmac_f64_e32 v[0:1], 0xc1f00000, v[4:5]
	v_cvt_i32_f64_e32 v3, v[4:5]
	v_cvt_u32_f64_e32 v2, v[0:1]
	v_cmp_lt_i64_e32 vcc, -1, v[2:3]
	v_pk_mov_b32 v[0:1], 0, 0
	s_and_saveexec_b64 s[0:1], vcc
	s_cbranch_execz .LBB6_23
; %bb.12:
	v_mov_b32_e32 v0, 0
	v_cmp_lt_i64_e32 vcc, 0, v[2:3]
	v_mov_b32_e32 v1, 0x3ff00000
	s_and_saveexec_b64 s[14:15], vcc
	s_cbranch_execz .LBB6_22
; %bb.13:
	v_cmp_ne_u64_e32 vcc, 1, v[2:3]
                                        ; implicit-def: $vgpr0_vgpr1
	s_and_saveexec_b64 s[20:21], vcc
	s_xor_b64 s[20:21], exec, s[20:21]
	s_cbranch_execz .LBB6_19
; %bb.14:
	s_mov_b64 s[24:25], 0x201
	v_mov_b32_e32 v0, 0
	v_cmp_gt_u64_e32 vcc, s[24:25], v[2:3]
	v_mov_b32_e32 v1, 0x7ff80000
	s_and_saveexec_b64 s[24:25], vcc
	s_cbranch_execz .LBB6_18
; %bb.15:
	v_mov_b32_e32 v4, 0
	s_mov_b64 s[28:29], 1
	s_mov_b64 s[26:27], 0
	v_pk_mov_b32 v[0:1], s[12:13], s[12:13] op_sel:[0,1]
	v_mov_b32_e32 v5, 0x3ff00000
.LBB6_16:                               ; =>This Inner Loop Header: Depth=1
	v_cvt_f64_u32_e32 v[6:7], s29
	v_cvt_f64_u32_e32 v[8:9], s28
	s_add_u32 s28, s28, 1
	v_ldexp_f64 v[6:7], v[6:7], 32
	s_addc_u32 s29, s29, 0
	v_add_f64 v[6:7], v[6:7], v[8:9]
	v_cmp_eq_u64_e32 vcc, s[28:29], v[2:3]
	v_mul_f64 v[6:7], v[4:5], v[6:7]
	s_or_b64 s[26:27], vcc, s[26:27]
	v_pk_mov_b32 v[4:5], v[0:1], v[0:1] op_sel:[0,1]
	v_fma_f64 v[0:1], s[12:13], v[0:1], -v[6:7]
	s_andn2_b64 exec, exec, s[26:27]
	s_cbranch_execnz .LBB6_16
; %bb.17:
	s_or_b64 exec, exec, s[26:27]
.LBB6_18:
	s_or_b64 exec, exec, s[24:25]
.LBB6_19:
	s_andn2_saveexec_b64 s[20:21], s[20:21]
; %bb.20:
	v_pk_mov_b32 v[0:1], s[12:13], s[12:13] op_sel:[0,1]
; %bb.21:
	s_or_b64 exec, exec, s[20:21]
.LBB6_22:
	s_or_b64 exec, exec, s[14:15]
.LBB6_23:
	s_or_b64 exec, exec, s[0:1]
	v_mul_lo_u32 v2, v10, s2
	v_ashrrev_i32_e32 v3, 31, v2
	v_mov_b32_e32 v5, s9
	v_add_co_u32_e32 v4, vcc, s8, v2
	v_mov_b32_e32 v2, 11
	v_addc_co_u32_e32 v5, vcc, v5, v3, vcc
	v_cmp_lt_i16_sdwa s[0:1], s33, v2 src0_sel:BYTE_0 src1_sel:DWORD
	s_and_b64 vcc, exec, s[0:1]
	s_cbranch_vccnz .LBB6_31
; %bb.24:
	v_mov_b32_e32 v2, 25
	v_cmp_gt_i16_sdwa s[0:1], s33, v2 src0_sel:BYTE_0 src1_sel:DWORD
	s_and_b64 vcc, exec, s[0:1]
	s_cbranch_vccz .LBB6_35
; %bb.25:
	v_mov_b32_e32 v2, 28
	v_cmp_gt_i16_sdwa s[0:1], s33, v2 src0_sel:BYTE_0 src1_sel:DWORD
	s_and_b64 vcc, exec, s[0:1]
	s_cbranch_vccz .LBB6_37
	;; [unrolled: 5-line block ×4, first 2 shown]
; %bb.28:
	v_mov_b32_e32 v2, 46
	v_cmp_eq_u16_sdwa s[14:15], s33, v2 src0_sel:BYTE_0 src1_sel:DWORD
	s_mov_b64 s[20:21], 0
	s_mov_b64 s[0:1], -1
	s_and_b64 vcc, exec, s[14:15]
	s_mov_b64 s[14:15], 0
	s_cbranch_vccz .LBB6_46
; %bb.29:
	v_cvt_f32_f64_e32 v2, v[0:1]
	v_bfe_u32 v3, v2, 16, 1
	s_movk_i32 s0, 0x7fff
	v_add3_u32 v3, v2, v3, s0
	v_lshrrev_b32_e32 v3, 16, v3
	v_mov_b32_e32 v6, 0x7fc0
	v_cmp_o_f32_e32 vcc, v2, v2
	v_cndmask_b32_e32 v2, v6, v3, vcc
	global_store_dword v[4:5], v2, off
	s_mov_b64 s[14:15], -1
	s_mov_b64 s[0:1], 0
	s_branch .LBB6_46
.LBB6_30:
	s_mov_b64 s[0:1], 0
                                        ; implicit-def: $vgpr2_vgpr3
	s_cbranch_execnz .LBB6_180
	s_branch .LBB6_214
.LBB6_31:
	s_mov_b64 s[0:1], 0
	s_mov_b64 s[14:15], 0
	s_cbranch_execnz .LBB6_115
.LBB6_32:
	s_andn2_b64 vcc, exec, s[14:15]
	s_cbranch_vccnz .LBB6_153
.LBB6_33:
	v_add_u32_e32 v10, 0x80, v10
	s_mov_b64 s[20:21], -1
	s_branch .LBB6_263
.LBB6_34:
	s_mov_b64 s[14:15], -1
	s_mov_b64 s[0:1], 0
                                        ; implicit-def: $vgpr2_vgpr3
	s_branch .LBB6_161
.LBB6_35:
	s_mov_b64 s[20:21], -1
	s_mov_b64 s[0:1], 0
	s_mov_b64 s[14:15], 0
	s_branch .LBB6_73
.LBB6_36:
	s_mov_b64 s[14:15], -1
	s_mov_b64 s[0:1], 0
                                        ; implicit-def: $vgpr2_vgpr3
	s_branch .LBB6_156
.LBB6_37:
	s_mov_b64 s[20:21], -1
	s_mov_b64 s[0:1], 0
	s_mov_b64 s[14:15], 0
	s_branch .LBB6_56
.LBB6_38:
	s_mov_b64 s[14:15], -1
	s_branch .LBB6_41
.LBB6_39:
	s_mov_b64 s[20:21], -1
	s_mov_b64 s[0:1], 0
	s_mov_b64 s[14:15], 0
	s_branch .LBB6_52
.LBB6_40:
	s_mov_b64 s[16:17], -1
.LBB6_41:
	s_mov_b64 s[0:1], 0
                                        ; implicit-def: $vgpr2_vgpr3
.LBB6_42:
	s_and_b64 vcc, exec, s[14:15]
	s_cbranch_vccz .LBB6_155
; %bb.43:
	v_cmp_eq_u16_e32 vcc, 44, v11
	s_cbranch_vccz .LBB6_154
; %bb.44:
	global_load_ubyte v4, v[0:1], off
	s_movk_i32 s14, 0xff
	v_bfrev_b32_e32 v5, 4
	v_mov_b32_e32 v6, 0x7ff80000
	v_bfrev_b32_e32 v7, 28
	s_mov_b64 s[0:1], -1
	s_mov_b64 s[16:17], 0
	s_waitcnt vmcnt(0)
	v_lshlrev_b32_e32 v2, 23, v4
	v_cvt_f64_f32_e32 v[2:3], v2
	v_cmp_ne_u32_e32 vcc, s14, v4
	v_cndmask_b32_e32 v2, v5, v2, vcc
	v_cndmask_b32_e32 v3, v6, v3, vcc
	v_cmp_ne_u32_e32 vcc, 0, v4
	v_cndmask_b32_e32 v3, v7, v3, vcc
	v_cndmask_b32_e32 v2, 0, v2, vcc
	s_branch .LBB6_155
.LBB6_45:
	s_mov_b64 s[20:21], -1
	s_mov_b64 s[0:1], 0
	s_mov_b64 s[14:15], 0
.LBB6_46:
	s_and_b64 vcc, exec, s[20:21]
	s_cbranch_vccz .LBB6_51
; %bb.47:
	v_mov_b32_e32 v2, 44
	v_cmp_eq_u16_sdwa s[20:21], s33, v2 src0_sel:BYTE_0 src1_sel:DWORD
	s_mov_b64 s[0:1], -1
	s_and_b64 vcc, exec, s[20:21]
	s_cbranch_vccz .LBB6_51
; %bb.48:
	v_cvt_f32_f64_e32 v2, v[0:1]
	v_bfe_u32 v3, v2, 23, 8
	s_movk_i32 s0, 0xff
	v_cmp_ne_u32_e32 vcc, s0, v3
	v_mov_b32_e32 v6, 0xff
	s_and_saveexec_b64 s[14:15], vcc
; %bb.49:
	s_mov_b32 s0, 0x3fffff
	v_lshrrev_b32_e32 v6, 23, v2
	v_and_b32_e32 v7, 0x400000, v2
	v_and_or_b32 v2, v2, s0, v3
	v_cmp_ne_u32_e32 vcc, 0, v7
	v_cmp_ne_u32_e64 s[0:1], 0, v2
	s_and_b64 s[0:1], vcc, s[0:1]
	v_cndmask_b32_e64 v2, 0, 1, s[0:1]
	v_add_u32_e32 v6, v6, v2
; %bb.50:
	s_or_b64 exec, exec, s[14:15]
	s_mov_b64 s[14:15], -1
	s_mov_b64 s[0:1], 0
	global_store_byte v[4:5], v6, off
.LBB6_51:
	s_mov_b64 s[20:21], 0
.LBB6_52:
	s_and_b64 vcc, exec, s[20:21]
	s_cbranch_vccz .LBB6_55
; %bb.53:
	v_mov_b32_e32 v2, 29
	v_cmp_eq_u16_sdwa s[20:21], s33, v2 src0_sel:BYTE_0 src1_sel:DWORD
	s_mov_b64 s[0:1], -1
	s_and_b64 vcc, exec, s[20:21]
	s_cbranch_vccz .LBB6_55
; %bb.54:
	v_trunc_f64_e32 v[2:3], v[0:1]
	s_movk_i32 s0, 0xffe0
	v_ldexp_f64 v[6:7], v[2:3], s0
	v_floor_f64_e32 v[6:7], v[6:7]
	v_fmac_f64_e32 v[2:3], 0xc1f00000, v[6:7]
	v_cvt_u32_f64_e32 v9, v[6:7]
	v_cvt_u32_f64_e32 v8, v[2:3]
	global_store_dwordx2 v[4:5], v[8:9], off
	s_mov_b64 s[14:15], -1
	s_mov_b64 s[0:1], 0
.LBB6_55:
	s_mov_b64 s[20:21], 0
.LBB6_56:
	s_and_b64 vcc, exec, s[20:21]
	s_cbranch_vccz .LBB6_72
; %bb.57:
	v_mov_b32_e32 v2, 27
	v_cmp_lt_i16_sdwa s[20:21], s33, v2 src0_sel:BYTE_0 src1_sel:DWORD
	s_mov_b64 s[14:15], -1
	s_and_b64 vcc, exec, s[20:21]
	s_cbranch_vccnz .LBB6_63
; %bb.58:
	v_cmp_gt_i16_sdwa s[20:21], s33, v2 src0_sel:BYTE_0 src1_sel:DWORD
	s_and_b64 vcc, exec, s[20:21]
	v_cvt_u32_f64_e32 v2, v[0:1]
	s_cbranch_vccz .LBB6_60
; %bb.59:
	s_mov_b64 s[14:15], 0
	global_store_dword v[4:5], v2, off
.LBB6_60:
	s_andn2_b64 vcc, exec, s[14:15]
	s_cbranch_vccnz .LBB6_62
; %bb.61:
	global_store_short v[4:5], v2, off
.LBB6_62:
	s_mov_b64 s[14:15], 0
.LBB6_63:
	s_andn2_b64 vcc, exec, s[14:15]
	s_cbranch_vccnz .LBB6_71
; %bb.64:
	v_cvt_f32_f64_e32 v2, v[0:1]
	v_and_b32_e32 v3, 0x7fffffff, v2
	s_mov_b32 s14, 0x43800000
	v_cmp_gt_u32_e32 vcc, s14, v3
	v_mov_b32_e32 v6, 0x80
	s_and_saveexec_b64 s[14:15], vcc
	s_cbranch_execz .LBB6_70
; %bb.65:
	s_mov_b32 s20, 0x3bffffff
	v_cmp_lt_u32_e32 vcc, s20, v3
	s_mov_b64 s[20:21], 0
                                        ; implicit-def: $vgpr3
	s_and_saveexec_b64 s[24:25], vcc
	s_xor_b64 s[24:25], exec, s[24:25]
	s_cbranch_execz .LBB6_303
; %bb.66:
	v_bfe_u32 v3, v2, 20, 1
	s_mov_b32 s26, 0x487ffff
	v_add3_u32 v3, v2, v3, s26
	s_mov_b64 s[20:21], exec
	v_lshrrev_b32_e32 v3, 20, v3
	s_or_saveexec_b64 s[24:25], s[24:25]
                                        ; implicit-def: $sgpr26
	s_xor_b64 exec, exec, s[24:25]
	s_cbranch_execnz .LBB6_304
.LBB6_67:
	s_or_b64 exec, exec, s[24:25]
	v_mov_b32_e32 v6, s26
	s_and_saveexec_b64 s[24:25], s[20:21]
.LBB6_68:
	v_lshrrev_b32_e32 v2, 24, v2
	s_movk_i32 s20, 0x80
	v_and_or_b32 v6, v2, s20, v3
.LBB6_69:
	s_or_b64 exec, exec, s[24:25]
.LBB6_70:
	s_or_b64 exec, exec, s[14:15]
	global_store_byte v[4:5], v6, off
.LBB6_71:
	s_mov_b64 s[14:15], -1
.LBB6_72:
	s_mov_b64 s[20:21], 0
.LBB6_73:
	s_and_b64 vcc, exec, s[20:21]
	s_cbranch_vccz .LBB6_114
; %bb.74:
	v_mov_b32_e32 v2, 22
	v_cmp_gt_i16_sdwa s[24:25], s33, v2 src0_sel:BYTE_0 src1_sel:DWORD
	s_mov_b64 s[20:21], -1
	s_and_b64 vcc, exec, s[24:25]
	s_cbranch_vccz .LBB6_106
; %bb.75:
	v_mov_b32_e32 v2, 24
	v_cmp_lt_i16_sdwa s[20:21], s33, v2 src0_sel:BYTE_0 src1_sel:DWORD
	s_mov_b64 s[14:15], -1
	s_and_b64 vcc, exec, s[20:21]
	s_cbranch_vccnz .LBB6_95
; %bb.76:
	v_cmp_gt_i16_sdwa s[20:21], s33, v2 src0_sel:BYTE_0 src1_sel:DWORD
	s_and_b64 vcc, exec, s[20:21]
	s_cbranch_vccz .LBB6_84
; %bb.77:
	v_cvt_f32_f64_e32 v2, v[0:1]
	v_and_b32_e32 v3, 0x7fffffff, v2
	s_mov_b32 s14, 0x47800000
	v_cmp_gt_u32_e32 vcc, s14, v3
	v_mov_b32_e32 v6, 0x80
	s_and_saveexec_b64 s[14:15], vcc
	s_cbranch_execz .LBB6_83
; %bb.78:
	s_mov_b32 s20, 0x37ffffff
	v_cmp_lt_u32_e32 vcc, s20, v3
	s_mov_b64 s[20:21], 0
                                        ; implicit-def: $vgpr3
	s_and_saveexec_b64 s[24:25], vcc
	s_xor_b64 s[24:25], exec, s[24:25]
	s_cbranch_execz .LBB6_307
; %bb.79:
	v_bfe_u32 v3, v2, 21, 1
	s_mov_b32 s26, 0x88fffff
	v_add3_u32 v3, v2, v3, s26
	s_mov_b64 s[20:21], exec
	v_lshrrev_b32_e32 v3, 21, v3
	s_or_saveexec_b64 s[24:25], s[24:25]
                                        ; implicit-def: $sgpr26
	s_xor_b64 exec, exec, s[24:25]
	s_cbranch_execnz .LBB6_308
.LBB6_80:
	s_or_b64 exec, exec, s[24:25]
	v_mov_b32_e32 v6, s26
	s_and_saveexec_b64 s[24:25], s[20:21]
.LBB6_81:
	v_lshrrev_b32_e32 v2, 24, v2
	s_movk_i32 s20, 0x80
	v_and_or_b32 v6, v2, s20, v3
.LBB6_82:
	s_or_b64 exec, exec, s[24:25]
.LBB6_83:
	s_or_b64 exec, exec, s[14:15]
	s_mov_b64 s[14:15], 0
	global_store_byte v[4:5], v6, off
.LBB6_84:
	s_and_b64 vcc, exec, s[14:15]
	s_cbranch_vccz .LBB6_94
; %bb.85:
	v_cvt_f32_f64_e32 v2, v[0:1]
	v_and_b32_e32 v6, 0x7fffffff, v2
	s_mov_b32 s14, 0x43f00000
	v_cmp_gt_u32_e32 vcc, s14, v6
                                        ; implicit-def: $vgpr3
	s_and_saveexec_b64 s[14:15], vcc
	s_xor_b64 s[14:15], exec, s[14:15]
	s_cbranch_execz .LBB6_91
; %bb.86:
	s_mov_b32 s20, 0x3c7fffff
	v_cmp_lt_u32_e32 vcc, s20, v6
                                        ; implicit-def: $vgpr3
	s_and_saveexec_b64 s[20:21], vcc
	s_xor_b64 s[20:21], exec, s[20:21]
; %bb.87:
	v_bfe_u32 v3, v2, 20, 1
	s_mov_b32 s24, 0x407ffff
	v_add3_u32 v3, v2, v3, s24
	v_lshrrev_b32_e32 v6, 20, v3
	v_and_b32_e32 v3, 0xff00000, v3
	s_mov_b32 s24, 0x7f00000
	v_mov_b32_e32 v7, 0x7e
	v_cmp_ne_u32_e32 vcc, s24, v3
	v_cndmask_b32_e32 v3, v7, v6, vcc
; %bb.88:
	s_andn2_saveexec_b64 s[20:21], s[20:21]
; %bb.89:
	s_mov_b32 s24, 0x46800000
	v_add_f32_e64 v3, |v2|, s24
; %bb.90:
	s_or_b64 exec, exec, s[20:21]
                                        ; implicit-def: $vgpr6
.LBB6_91:
	s_andn2_saveexec_b64 s[14:15], s[14:15]
; %bb.92:
	s_mov_b32 s20, 0x7f800000
	v_mov_b32_e32 v3, 0x7e
	v_mov_b32_e32 v7, 0x7f
	v_cmp_lt_u32_e32 vcc, s20, v6
	v_cndmask_b32_e32 v3, v3, v7, vcc
; %bb.93:
	s_or_b64 exec, exec, s[14:15]
	v_lshrrev_b32_e32 v2, 24, v2
	s_movk_i32 s14, 0x80
	v_and_or_b32 v2, v2, s14, v3
	global_store_byte v[4:5], v2, off
.LBB6_94:
	s_mov_b64 s[14:15], 0
.LBB6_95:
	s_andn2_b64 vcc, exec, s[14:15]
	s_cbranch_vccnz .LBB6_105
; %bb.96:
	v_cvt_f32_f64_e32 v2, v[0:1]
	v_and_b32_e32 v6, 0x7fffffff, v2
	s_mov_b32 s14, 0x47800000
	v_cmp_gt_u32_e32 vcc, s14, v6
                                        ; implicit-def: $vgpr3
	s_and_saveexec_b64 s[14:15], vcc
	s_xor_b64 s[14:15], exec, s[14:15]
	s_cbranch_execz .LBB6_102
; %bb.97:
	s_mov_b32 s20, 0x387fffff
	v_cmp_lt_u32_e32 vcc, s20, v6
                                        ; implicit-def: $vgpr3
	s_and_saveexec_b64 s[20:21], vcc
	s_xor_b64 s[20:21], exec, s[20:21]
; %bb.98:
	v_bfe_u32 v3, v2, 21, 1
	s_mov_b32 s24, 0x80fffff
	v_add3_u32 v3, v2, v3, s24
	v_lshrrev_b32_e32 v3, 21, v3
; %bb.99:
	s_andn2_saveexec_b64 s[20:21], s[20:21]
; %bb.100:
	s_mov_b32 s24, 0x43000000
	v_add_f32_e64 v3, |v2|, s24
; %bb.101:
	s_or_b64 exec, exec, s[20:21]
                                        ; implicit-def: $vgpr6
.LBB6_102:
	s_andn2_saveexec_b64 s[14:15], s[14:15]
; %bb.103:
	s_mov_b32 s20, 0x7f800000
	v_mov_b32_e32 v3, 0x7c
	v_mov_b32_e32 v7, 0x7f
	v_cmp_lt_u32_e32 vcc, s20, v6
	v_cndmask_b32_e32 v3, v3, v7, vcc
; %bb.104:
	s_or_b64 exec, exec, s[14:15]
	v_lshrrev_b32_e32 v2, 24, v2
	s_movk_i32 s14, 0x80
	v_and_or_b32 v2, v2, s14, v3
	global_store_byte v[4:5], v2, off
.LBB6_105:
	s_mov_b64 s[20:21], 0
	s_mov_b64 s[14:15], -1
.LBB6_106:
	s_andn2_b64 vcc, exec, s[20:21]
	s_cbranch_vccnz .LBB6_114
; %bb.107:
	v_mov_b32_e32 v2, 14
	v_cmp_gt_i16_sdwa s[24:25], s33, v2 src0_sel:BYTE_0 src1_sel:DWORD
	s_mov_b64 s[20:21], -1
	s_and_b64 vcc, exec, s[24:25]
	s_cbranch_vccz .LBB6_111
; %bb.108:
	v_mov_b32_e32 v2, 15
	v_cmp_eq_u16_sdwa s[20:21], s33, v2 src0_sel:BYTE_0 src1_sel:DWORD
	s_mov_b64 s[0:1], -1
	s_and_b64 vcc, exec, s[20:21]
	s_cbranch_vccz .LBB6_110
; %bb.109:
	v_cvt_f32_f64_e32 v2, v[0:1]
	v_bfe_u32 v3, v2, 16, 1
	s_movk_i32 s0, 0x7fff
	v_add3_u32 v3, v2, v3, s0
	v_lshrrev_b32_e32 v3, 16, v3
	v_mov_b32_e32 v6, 0x7fc0
	v_cmp_o_f32_e32 vcc, v2, v2
	v_cndmask_b32_e32 v2, v6, v3, vcc
	global_store_short v[4:5], v2, off
	s_mov_b64 s[14:15], -1
	s_mov_b64 s[0:1], 0
.LBB6_110:
	s_mov_b64 s[20:21], 0
.LBB6_111:
	s_and_b64 vcc, exec, s[20:21]
	s_cbranch_vccz .LBB6_114
; %bb.112:
	v_mov_b32_e32 v2, 11
	v_cmp_eq_u16_sdwa s[20:21], s33, v2 src0_sel:BYTE_0 src1_sel:DWORD
	s_mov_b64 s[0:1], -1
	s_and_b64 vcc, exec, s[20:21]
	s_cbranch_vccz .LBB6_114
; %bb.113:
	v_cmp_neq_f64_e32 vcc, 0, v[0:1]
	s_mov_b64 s[0:1], 0
	v_cndmask_b32_e64 v2, 0, 1, vcc
	s_mov_b64 s[14:15], -1
	global_store_byte v[4:5], v2, off
.LBB6_114:
	s_branch .LBB6_32
.LBB6_115:
	v_mov_b32_e32 v2, 5
	v_cmp_lt_i16_sdwa s[20:21], s33, v2 src0_sel:BYTE_0 src1_sel:DWORD
	s_mov_b64 s[14:15], -1
	s_and_b64 vcc, exec, s[20:21]
	s_cbranch_vccnz .LBB6_136
; %bb.116:
	v_mov_b32_e32 v2, 8
	v_cmp_lt_i16_sdwa s[20:21], s33, v2 src0_sel:BYTE_0 src1_sel:DWORD
	s_and_b64 vcc, exec, s[20:21]
	s_cbranch_vccnz .LBB6_126
; %bb.117:
	v_mov_b32_e32 v2, 9
	v_cmp_lt_i16_sdwa s[20:21], s33, v2 src0_sel:BYTE_0 src1_sel:DWORD
	s_and_b64 vcc, exec, s[20:21]
	s_cbranch_vccnz .LBB6_123
; %bb.118:
	v_cmp_gt_i16_sdwa s[20:21], s33, v2 src0_sel:BYTE_0 src1_sel:DWORD
	s_and_b64 vcc, exec, s[20:21]
	s_cbranch_vccz .LBB6_120
; %bb.119:
	v_mov_b32_e32 v2, 0
	v_mov_b32_e32 v3, v2
	global_store_dwordx4 v[4:5], v[0:3], off
	s_mov_b64 s[14:15], 0
.LBB6_120:
	s_andn2_b64 vcc, exec, s[14:15]
	s_cbranch_vccnz .LBB6_122
; %bb.121:
	v_cvt_f32_f64_e32 v2, v[0:1]
	v_mov_b32_e32 v3, 0
	global_store_dwordx2 v[4:5], v[2:3], off
.LBB6_122:
	s_mov_b64 s[14:15], 0
.LBB6_123:
	s_andn2_b64 vcc, exec, s[14:15]
	s_cbranch_vccnz .LBB6_125
; %bb.124:
	v_cvt_f32_f64_e32 v2, v[0:1]
	v_cvt_f16_f32_e32 v2, v2
	global_store_dword v[4:5], v2, off
.LBB6_125:
	s_mov_b64 s[14:15], 0
.LBB6_126:
	s_andn2_b64 vcc, exec, s[14:15]
	s_cbranch_vccnz .LBB6_135
; %bb.127:
	v_mov_b32_e32 v2, 6
	v_cmp_lt_i16_sdwa s[20:21], s33, v2 src0_sel:BYTE_0 src1_sel:DWORD
	s_mov_b64 s[14:15], -1
	s_and_b64 vcc, exec, s[20:21]
	s_cbranch_vccnz .LBB6_133
; %bb.128:
	v_cmp_gt_i16_sdwa s[20:21], s33, v2 src0_sel:BYTE_0 src1_sel:DWORD
	s_and_b64 vcc, exec, s[20:21]
	s_cbranch_vccz .LBB6_130
; %bb.129:
	global_store_dwordx2 v[4:5], v[0:1], off
	s_mov_b64 s[14:15], 0
.LBB6_130:
	s_andn2_b64 vcc, exec, s[14:15]
	s_cbranch_vccnz .LBB6_132
; %bb.131:
	v_cvt_f32_f64_e32 v2, v[0:1]
	global_store_dword v[4:5], v2, off
.LBB6_132:
	s_mov_b64 s[14:15], 0
.LBB6_133:
	s_andn2_b64 vcc, exec, s[14:15]
	s_cbranch_vccnz .LBB6_135
; %bb.134:
	v_cvt_f32_f64_e32 v2, v[0:1]
	v_cvt_f16_f32_e32 v2, v2
	global_store_short v[4:5], v2, off
.LBB6_135:
	s_mov_b64 s[14:15], 0
.LBB6_136:
	s_andn2_b64 vcc, exec, s[14:15]
	s_cbranch_vccnz .LBB6_152
; %bb.137:
	v_mov_b32_e32 v2, 2
	v_cmp_lt_i16_sdwa s[20:21], s33, v2 src0_sel:BYTE_0 src1_sel:DWORD
	s_mov_b64 s[14:15], -1
	s_and_b64 vcc, exec, s[20:21]
	s_cbranch_vccnz .LBB6_147
; %bb.138:
	v_mov_b32_e32 v2, 3
	v_cmp_lt_i16_sdwa s[20:21], s33, v2 src0_sel:BYTE_0 src1_sel:DWORD
	s_and_b64 vcc, exec, s[20:21]
	s_cbranch_vccnz .LBB6_144
; %bb.139:
	v_cmp_gt_i16_sdwa s[20:21], s33, v2 src0_sel:BYTE_0 src1_sel:DWORD
	s_and_b64 vcc, exec, s[20:21]
	s_cbranch_vccz .LBB6_141
; %bb.140:
	v_trunc_f64_e32 v[2:3], v[0:1]
	s_movk_i32 s14, 0xffe0
	v_ldexp_f64 v[6:7], v[2:3], s14
	v_floor_f64_e32 v[6:7], v[6:7]
	v_fmac_f64_e32 v[2:3], 0xc1f00000, v[6:7]
	v_cvt_i32_f64_e32 v9, v[6:7]
	v_cvt_u32_f64_e32 v8, v[2:3]
	global_store_dwordx2 v[4:5], v[8:9], off
	s_mov_b64 s[14:15], 0
.LBB6_141:
	s_andn2_b64 vcc, exec, s[14:15]
	s_cbranch_vccnz .LBB6_143
; %bb.142:
	v_cvt_i32_f64_e32 v2, v[0:1]
	global_store_dword v[4:5], v2, off
.LBB6_143:
	s_mov_b64 s[14:15], 0
.LBB6_144:
	s_andn2_b64 vcc, exec, s[14:15]
	s_cbranch_vccnz .LBB6_146
; %bb.145:
	v_cvt_i32_f64_e32 v2, v[0:1]
	global_store_short v[4:5], v2, off
.LBB6_146:
	s_mov_b64 s[14:15], 0
.LBB6_147:
	s_andn2_b64 vcc, exec, s[14:15]
	s_cbranch_vccnz .LBB6_152
; %bb.148:
	v_mov_b32_e32 v2, 0
	v_cmp_gt_i16_sdwa s[20:21], s33, v2 src0_sel:BYTE_0 src1_sel:DWORD
	s_mov_b64 s[14:15], -1
	s_and_b64 vcc, exec, s[20:21]
	s_cbranch_vccz .LBB6_150
; %bb.149:
	v_cvt_i32_f64_e32 v2, v[0:1]
	global_store_byte v[4:5], v2, off
	s_mov_b64 s[14:15], 0
.LBB6_150:
	s_andn2_b64 vcc, exec, s[14:15]
	s_cbranch_vccnz .LBB6_152
; %bb.151:
	v_trunc_f64_e32 v[0:1], v[0:1]
	s_movk_i32 s14, 0xffe0
	v_ldexp_f64 v[2:3], v[0:1], s14
	v_floor_f64_e32 v[2:3], v[2:3]
	v_fmac_f64_e32 v[0:1], 0xc1f00000, v[2:3]
	v_cvt_u32_f64_e32 v0, v[0:1]
	global_store_byte v[4:5], v0, off
.LBB6_152:
	s_branch .LBB6_33
.LBB6_153:
	s_mov_b64 s[20:21], 0
                                        ; implicit-def: $vgpr10
	s_branch .LBB6_263
.LBB6_154:
	s_mov_b64 s[16:17], -1
                                        ; implicit-def: $vgpr2_vgpr3
.LBB6_155:
	s_mov_b64 s[14:15], 0
.LBB6_156:
	s_and_b64 vcc, exec, s[14:15]
	s_cbranch_vccz .LBB6_160
; %bb.157:
	v_cmp_eq_u16_e32 vcc, 29, v11
	s_cbranch_vccz .LBB6_159
; %bb.158:
	global_load_dwordx2 v[2:3], v[0:1], off
	s_mov_b64 s[0:1], -1
	s_mov_b64 s[16:17], 0
	s_mov_b64 s[14:15], 0
	s_waitcnt vmcnt(0)
	v_cvt_f64_u32_e32 v[4:5], v3
	v_cvt_f64_u32_e32 v[2:3], v2
	v_ldexp_f64 v[4:5], v[4:5], 32
	v_add_f64 v[2:3], v[4:5], v[2:3]
	s_branch .LBB6_161
.LBB6_159:
	s_mov_b64 s[16:17], -1
                                        ; implicit-def: $vgpr2_vgpr3
.LBB6_160:
	s_mov_b64 s[14:15], 0
.LBB6_161:
	s_and_b64 vcc, exec, s[14:15]
	s_cbranch_vccz .LBB6_179
; %bb.162:
	v_cmp_gt_i16_e32 vcc, 27, v11
	s_cbranch_vccnz .LBB6_165
; %bb.163:
	v_cmp_lt_i16_e32 vcc, 27, v11
	s_cbranch_vccz .LBB6_166
; %bb.164:
	global_load_dword v2, v[0:1], off
	s_mov_b64 s[0:1], 0
	s_waitcnt vmcnt(0)
	v_cvt_f64_u32_e32 v[2:3], v2
	s_branch .LBB6_167
.LBB6_165:
	s_mov_b64 s[0:1], -1
                                        ; implicit-def: $vgpr2_vgpr3
	s_branch .LBB6_170
.LBB6_166:
	s_mov_b64 s[0:1], -1
                                        ; implicit-def: $vgpr2_vgpr3
.LBB6_167:
	s_andn2_b64 vcc, exec, s[0:1]
	s_cbranch_vccnz .LBB6_169
; %bb.168:
	global_load_ushort v2, v[0:1], off
	s_waitcnt vmcnt(0)
	v_cvt_f64_u32_e32 v[2:3], v2
.LBB6_169:
	s_mov_b64 s[0:1], 0
.LBB6_170:
	s_andn2_b64 vcc, exec, s[0:1]
	s_cbranch_vccnz .LBB6_178
; %bb.171:
	global_load_ubyte v4, v[0:1], off
	s_movk_i32 s0, 0x7f
                                        ; implicit-def: $sgpr14_sgpr15
	s_waitcnt vmcnt(0)
	v_cmp_lt_i16_e32 vcc, s0, v4
	s_mov_b64 s[0:1], 0
	s_and_saveexec_b64 s[20:21], vcc
	s_xor_b64 s[20:21], exec, s[20:21]
	s_cbranch_execz .LBB6_191
; %bb.172:
	s_movk_i32 s0, 0x80
	v_cmp_eq_u16_e32 vcc, s0, v4
	s_mov_b64 s[24:25], -1
                                        ; implicit-def: $sgpr14_sgpr15
	s_and_saveexec_b64 s[0:1], vcc
; %bb.173:
	s_mov_b32 s15, 0x7ff80000
	s_brev_b32 s14, 4
	s_xor_b64 s[24:25], exec, -1
; %bb.174:
	s_or_b64 exec, exec, s[0:1]
	s_and_b64 s[0:1], s[24:25], exec
	s_or_saveexec_b64 s[20:21], s[20:21]
	v_pk_mov_b32 v[2:3], s[14:15], s[14:15] op_sel:[0,1]
	s_xor_b64 exec, exec, s[20:21]
	s_cbranch_execnz .LBB6_192
.LBB6_175:
	s_or_b64 exec, exec, s[20:21]
	s_and_saveexec_b64 s[14:15], s[0:1]
	s_cbranch_execz .LBB6_177
.LBB6_176:
	v_and_b32_e32 v3, 0xffff, v4
	v_lshlrev_b32_e32 v2, 24, v4
	v_and_b32_e32 v4, 7, v3
	v_ffbh_u32_e32 v6, v4
	v_min_u32_e32 v6, 32, v6
	v_subrev_u32_e32 v7, 28, v6
	v_bfe_u32 v5, v3, 3, 4
	v_lshlrev_b32_e32 v3, v7, v3
	v_sub_u32_e32 v6, 29, v6
	v_and_b32_e32 v3, 7, v3
	v_cmp_eq_u32_e32 vcc, 0, v5
	v_cndmask_b32_e32 v5, v5, v6, vcc
	v_cndmask_b32_e32 v3, v4, v3, vcc
	v_mov_b32_e32 v4, 0x3b800000
	v_lshlrev_b32_e32 v3, 20, v3
	v_and_b32_e32 v2, 0x80000000, v2
	v_lshl_add_u32 v4, v5, 23, v4
	v_or3_b32 v2, v2, v4, v3
	v_cvt_f64_f32_e32 v[2:3], v2
.LBB6_177:
	s_or_b64 exec, exec, s[14:15]
.LBB6_178:
	s_mov_b64 s[0:1], -1
.LBB6_179:
	s_branch .LBB6_214
.LBB6_180:
	v_cmp_lt_i16_e32 vcc, 22, v11
	s_cbranch_vccz .LBB6_190
; %bb.181:
	v_cmp_gt_i16_e32 vcc, 24, v11
	s_cbranch_vccnz .LBB6_193
; %bb.182:
	v_cmp_lt_i16_e32 vcc, 24, v11
	s_cbranch_vccz .LBB6_194
; %bb.183:
	global_load_ubyte v4, v[0:1], off
	s_movk_i32 s0, 0x7f
                                        ; implicit-def: $sgpr14_sgpr15
	s_waitcnt vmcnt(0)
	v_cmp_lt_i16_e32 vcc, s0, v4
	s_mov_b64 s[0:1], 0
	s_and_saveexec_b64 s[20:21], vcc
	s_xor_b64 s[20:21], exec, s[20:21]
	s_cbranch_execz .LBB6_206
; %bb.184:
	s_movk_i32 s0, 0x80
	v_cmp_eq_u16_e32 vcc, s0, v4
	s_mov_b64 s[24:25], -1
                                        ; implicit-def: $sgpr14_sgpr15
	s_and_saveexec_b64 s[0:1], vcc
; %bb.185:
	s_mov_b32 s15, 0x7ff80000
	s_brev_b32 s14, 4
	s_xor_b64 s[24:25], exec, -1
; %bb.186:
	s_or_b64 exec, exec, s[0:1]
	s_and_b64 s[0:1], s[24:25], exec
	s_or_saveexec_b64 s[20:21], s[20:21]
	v_pk_mov_b32 v[2:3], s[14:15], s[14:15] op_sel:[0,1]
	s_xor_b64 exec, exec, s[20:21]
	s_cbranch_execnz .LBB6_207
.LBB6_187:
	s_or_b64 exec, exec, s[20:21]
	s_and_saveexec_b64 s[14:15], s[0:1]
	s_cbranch_execz .LBB6_189
.LBB6_188:
	v_and_b32_e32 v3, 0xffff, v4
	v_lshlrev_b32_e32 v2, 24, v4
	v_and_b32_e32 v4, 3, v3
	v_ffbh_u32_e32 v6, v4
	v_min_u32_e32 v6, 32, v6
	v_subrev_u32_e32 v7, 29, v6
	v_bfe_u32 v5, v3, 2, 5
	v_lshlrev_b32_e32 v3, v7, v3
	v_sub_u32_e32 v6, 30, v6
	v_and_b32_e32 v3, 3, v3
	v_cmp_eq_u32_e32 vcc, 0, v5
	v_cndmask_b32_e32 v5, v5, v6, vcc
	v_cndmask_b32_e32 v3, v4, v3, vcc
	v_mov_b32_e32 v4, 0x37800000
	v_lshlrev_b32_e32 v3, 21, v3
	v_and_b32_e32 v2, 0x80000000, v2
	v_lshl_add_u32 v4, v5, 23, v4
	v_or3_b32 v2, v2, v4, v3
	v_cvt_f64_f32_e32 v[2:3], v2
.LBB6_189:
	s_or_b64 exec, exec, s[14:15]
	s_mov_b64 s[0:1], 0
	s_branch .LBB6_195
.LBB6_190:
	s_mov_b64 s[14:15], -1
                                        ; implicit-def: $vgpr2_vgpr3
	s_branch .LBB6_201
.LBB6_191:
	s_or_saveexec_b64 s[20:21], s[20:21]
	v_pk_mov_b32 v[2:3], s[14:15], s[14:15] op_sel:[0,1]
	s_xor_b64 exec, exec, s[20:21]
	s_cbranch_execz .LBB6_175
.LBB6_192:
	v_cmp_ne_u16_e32 vcc, 0, v4
	s_andn2_b64 s[0:1], s[0:1], exec
	s_and_b64 s[14:15], vcc, exec
	v_pk_mov_b32 v[2:3], 0, 0
	s_or_b64 s[0:1], s[0:1], s[14:15]
	s_or_b64 exec, exec, s[20:21]
	s_and_saveexec_b64 s[14:15], s[0:1]
	s_cbranch_execnz .LBB6_176
	s_branch .LBB6_177
.LBB6_193:
	s_mov_b64 s[0:1], -1
                                        ; implicit-def: $vgpr2_vgpr3
	s_branch .LBB6_198
.LBB6_194:
	s_mov_b64 s[0:1], -1
                                        ; implicit-def: $vgpr2_vgpr3
.LBB6_195:
	s_and_b64 vcc, exec, s[0:1]
	s_cbranch_vccz .LBB6_197
; %bb.196:
	global_load_ubyte v2, v[0:1], off
	s_mov_b32 s0, 0x7f800000
	s_waitcnt vmcnt(0)
	v_lshlrev_b32_e32 v2, 24, v2
	v_and_b32_e32 v3, 0x7f000000, v2
	v_ffbh_u32_e32 v4, v3
	v_min_u32_e32 v4, 32, v4
	v_sub_u32_e64 v4, v4, 4 clamp
	v_lshlrev_b32_e32 v6, v4, v3
	v_lshlrev_b32_e32 v4, 23, v4
	v_lshrrev_b32_e32 v6, 4, v6
	v_add_u32_e32 v5, 0x1000000, v3
	v_sub_u32_e32 v4, v6, v4
	v_ashrrev_i32_e32 v5, 8, v5
	v_add_u32_e32 v4, 0x3c000000, v4
	v_and_or_b32 v4, v5, s0, v4
	v_cmp_ne_u32_e32 vcc, 0, v3
	v_cndmask_b32_e32 v3, 0, v4, vcc
	s_brev_b32 s0, 1
	v_and_or_b32 v2, v2, s0, v3
	v_cvt_f64_f32_e32 v[2:3], v2
.LBB6_197:
	s_mov_b64 s[0:1], 0
.LBB6_198:
	s_andn2_b64 vcc, exec, s[0:1]
	s_cbranch_vccnz .LBB6_200
; %bb.199:
	global_load_ubyte v2, v[0:1], off
	s_movk_i32 s0, 0x7f00
	s_brev_b32 s1, 16
	s_waitcnt vmcnt(0)
	v_lshlrev_b16_e32 v3, 8, v2
	v_lshlrev_b32_e32 v2, 25, v2
	v_lshrrev_b32_e32 v4, 4, v2
	v_and_or_b32 v5, v3, s0, 0.5
	v_or_b32_e32 v4, 0x70000000, v4
	v_add_f32_e32 v5, -0.5, v5
	v_mul_f32_e32 v4, 0x7800000, v4
	v_cmp_gt_u32_e32 vcc, s1, v2
	v_bfe_i32 v3, v3, 0, 16
	v_cndmask_b32_e32 v2, v4, v5, vcc
	s_brev_b32 s0, 1
	v_and_or_b32 v2, v3, s0, v2
	v_cvt_f64_f32_e32 v[2:3], v2
.LBB6_200:
	s_mov_b64 s[14:15], 0
	s_mov_b64 s[0:1], -1
.LBB6_201:
	s_andn2_b64 vcc, exec, s[14:15]
	s_cbranch_vccnz .LBB6_214
; %bb.202:
	v_cmp_lt_i16_e32 vcc, 14, v11
	s_cbranch_vccz .LBB6_205
; %bb.203:
	v_cmp_eq_u16_e32 vcc, 15, v11
	s_cbranch_vccz .LBB6_208
; %bb.204:
	global_load_ushort v2, v[0:1], off
	s_mov_b64 s[0:1], -1
	s_mov_b64 s[16:17], 0
	s_waitcnt vmcnt(0)
	v_lshlrev_b32_e32 v2, 16, v2
	v_cvt_f64_f32_e32 v[2:3], v2
	s_branch .LBB6_209
.LBB6_205:
	s_mov_b64 s[14:15], -1
                                        ; implicit-def: $vgpr2_vgpr3
	s_branch .LBB6_210
.LBB6_206:
	s_or_saveexec_b64 s[20:21], s[20:21]
	v_pk_mov_b32 v[2:3], s[14:15], s[14:15] op_sel:[0,1]
	s_xor_b64 exec, exec, s[20:21]
	s_cbranch_execz .LBB6_187
.LBB6_207:
	v_cmp_ne_u16_e32 vcc, 0, v4
	s_andn2_b64 s[0:1], s[0:1], exec
	s_and_b64 s[14:15], vcc, exec
	v_pk_mov_b32 v[2:3], 0, 0
	s_or_b64 s[0:1], s[0:1], s[14:15]
	s_or_b64 exec, exec, s[20:21]
	s_and_saveexec_b64 s[14:15], s[0:1]
	s_cbranch_execnz .LBB6_188
	s_branch .LBB6_189
.LBB6_208:
	s_mov_b64 s[16:17], -1
                                        ; implicit-def: $vgpr2_vgpr3
.LBB6_209:
	s_mov_b64 s[14:15], 0
.LBB6_210:
	s_and_b64 vcc, exec, s[14:15]
	s_cbranch_vccz .LBB6_214
; %bb.211:
	v_cmp_eq_u16_e32 vcc, 11, v11
	s_cbranch_vccz .LBB6_213
; %bb.212:
	global_load_ubyte v3, v[0:1], off
	v_mov_b32_e32 v4, 0x3ff00000
	v_mov_b32_e32 v2, 0
	s_mov_b64 s[0:1], -1
	s_mov_b64 s[16:17], 0
	s_waitcnt vmcnt(0)
	v_cmp_ne_u16_e32 vcc, 0, v3
	v_cndmask_b32_e32 v3, 0, v4, vcc
	s_branch .LBB6_214
.LBB6_213:
	s_mov_b64 s[16:17], -1
                                        ; implicit-def: $vgpr2_vgpr3
.LBB6_214:
	s_branch .LBB6_10
.LBB6_215:
	v_cmp_gt_i16_e32 vcc, 5, v11
	s_cbranch_vccnz .LBB6_220
; %bb.216:
	v_cmp_gt_i16_e32 vcc, 8, v11
	s_cbranch_vccnz .LBB6_221
; %bb.217:
	v_cmp_gt_i16_e32 vcc, 9, v11
	s_cbranch_vccnz .LBB6_222
; %bb.218:
	v_cmp_lt_i16_e32 vcc, 9, v11
	s_cbranch_vccz .LBB6_223
; %bb.219:
	global_load_dwordx2 v[2:3], v[0:1], off
	s_mov_b64 s[0:1], 0
	s_branch .LBB6_224
.LBB6_220:
                                        ; implicit-def: $vgpr2_vgpr3
	s_branch .LBB6_242
.LBB6_221:
	s_mov_b64 s[0:1], -1
                                        ; implicit-def: $vgpr2_vgpr3
	s_branch .LBB6_230
.LBB6_222:
	s_mov_b64 s[0:1], -1
                                        ; implicit-def: $vgpr2_vgpr3
	s_branch .LBB6_227
.LBB6_223:
	s_mov_b64 s[0:1], -1
                                        ; implicit-def: $vgpr2_vgpr3
.LBB6_224:
	s_andn2_b64 vcc, exec, s[0:1]
	s_cbranch_vccnz .LBB6_226
; %bb.225:
	global_load_dword v2, v[0:1], off
	s_waitcnt vmcnt(0)
	v_cvt_f64_f32_e32 v[2:3], v2
.LBB6_226:
	s_mov_b64 s[0:1], 0
.LBB6_227:
	s_andn2_b64 vcc, exec, s[0:1]
	s_cbranch_vccnz .LBB6_229
; %bb.228:
	global_load_dword v2, v[0:1], off
	s_waitcnt vmcnt(0)
	v_cvt_f32_f16_e32 v2, v2
	v_cvt_f64_f32_e32 v[2:3], v2
.LBB6_229:
	s_mov_b64 s[0:1], 0
.LBB6_230:
	s_andn2_b64 vcc, exec, s[0:1]
	s_cbranch_vccnz .LBB6_241
; %bb.231:
	v_cmp_gt_i16_e32 vcc, 6, v11
	s_cbranch_vccnz .LBB6_234
; %bb.232:
	v_cmp_lt_i16_e32 vcc, 6, v11
	s_cbranch_vccz .LBB6_235
; %bb.233:
	global_load_dwordx2 v[2:3], v[0:1], off
	s_mov_b64 s[0:1], 0
	s_branch .LBB6_236
.LBB6_234:
	s_mov_b64 s[0:1], -1
                                        ; implicit-def: $vgpr2_vgpr3
	s_branch .LBB6_239
.LBB6_235:
	s_mov_b64 s[0:1], -1
                                        ; implicit-def: $vgpr2_vgpr3
.LBB6_236:
	s_andn2_b64 vcc, exec, s[0:1]
	s_cbranch_vccnz .LBB6_238
; %bb.237:
	global_load_dword v2, v[0:1], off
	s_waitcnt vmcnt(0)
	v_cvt_f64_f32_e32 v[2:3], v2
.LBB6_238:
	s_mov_b64 s[0:1], 0
.LBB6_239:
	s_andn2_b64 vcc, exec, s[0:1]
	s_cbranch_vccnz .LBB6_241
; %bb.240:
	global_load_ushort v2, v[0:1], off
	s_waitcnt vmcnt(0)
	v_cvt_f32_f16_e32 v2, v2
	v_cvt_f64_f32_e32 v[2:3], v2
.LBB6_241:
	s_cbranch_execnz .LBB6_261
.LBB6_242:
	v_cmp_gt_i16_e32 vcc, 2, v11
	s_cbranch_vccnz .LBB6_246
; %bb.243:
	v_cmp_gt_i16_e32 vcc, 3, v11
	s_cbranch_vccnz .LBB6_247
; %bb.244:
	v_cmp_lt_i16_e32 vcc, 3, v11
	s_cbranch_vccz .LBB6_248
; %bb.245:
	global_load_dwordx2 v[2:3], v[0:1], off
	s_mov_b64 s[0:1], 0
	s_waitcnt vmcnt(0)
	v_cvt_f64_i32_e32 v[4:5], v3
	v_cvt_f64_u32_e32 v[2:3], v2
	v_ldexp_f64 v[4:5], v[4:5], 32
	v_add_f64 v[2:3], v[4:5], v[2:3]
	s_branch .LBB6_249
.LBB6_246:
	s_mov_b64 s[0:1], -1
                                        ; implicit-def: $vgpr2_vgpr3
	s_branch .LBB6_255
.LBB6_247:
	s_mov_b64 s[0:1], -1
                                        ; implicit-def: $vgpr2_vgpr3
	s_branch .LBB6_252
.LBB6_248:
	s_mov_b64 s[0:1], -1
                                        ; implicit-def: $vgpr2_vgpr3
.LBB6_249:
	s_andn2_b64 vcc, exec, s[0:1]
	s_cbranch_vccnz .LBB6_251
; %bb.250:
	global_load_dword v2, v[0:1], off
	s_waitcnt vmcnt(0)
	v_cvt_f64_i32_e32 v[2:3], v2
.LBB6_251:
	s_mov_b64 s[0:1], 0
.LBB6_252:
	s_andn2_b64 vcc, exec, s[0:1]
	s_cbranch_vccnz .LBB6_254
; %bb.253:
	global_load_sshort v2, v[0:1], off
	s_waitcnt vmcnt(0)
	v_cvt_f64_i32_e32 v[2:3], v2
.LBB6_254:
	s_mov_b64 s[0:1], 0
.LBB6_255:
	s_andn2_b64 vcc, exec, s[0:1]
	s_cbranch_vccnz .LBB6_261
; %bb.256:
	v_cmp_lt_i16_e32 vcc, 0, v11
	s_cbranch_vccz .LBB6_258
; %bb.257:
	global_load_sbyte v2, v[0:1], off
	s_mov_b64 s[0:1], 0
	s_waitcnt vmcnt(0)
	v_cvt_f64_i32_e32 v[2:3], v2
	s_branch .LBB6_259
.LBB6_258:
	s_mov_b64 s[0:1], -1
                                        ; implicit-def: $vgpr2_vgpr3
.LBB6_259:
	s_andn2_b64 vcc, exec, s[0:1]
	s_cbranch_vccnz .LBB6_261
; %bb.260:
	global_load_ubyte v0, v[0:1], off
	s_waitcnt vmcnt(0)
	v_cvt_f64_u32_e32 v[2:3], v0
.LBB6_261:
	s_branch .LBB6_11
.LBB6_262:
	s_mov_b64 s[0:1], 0
                                        ; implicit-def: $vgpr10
	s_mov_b64 s[20:21], 0
.LBB6_263:
	s_and_b64 s[14:15], s[0:1], exec
	s_and_b64 s[16:17], s[16:17], exec
	s_orn2_b64 s[20:21], s[20:21], exec
.LBB6_264:
	s_or_b64 exec, exec, s[18:19]
	s_mov_b64 s[24:25], 0
	s_mov_b64 s[0:1], 0
                                        ; implicit-def: $vgpr0_vgpr1
                                        ; implicit-def: $vgpr2_vgpr3
	s_and_saveexec_b64 s[18:19], s[20:21]
	s_cbranch_execz .LBB6_273
; %bb.265:
	v_cmp_gt_i32_e32 vcc, s42, v10
	s_mov_b64 s[0:1], -1
	s_mov_b64 s[20:21], s[16:17]
	s_mov_b64 s[22:23], s[14:15]
	s_and_saveexec_b64 s[24:25], vcc
	s_cbranch_execz .LBB6_537
; %bb.266:
	v_mul_lo_u32 v0, v10, s3
	v_ashrrev_i32_e32 v1, 31, v0
	s_waitcnt vmcnt(0)
	v_mov_b32_e32 v2, s11
	v_add_co_u32_e32 v0, vcc, s10, v0
	v_addc_co_u32_e32 v1, vcc, v2, v1, vcc
	v_cmp_gt_i16_e32 vcc, 11, v11
	s_cbranch_vccnz .LBB6_276
; %bb.267:
	v_cmp_lt_i16_e32 vcc, 25, v11
	s_cbranch_vccz .LBB6_297
; %bb.268:
	v_cmp_lt_i16_e32 vcc, 28, v11
	s_cbranch_vccz .LBB6_299
	;; [unrolled: 3-line block ×4, first 2 shown]
; %bb.271:
	v_cmp_eq_u16_e32 vcc, 46, v11
	s_mov_b64 s[22:23], 0
	s_cbranch_vccz .LBB6_309
; %bb.272:
	global_load_dword v2, v[0:1], off
	s_mov_b64 s[20:21], 0
	s_waitcnt vmcnt(0)
	v_lshlrev_b32_e32 v2, 16, v2
	v_cvt_f64_f32_e32 v[2:3], v2
	s_branch .LBB6_310
.LBB6_273:
	s_or_b64 exec, exec, s[18:19]
	s_mov_b64 s[18:19], 0
	s_and_saveexec_b64 s[20:21], s[16:17]
	s_cbranch_execnz .LBB6_895
.LBB6_274:
	s_or_b64 exec, exec, s[20:21]
	s_and_saveexec_b64 s[16:17], s[22:23]
	s_xor_b64 s[16:17], exec, s[16:17]
	s_cbranch_execz .LBB6_896
.LBB6_275:
	global_load_ubyte v3, v[0:1], off
	v_mov_b32_e32 v4, 0x3ff00000
	s_waitcnt vmcnt(1)
	v_mov_b32_e32 v2, 0
	s_or_b64 s[0:1], s[0:1], exec
	s_waitcnt vmcnt(0)
	v_cmp_ne_u16_e32 vcc, 0, v3
	v_cndmask_b32_e32 v3, 0, v4, vcc
	s_or_b64 exec, exec, s[16:17]
	s_and_saveexec_b64 s[16:17], s[24:25]
	s_cbranch_execz .LBB6_942
	s_branch .LBB6_897
.LBB6_276:
	s_mov_b64 s[0:1], 0
                                        ; implicit-def: $vgpr2_vgpr3
	s_mov_b64 s[20:21], s[16:17]
	s_cbranch_execnz .LBB6_487
.LBB6_277:
	s_andn2_b64 vcc, exec, s[0:1]
	s_cbranch_vccnz .LBB6_535
.LBB6_278:
	s_waitcnt vmcnt(0)
	v_trunc_f64_e32 v[0:1], v[2:3]
	s_movk_i32 s0, 0xffe0
	v_ldexp_f64 v[2:3], v[0:1], s0
	v_floor_f64_e32 v[4:5], v[2:3]
	v_fmac_f64_e32 v[0:1], 0xc1f00000, v[4:5]
	v_cvt_i32_f64_e32 v3, v[4:5]
	v_cvt_u32_f64_e32 v2, v[0:1]
	v_cmp_lt_i64_e32 vcc, -1, v[2:3]
	v_pk_mov_b32 v[0:1], 0, 0
	s_and_saveexec_b64 s[0:1], vcc
	s_cbranch_execz .LBB6_290
; %bb.279:
	v_mov_b32_e32 v0, 0
	v_cmp_lt_i64_e32 vcc, 0, v[2:3]
	v_mov_b32_e32 v1, 0x3ff00000
	s_and_saveexec_b64 s[22:23], vcc
	s_cbranch_execz .LBB6_289
; %bb.280:
	v_cmp_ne_u64_e32 vcc, 1, v[2:3]
                                        ; implicit-def: $vgpr0_vgpr1
	s_and_saveexec_b64 s[26:27], vcc
	s_xor_b64 s[26:27], exec, s[26:27]
	s_cbranch_execz .LBB6_286
; %bb.281:
	s_mov_b64 s[28:29], 0x201
	v_mov_b32_e32 v0, 0
	v_cmp_gt_u64_e32 vcc, s[28:29], v[2:3]
	v_mov_b32_e32 v1, 0x7ff80000
	s_and_saveexec_b64 s[28:29], vcc
	s_cbranch_execz .LBB6_285
; %bb.282:
	v_mov_b32_e32 v4, 0
	s_mov_b64 s[34:35], 1
	s_mov_b64 s[30:31], 0
	v_pk_mov_b32 v[0:1], s[12:13], s[12:13] op_sel:[0,1]
	v_mov_b32_e32 v5, 0x3ff00000
.LBB6_283:                              ; =>This Inner Loop Header: Depth=1
	v_cvt_f64_u32_e32 v[6:7], s35
	v_cvt_f64_u32_e32 v[8:9], s34
	s_add_u32 s34, s34, 1
	v_ldexp_f64 v[6:7], v[6:7], 32
	s_addc_u32 s35, s35, 0
	v_add_f64 v[6:7], v[6:7], v[8:9]
	v_cmp_eq_u64_e32 vcc, s[34:35], v[2:3]
	v_mul_f64 v[6:7], v[4:5], v[6:7]
	s_or_b64 s[30:31], vcc, s[30:31]
	v_pk_mov_b32 v[4:5], v[0:1], v[0:1] op_sel:[0,1]
	v_fma_f64 v[0:1], s[12:13], v[0:1], -v[6:7]
	s_andn2_b64 exec, exec, s[30:31]
	s_cbranch_execnz .LBB6_283
; %bb.284:
	s_or_b64 exec, exec, s[30:31]
.LBB6_285:
	s_or_b64 exec, exec, s[28:29]
.LBB6_286:
	s_andn2_saveexec_b64 s[26:27], s[26:27]
; %bb.287:
	v_pk_mov_b32 v[0:1], s[12:13], s[12:13] op_sel:[0,1]
; %bb.288:
	s_or_b64 exec, exec, s[26:27]
.LBB6_289:
	s_or_b64 exec, exec, s[22:23]
.LBB6_290:
	s_or_b64 exec, exec, s[0:1]
	v_mul_lo_u32 v2, v10, s2
	v_ashrrev_i32_e32 v3, 31, v2
	v_mov_b32_e32 v5, s9
	v_add_co_u32_e32 v4, vcc, s8, v2
	v_mov_b32_e32 v2, 11
	v_addc_co_u32_e32 v5, vcc, v5, v3, vcc
	v_cmp_lt_i16_sdwa s[0:1], s33, v2 src0_sel:BYTE_0 src1_sel:DWORD
	s_and_b64 vcc, exec, s[0:1]
	s_cbranch_vccnz .LBB6_298
; %bb.291:
	v_mov_b32_e32 v2, 25
	v_cmp_gt_i16_sdwa s[0:1], s33, v2 src0_sel:BYTE_0 src1_sel:DWORD
	s_and_b64 vcc, exec, s[0:1]
	s_cbranch_vccz .LBB6_300
; %bb.292:
	v_mov_b32_e32 v2, 28
	v_cmp_gt_i16_sdwa s[0:1], s33, v2 src0_sel:BYTE_0 src1_sel:DWORD
	s_and_b64 vcc, exec, s[0:1]
	s_cbranch_vccz .LBB6_302
; %bb.293:
	v_mov_b32_e32 v2, 43
	v_cmp_gt_i16_sdwa s[0:1], s33, v2 src0_sel:BYTE_0 src1_sel:DWORD
	s_and_b64 vcc, exec, s[0:1]
	s_cbranch_vccz .LBB6_306
; %bb.294:
	v_mov_b32_e32 v2, 45
	v_cmp_gt_i16_sdwa s[0:1], s33, v2 src0_sel:BYTE_0 src1_sel:DWORD
	s_and_b64 vcc, exec, s[0:1]
	s_cbranch_vccz .LBB6_313
; %bb.295:
	v_mov_b32_e32 v2, 46
	v_cmp_eq_u16_sdwa s[22:23], s33, v2 src0_sel:BYTE_0 src1_sel:DWORD
	s_mov_b64 s[26:27], 0
	s_mov_b64 s[0:1], -1
	s_and_b64 vcc, exec, s[22:23]
	s_mov_b64 s[22:23], 0
	s_cbranch_vccz .LBB6_314
; %bb.296:
	v_cvt_f32_f64_e32 v2, v[0:1]
	v_bfe_u32 v3, v2, 16, 1
	s_movk_i32 s0, 0x7fff
	v_add3_u32 v3, v2, v3, s0
	v_lshrrev_b32_e32 v3, 16, v3
	v_mov_b32_e32 v6, 0x7fc0
	v_cmp_o_f32_e32 vcc, v2, v2
	v_cndmask_b32_e32 v2, v6, v3, vcc
	global_store_dword v[4:5], v2, off
	s_mov_b64 s[22:23], -1
	s_mov_b64 s[0:1], 0
	s_branch .LBB6_314
.LBB6_297:
	s_mov_b64 s[22:23], -1
	s_mov_b64 s[0:1], 0
	s_mov_b64 s[20:21], s[16:17]
                                        ; implicit-def: $vgpr2_vgpr3
	s_branch .LBB6_451
.LBB6_298:
	s_mov_b64 s[26:27], -1
	s_mov_b64 s[22:23], 0
	s_mov_b64 s[0:1], s[14:15]
	s_branch .LBB6_383
.LBB6_299:
	s_mov_b64 s[22:23], -1
	s_mov_b64 s[0:1], 0
	s_mov_b64 s[20:21], s[16:17]
                                        ; implicit-def: $vgpr2_vgpr3
	s_branch .LBB6_432
.LBB6_300:
	s_mov_b64 s[26:27], -1
	s_mov_b64 s[22:23], 0
	s_mov_b64 s[0:1], s[14:15]
	s_branch .LBB6_341
.LBB6_301:
	s_mov_b64 s[22:23], -1
	s_mov_b64 s[0:1], 0
	s_mov_b64 s[20:21], s[16:17]
                                        ; implicit-def: $vgpr2_vgpr3
	s_branch .LBB6_427
.LBB6_302:
	s_mov_b64 s[26:27], -1
	s_mov_b64 s[22:23], 0
	s_mov_b64 s[0:1], s[14:15]
	s_branch .LBB6_324
.LBB6_303:
	s_or_saveexec_b64 s[24:25], s[24:25]
                                        ; implicit-def: $sgpr26
	s_xor_b64 exec, exec, s[24:25]
	s_cbranch_execz .LBB6_67
.LBB6_304:
	s_mov_b32 s26, 0x46000000
	v_add_f32_e64 v3, |v2|, s26
	v_and_b32_e32 v3, 0xff, v3
	v_cmp_ne_u32_e32 vcc, 0, v3
	s_andn2_b64 s[20:21], s[20:21], exec
	s_and_b64 s[28:29], vcc, exec
	s_mov_b32 s26, 0
	s_or_b64 s[20:21], s[20:21], s[28:29]
	s_or_b64 exec, exec, s[24:25]
	v_mov_b32_e32 v6, s26
	s_and_saveexec_b64 s[24:25], s[20:21]
	s_cbranch_execnz .LBB6_68
	s_branch .LBB6_69
.LBB6_305:
	s_mov_b64 s[22:23], -1
	s_mov_b64 s[0:1], 0
	s_mov_b64 s[20:21], s[16:17]
                                        ; implicit-def: $vgpr2_vgpr3
	s_branch .LBB6_310
.LBB6_306:
	s_mov_b64 s[26:27], -1
	s_mov_b64 s[22:23], 0
	s_mov_b64 s[0:1], s[14:15]
	s_branch .LBB6_320
.LBB6_307:
	s_or_saveexec_b64 s[24:25], s[24:25]
                                        ; implicit-def: $sgpr26
	s_xor_b64 exec, exec, s[24:25]
	s_cbranch_execz .LBB6_80
.LBB6_308:
	s_mov_b32 s26, 0x42800000
	v_add_f32_e64 v3, |v2|, s26
	v_and_b32_e32 v3, 0xff, v3
	v_cmp_ne_u32_e32 vcc, 0, v3
	s_andn2_b64 s[20:21], s[20:21], exec
	s_and_b64 s[28:29], vcc, exec
	s_mov_b32 s26, 0
	s_or_b64 s[20:21], s[20:21], s[28:29]
	s_or_b64 exec, exec, s[24:25]
	v_mov_b32_e32 v6, s26
	s_and_saveexec_b64 s[24:25], s[20:21]
	s_cbranch_execnz .LBB6_81
	s_branch .LBB6_82
.LBB6_309:
	s_mov_b64 s[20:21], -1
                                        ; implicit-def: $vgpr2_vgpr3
	s_mov_b64 s[0:1], 0
.LBB6_310:
	s_and_b64 vcc, exec, s[22:23]
	s_cbranch_vccz .LBB6_426
; %bb.311:
	v_cmp_eq_u16_e32 vcc, 44, v11
	s_cbranch_vccz .LBB6_425
; %bb.312:
	global_load_ubyte v4, v[0:1], off
	s_movk_i32 s20, 0xff
	v_bfrev_b32_e32 v5, 4
	v_mov_b32_e32 v6, 0x7ff80000
	v_bfrev_b32_e32 v7, 28
	s_mov_b64 s[0:1], -1
	s_waitcnt vmcnt(0)
	v_lshlrev_b32_e32 v2, 23, v4
	v_cvt_f64_f32_e32 v[2:3], v2
	v_cmp_ne_u32_e32 vcc, s20, v4
	v_cndmask_b32_e32 v2, v5, v2, vcc
	v_cndmask_b32_e32 v3, v6, v3, vcc
	v_cmp_ne_u32_e32 vcc, 0, v4
	v_cndmask_b32_e32 v3, v7, v3, vcc
	v_cndmask_b32_e32 v2, 0, v2, vcc
	s_mov_b64 s[20:21], 0
	s_branch .LBB6_426
.LBB6_313:
	s_mov_b64 s[26:27], -1
	s_mov_b64 s[22:23], 0
	s_mov_b64 s[0:1], s[14:15]
.LBB6_314:
	s_and_b64 vcc, exec, s[26:27]
	s_cbranch_vccz .LBB6_319
; %bb.315:
	v_mov_b32_e32 v2, 44
	v_cmp_eq_u16_sdwa s[26:27], s33, v2 src0_sel:BYTE_0 src1_sel:DWORD
	s_mov_b64 s[0:1], -1
	s_and_b64 vcc, exec, s[26:27]
	s_cbranch_vccz .LBB6_319
; %bb.316:
	v_cvt_f32_f64_e32 v2, v[0:1]
	v_bfe_u32 v3, v2, 23, 8
	s_movk_i32 s0, 0xff
	v_cmp_ne_u32_e32 vcc, s0, v3
	v_mov_b32_e32 v6, 0xff
	s_and_saveexec_b64 s[22:23], vcc
; %bb.317:
	s_mov_b32 s0, 0x3fffff
	v_lshrrev_b32_e32 v6, 23, v2
	v_and_b32_e32 v7, 0x400000, v2
	v_and_or_b32 v2, v2, s0, v3
	v_cmp_ne_u32_e32 vcc, 0, v7
	v_cmp_ne_u32_e64 s[0:1], 0, v2
	s_and_b64 s[0:1], vcc, s[0:1]
	v_cndmask_b32_e64 v2, 0, 1, s[0:1]
	v_add_u32_e32 v6, v6, v2
; %bb.318:
	s_or_b64 exec, exec, s[22:23]
	s_mov_b64 s[22:23], -1
	s_mov_b64 s[0:1], 0
	global_store_byte v[4:5], v6, off
.LBB6_319:
	s_mov_b64 s[26:27], 0
.LBB6_320:
	s_and_b64 vcc, exec, s[26:27]
	s_cbranch_vccz .LBB6_323
; %bb.321:
	v_mov_b32_e32 v2, 29
	v_cmp_eq_u16_sdwa s[26:27], s33, v2 src0_sel:BYTE_0 src1_sel:DWORD
	s_mov_b64 s[0:1], -1
	s_and_b64 vcc, exec, s[26:27]
	s_cbranch_vccz .LBB6_323
; %bb.322:
	v_trunc_f64_e32 v[2:3], v[0:1]
	s_movk_i32 s0, 0xffe0
	v_ldexp_f64 v[6:7], v[2:3], s0
	v_floor_f64_e32 v[6:7], v[6:7]
	v_fmac_f64_e32 v[2:3], 0xc1f00000, v[6:7]
	v_cvt_u32_f64_e32 v9, v[6:7]
	v_cvt_u32_f64_e32 v8, v[2:3]
	global_store_dwordx2 v[4:5], v[8:9], off
	s_mov_b64 s[22:23], -1
	s_mov_b64 s[0:1], 0
.LBB6_323:
	s_mov_b64 s[26:27], 0
.LBB6_324:
	s_and_b64 vcc, exec, s[26:27]
	s_cbranch_vccz .LBB6_340
; %bb.325:
	v_mov_b32_e32 v2, 27
	v_cmp_lt_i16_sdwa s[26:27], s33, v2 src0_sel:BYTE_0 src1_sel:DWORD
	s_mov_b64 s[22:23], -1
	s_and_b64 vcc, exec, s[26:27]
	s_cbranch_vccnz .LBB6_331
; %bb.326:
	v_cmp_gt_i16_sdwa s[26:27], s33, v2 src0_sel:BYTE_0 src1_sel:DWORD
	s_and_b64 vcc, exec, s[26:27]
	v_cvt_u32_f64_e32 v2, v[0:1]
	s_cbranch_vccz .LBB6_328
; %bb.327:
	s_mov_b64 s[22:23], 0
	global_store_dword v[4:5], v2, off
.LBB6_328:
	s_andn2_b64 vcc, exec, s[22:23]
	s_cbranch_vccnz .LBB6_330
; %bb.329:
	global_store_short v[4:5], v2, off
.LBB6_330:
	s_mov_b64 s[22:23], 0
.LBB6_331:
	s_andn2_b64 vcc, exec, s[22:23]
	s_cbranch_vccnz .LBB6_339
; %bb.332:
	v_cvt_f32_f64_e32 v2, v[0:1]
	v_and_b32_e32 v3, 0x7fffffff, v2
	s_mov_b32 s22, 0x43800000
	v_cmp_gt_u32_e32 vcc, s22, v3
	v_mov_b32_e32 v6, 0x80
	s_and_saveexec_b64 s[22:23], vcc
	s_cbranch_execz .LBB6_338
; %bb.333:
	s_mov_b32 s26, 0x3bffffff
	v_cmp_lt_u32_e32 vcc, s26, v3
	s_mov_b64 s[26:27], 0
                                        ; implicit-def: $vgpr3
	s_and_saveexec_b64 s[28:29], vcc
	s_xor_b64 s[28:29], exec, s[28:29]
	s_cbranch_execz .LBB6_550
; %bb.334:
	v_bfe_u32 v3, v2, 20, 1
	s_mov_b32 s30, 0x487ffff
	v_add3_u32 v3, v2, v3, s30
	s_mov_b64 s[26:27], exec
	v_lshrrev_b32_e32 v3, 20, v3
	s_or_saveexec_b64 s[28:29], s[28:29]
                                        ; implicit-def: $sgpr30
	s_xor_b64 exec, exec, s[28:29]
	s_cbranch_execnz .LBB6_551
.LBB6_335:
	s_or_b64 exec, exec, s[28:29]
	v_mov_b32_e32 v6, s30
	s_and_saveexec_b64 s[28:29], s[26:27]
.LBB6_336:
	v_lshrrev_b32_e32 v2, 24, v2
	s_movk_i32 s26, 0x80
	v_and_or_b32 v6, v2, s26, v3
.LBB6_337:
	s_or_b64 exec, exec, s[28:29]
.LBB6_338:
	s_or_b64 exec, exec, s[22:23]
	global_store_byte v[4:5], v6, off
.LBB6_339:
	s_mov_b64 s[22:23], -1
.LBB6_340:
	s_mov_b64 s[26:27], 0
.LBB6_341:
	s_and_b64 vcc, exec, s[26:27]
	s_cbranch_vccz .LBB6_382
; %bb.342:
	v_mov_b32_e32 v2, 22
	v_cmp_gt_i16_sdwa s[28:29], s33, v2 src0_sel:BYTE_0 src1_sel:DWORD
	s_mov_b64 s[26:27], -1
	s_and_b64 vcc, exec, s[28:29]
	s_cbranch_vccz .LBB6_374
; %bb.343:
	v_mov_b32_e32 v2, 24
	v_cmp_lt_i16_sdwa s[26:27], s33, v2 src0_sel:BYTE_0 src1_sel:DWORD
	s_mov_b64 s[22:23], -1
	s_and_b64 vcc, exec, s[26:27]
	s_cbranch_vccnz .LBB6_363
; %bb.344:
	v_cmp_gt_i16_sdwa s[26:27], s33, v2 src0_sel:BYTE_0 src1_sel:DWORD
	s_and_b64 vcc, exec, s[26:27]
	s_cbranch_vccz .LBB6_352
; %bb.345:
	v_cvt_f32_f64_e32 v2, v[0:1]
	v_and_b32_e32 v3, 0x7fffffff, v2
	s_mov_b32 s22, 0x47800000
	v_cmp_gt_u32_e32 vcc, s22, v3
	v_mov_b32_e32 v6, 0x80
	s_and_saveexec_b64 s[22:23], vcc
	s_cbranch_execz .LBB6_351
; %bb.346:
	s_mov_b32 s26, 0x37ffffff
	v_cmp_lt_u32_e32 vcc, s26, v3
	s_mov_b64 s[26:27], 0
                                        ; implicit-def: $vgpr3
	s_and_saveexec_b64 s[28:29], vcc
	s_xor_b64 s[28:29], exec, s[28:29]
	s_cbranch_execz .LBB6_553
; %bb.347:
	v_bfe_u32 v3, v2, 21, 1
	s_mov_b32 s30, 0x88fffff
	v_add3_u32 v3, v2, v3, s30
	s_mov_b64 s[26:27], exec
	v_lshrrev_b32_e32 v3, 21, v3
	s_or_saveexec_b64 s[28:29], s[28:29]
                                        ; implicit-def: $sgpr30
	s_xor_b64 exec, exec, s[28:29]
	s_cbranch_execnz .LBB6_554
.LBB6_348:
	s_or_b64 exec, exec, s[28:29]
	v_mov_b32_e32 v6, s30
	s_and_saveexec_b64 s[28:29], s[26:27]
.LBB6_349:
	v_lshrrev_b32_e32 v2, 24, v2
	s_movk_i32 s26, 0x80
	v_and_or_b32 v6, v2, s26, v3
.LBB6_350:
	s_or_b64 exec, exec, s[28:29]
.LBB6_351:
	s_or_b64 exec, exec, s[22:23]
	s_mov_b64 s[22:23], 0
	global_store_byte v[4:5], v6, off
.LBB6_352:
	s_and_b64 vcc, exec, s[22:23]
	s_cbranch_vccz .LBB6_362
; %bb.353:
	v_cvt_f32_f64_e32 v2, v[0:1]
	v_and_b32_e32 v6, 0x7fffffff, v2
	s_mov_b32 s22, 0x43f00000
	v_cmp_gt_u32_e32 vcc, s22, v6
                                        ; implicit-def: $vgpr3
	s_and_saveexec_b64 s[22:23], vcc
	s_xor_b64 s[22:23], exec, s[22:23]
	s_cbranch_execz .LBB6_359
; %bb.354:
	s_mov_b32 s26, 0x3c7fffff
	v_cmp_lt_u32_e32 vcc, s26, v6
                                        ; implicit-def: $vgpr3
	s_and_saveexec_b64 s[26:27], vcc
	s_xor_b64 s[26:27], exec, s[26:27]
; %bb.355:
	v_bfe_u32 v3, v2, 20, 1
	s_mov_b32 s28, 0x407ffff
	v_add3_u32 v3, v2, v3, s28
	v_lshrrev_b32_e32 v6, 20, v3
	v_and_b32_e32 v3, 0xff00000, v3
	s_mov_b32 s28, 0x7f00000
	v_mov_b32_e32 v7, 0x7e
	v_cmp_ne_u32_e32 vcc, s28, v3
	v_cndmask_b32_e32 v3, v7, v6, vcc
; %bb.356:
	s_andn2_saveexec_b64 s[26:27], s[26:27]
; %bb.357:
	s_mov_b32 s28, 0x46800000
	v_add_f32_e64 v3, |v2|, s28
; %bb.358:
	s_or_b64 exec, exec, s[26:27]
                                        ; implicit-def: $vgpr6
.LBB6_359:
	s_andn2_saveexec_b64 s[22:23], s[22:23]
; %bb.360:
	s_mov_b32 s26, 0x7f800000
	v_mov_b32_e32 v3, 0x7e
	v_mov_b32_e32 v7, 0x7f
	v_cmp_lt_u32_e32 vcc, s26, v6
	v_cndmask_b32_e32 v3, v3, v7, vcc
; %bb.361:
	s_or_b64 exec, exec, s[22:23]
	v_lshrrev_b32_e32 v2, 24, v2
	s_movk_i32 s22, 0x80
	v_and_or_b32 v2, v2, s22, v3
	global_store_byte v[4:5], v2, off
.LBB6_362:
	s_mov_b64 s[22:23], 0
.LBB6_363:
	s_andn2_b64 vcc, exec, s[22:23]
	s_cbranch_vccnz .LBB6_373
; %bb.364:
	v_cvt_f32_f64_e32 v2, v[0:1]
	v_and_b32_e32 v6, 0x7fffffff, v2
	s_mov_b32 s22, 0x47800000
	v_cmp_gt_u32_e32 vcc, s22, v6
                                        ; implicit-def: $vgpr3
	s_and_saveexec_b64 s[22:23], vcc
	s_xor_b64 s[22:23], exec, s[22:23]
	s_cbranch_execz .LBB6_370
; %bb.365:
	s_mov_b32 s26, 0x387fffff
	v_cmp_lt_u32_e32 vcc, s26, v6
                                        ; implicit-def: $vgpr3
	s_and_saveexec_b64 s[26:27], vcc
	s_xor_b64 s[26:27], exec, s[26:27]
; %bb.366:
	v_bfe_u32 v3, v2, 21, 1
	s_mov_b32 s28, 0x80fffff
	v_add3_u32 v3, v2, v3, s28
	v_lshrrev_b32_e32 v3, 21, v3
; %bb.367:
	s_andn2_saveexec_b64 s[26:27], s[26:27]
; %bb.368:
	s_mov_b32 s28, 0x43000000
	v_add_f32_e64 v3, |v2|, s28
; %bb.369:
	s_or_b64 exec, exec, s[26:27]
                                        ; implicit-def: $vgpr6
.LBB6_370:
	s_andn2_saveexec_b64 s[22:23], s[22:23]
; %bb.371:
	s_mov_b32 s26, 0x7f800000
	v_mov_b32_e32 v3, 0x7c
	v_mov_b32_e32 v7, 0x7f
	v_cmp_lt_u32_e32 vcc, s26, v6
	v_cndmask_b32_e32 v3, v3, v7, vcc
; %bb.372:
	s_or_b64 exec, exec, s[22:23]
	v_lshrrev_b32_e32 v2, 24, v2
	s_movk_i32 s22, 0x80
	v_and_or_b32 v2, v2, s22, v3
	global_store_byte v[4:5], v2, off
.LBB6_373:
	s_mov_b64 s[26:27], 0
	s_mov_b64 s[22:23], -1
.LBB6_374:
	s_andn2_b64 vcc, exec, s[26:27]
	s_cbranch_vccnz .LBB6_382
; %bb.375:
	v_mov_b32_e32 v2, 14
	v_cmp_gt_i16_sdwa s[28:29], s33, v2 src0_sel:BYTE_0 src1_sel:DWORD
	s_mov_b64 s[26:27], -1
	s_and_b64 vcc, exec, s[28:29]
	s_cbranch_vccz .LBB6_379
; %bb.376:
	v_mov_b32_e32 v2, 15
	v_cmp_eq_u16_sdwa s[26:27], s33, v2 src0_sel:BYTE_0 src1_sel:DWORD
	s_mov_b64 s[0:1], -1
	s_and_b64 vcc, exec, s[26:27]
	s_cbranch_vccz .LBB6_378
; %bb.377:
	v_cvt_f32_f64_e32 v2, v[0:1]
	v_bfe_u32 v3, v2, 16, 1
	s_movk_i32 s0, 0x7fff
	v_add3_u32 v3, v2, v3, s0
	v_lshrrev_b32_e32 v3, 16, v3
	v_mov_b32_e32 v6, 0x7fc0
	v_cmp_o_f32_e32 vcc, v2, v2
	v_cndmask_b32_e32 v2, v6, v3, vcc
	global_store_short v[4:5], v2, off
	s_mov_b64 s[22:23], -1
	s_mov_b64 s[0:1], 0
.LBB6_378:
	s_mov_b64 s[26:27], 0
.LBB6_379:
	s_and_b64 vcc, exec, s[26:27]
	s_cbranch_vccz .LBB6_382
; %bb.380:
	v_mov_b32_e32 v2, 11
	v_cmp_eq_u16_sdwa s[26:27], s33, v2 src0_sel:BYTE_0 src1_sel:DWORD
	s_mov_b64 s[0:1], -1
	s_and_b64 vcc, exec, s[26:27]
	s_cbranch_vccz .LBB6_382
; %bb.381:
	v_cmp_neq_f64_e32 vcc, 0, v[0:1]
	s_mov_b64 s[0:1], 0
	v_cndmask_b32_e64 v2, 0, 1, vcc
	s_mov_b64 s[22:23], -1
	global_store_byte v[4:5], v2, off
.LBB6_382:
	s_mov_b64 s[26:27], 0
.LBB6_383:
	s_and_b64 vcc, exec, s[26:27]
	s_cbranch_vccz .LBB6_422
; %bb.384:
	v_mov_b32_e32 v2, 5
	v_cmp_lt_i16_sdwa s[26:27], s33, v2 src0_sel:BYTE_0 src1_sel:DWORD
	s_mov_b64 s[22:23], -1
	s_and_b64 vcc, exec, s[26:27]
	s_cbranch_vccnz .LBB6_405
; %bb.385:
	v_mov_b32_e32 v2, 8
	v_cmp_lt_i16_sdwa s[26:27], s33, v2 src0_sel:BYTE_0 src1_sel:DWORD
	s_and_b64 vcc, exec, s[26:27]
	s_cbranch_vccnz .LBB6_395
; %bb.386:
	v_mov_b32_e32 v2, 9
	v_cmp_lt_i16_sdwa s[26:27], s33, v2 src0_sel:BYTE_0 src1_sel:DWORD
	s_and_b64 vcc, exec, s[26:27]
	s_cbranch_vccnz .LBB6_392
; %bb.387:
	v_cmp_gt_i16_sdwa s[26:27], s33, v2 src0_sel:BYTE_0 src1_sel:DWORD
	s_and_b64 vcc, exec, s[26:27]
	s_cbranch_vccz .LBB6_389
; %bb.388:
	v_mov_b32_e32 v2, 0
	v_mov_b32_e32 v3, v2
	s_mov_b64 s[22:23], 0
	global_store_dwordx4 v[4:5], v[0:3], off
.LBB6_389:
	s_andn2_b64 vcc, exec, s[22:23]
	s_cbranch_vccnz .LBB6_391
; %bb.390:
	v_cvt_f32_f64_e32 v2, v[0:1]
	v_mov_b32_e32 v3, 0
	global_store_dwordx2 v[4:5], v[2:3], off
.LBB6_391:
	s_mov_b64 s[22:23], 0
.LBB6_392:
	s_andn2_b64 vcc, exec, s[22:23]
	s_cbranch_vccnz .LBB6_394
; %bb.393:
	v_cvt_f32_f64_e32 v2, v[0:1]
	v_cvt_f16_f32_e32 v2, v2
	global_store_dword v[4:5], v2, off
.LBB6_394:
	s_mov_b64 s[22:23], 0
.LBB6_395:
	s_andn2_b64 vcc, exec, s[22:23]
	s_cbranch_vccnz .LBB6_404
; %bb.396:
	v_mov_b32_e32 v2, 6
	v_cmp_lt_i16_sdwa s[26:27], s33, v2 src0_sel:BYTE_0 src1_sel:DWORD
	s_mov_b64 s[22:23], -1
	s_and_b64 vcc, exec, s[26:27]
	s_cbranch_vccnz .LBB6_402
; %bb.397:
	v_cmp_gt_i16_sdwa s[26:27], s33, v2 src0_sel:BYTE_0 src1_sel:DWORD
	s_and_b64 vcc, exec, s[26:27]
	s_cbranch_vccz .LBB6_399
; %bb.398:
	s_mov_b64 s[22:23], 0
	global_store_dwordx2 v[4:5], v[0:1], off
.LBB6_399:
	s_andn2_b64 vcc, exec, s[22:23]
	s_cbranch_vccnz .LBB6_401
; %bb.400:
	v_cvt_f32_f64_e32 v2, v[0:1]
	global_store_dword v[4:5], v2, off
.LBB6_401:
	s_mov_b64 s[22:23], 0
.LBB6_402:
	s_andn2_b64 vcc, exec, s[22:23]
	s_cbranch_vccnz .LBB6_404
; %bb.403:
	v_cvt_f32_f64_e32 v2, v[0:1]
	v_cvt_f16_f32_e32 v2, v2
	global_store_short v[4:5], v2, off
.LBB6_404:
	s_mov_b64 s[22:23], 0
.LBB6_405:
	s_andn2_b64 vcc, exec, s[22:23]
	s_cbranch_vccnz .LBB6_421
; %bb.406:
	v_mov_b32_e32 v2, 2
	v_cmp_lt_i16_sdwa s[26:27], s33, v2 src0_sel:BYTE_0 src1_sel:DWORD
	s_mov_b64 s[22:23], -1
	s_and_b64 vcc, exec, s[26:27]
	s_cbranch_vccnz .LBB6_416
; %bb.407:
	v_mov_b32_e32 v2, 3
	v_cmp_lt_i16_sdwa s[26:27], s33, v2 src0_sel:BYTE_0 src1_sel:DWORD
	s_and_b64 vcc, exec, s[26:27]
	s_cbranch_vccnz .LBB6_413
; %bb.408:
	v_cmp_gt_i16_sdwa s[26:27], s33, v2 src0_sel:BYTE_0 src1_sel:DWORD
	s_and_b64 vcc, exec, s[26:27]
	s_cbranch_vccz .LBB6_410
; %bb.409:
	v_trunc_f64_e32 v[2:3], v[0:1]
	s_movk_i32 s22, 0xffe0
	v_ldexp_f64 v[6:7], v[2:3], s22
	v_floor_f64_e32 v[6:7], v[6:7]
	v_fmac_f64_e32 v[2:3], 0xc1f00000, v[6:7]
	v_cvt_i32_f64_e32 v9, v[6:7]
	v_cvt_u32_f64_e32 v8, v[2:3]
	s_mov_b64 s[22:23], 0
	global_store_dwordx2 v[4:5], v[8:9], off
.LBB6_410:
	s_andn2_b64 vcc, exec, s[22:23]
	s_cbranch_vccnz .LBB6_412
; %bb.411:
	v_cvt_i32_f64_e32 v2, v[0:1]
	global_store_dword v[4:5], v2, off
.LBB6_412:
	s_mov_b64 s[22:23], 0
.LBB6_413:
	s_andn2_b64 vcc, exec, s[22:23]
	s_cbranch_vccnz .LBB6_415
; %bb.414:
	v_cvt_i32_f64_e32 v2, v[0:1]
	global_store_short v[4:5], v2, off
.LBB6_415:
	s_mov_b64 s[22:23], 0
.LBB6_416:
	s_andn2_b64 vcc, exec, s[22:23]
	s_cbranch_vccnz .LBB6_421
; %bb.417:
	v_mov_b32_e32 v2, 0
	v_cmp_gt_i16_sdwa s[26:27], s33, v2 src0_sel:BYTE_0 src1_sel:DWORD
	s_mov_b64 s[22:23], -1
	s_and_b64 vcc, exec, s[26:27]
	s_cbranch_vccz .LBB6_419
; %bb.418:
	v_cvt_i32_f64_e32 v2, v[0:1]
	s_mov_b64 s[22:23], 0
	global_store_byte v[4:5], v2, off
.LBB6_419:
	s_andn2_b64 vcc, exec, s[22:23]
	s_cbranch_vccnz .LBB6_421
; %bb.420:
	v_trunc_f64_e32 v[0:1], v[0:1]
	s_movk_i32 s22, 0xffe0
	v_ldexp_f64 v[2:3], v[0:1], s22
	v_floor_f64_e32 v[2:3], v[2:3]
	v_fmac_f64_e32 v[0:1], 0xc1f00000, v[2:3]
	v_cvt_u32_f64_e32 v0, v[0:1]
	global_store_byte v[4:5], v0, off
.LBB6_421:
	s_mov_b64 s[22:23], -1
.LBB6_422:
	s_andn2_b64 vcc, exec, s[22:23]
	s_cbranch_vccnz .LBB6_424
; %bb.423:
	v_add_u32_e32 v10, 0x80, v10
	s_mov_b64 s[26:27], -1
	s_branch .LBB6_536
.LBB6_424:
	s_mov_b64 s[26:27], 0
                                        ; implicit-def: $vgpr10
	s_branch .LBB6_536
.LBB6_425:
	s_mov_b64 s[20:21], -1
                                        ; implicit-def: $vgpr2_vgpr3
.LBB6_426:
	s_mov_b64 s[22:23], 0
.LBB6_427:
	s_and_b64 vcc, exec, s[22:23]
	s_cbranch_vccz .LBB6_431
; %bb.428:
	v_cmp_eq_u16_e32 vcc, 29, v11
	s_cbranch_vccz .LBB6_430
; %bb.429:
	global_load_dwordx2 v[2:3], v[0:1], off
	s_mov_b64 s[0:1], -1
	s_mov_b64 s[20:21], 0
	s_mov_b64 s[22:23], 0
	s_waitcnt vmcnt(0)
	v_cvt_f64_u32_e32 v[4:5], v3
	v_cvt_f64_u32_e32 v[2:3], v2
	v_ldexp_f64 v[4:5], v[4:5], 32
	v_add_f64 v[2:3], v[4:5], v[2:3]
	s_branch .LBB6_432
.LBB6_430:
	s_mov_b64 s[20:21], -1
                                        ; implicit-def: $vgpr2_vgpr3
.LBB6_431:
	s_mov_b64 s[22:23], 0
.LBB6_432:
	s_and_b64 vcc, exec, s[22:23]
	s_cbranch_vccz .LBB6_450
; %bb.433:
	v_cmp_gt_i16_e32 vcc, 27, v11
	s_cbranch_vccnz .LBB6_436
; %bb.434:
	v_cmp_lt_i16_e32 vcc, 27, v11
	s_cbranch_vccz .LBB6_437
; %bb.435:
	global_load_dword v2, v[0:1], off
	s_mov_b64 s[0:1], 0
	s_waitcnt vmcnt(0)
	v_cvt_f64_u32_e32 v[2:3], v2
	s_branch .LBB6_438
.LBB6_436:
	s_mov_b64 s[0:1], -1
                                        ; implicit-def: $vgpr2_vgpr3
	s_branch .LBB6_441
.LBB6_437:
	s_mov_b64 s[0:1], -1
                                        ; implicit-def: $vgpr2_vgpr3
.LBB6_438:
	s_andn2_b64 vcc, exec, s[0:1]
	s_cbranch_vccnz .LBB6_440
; %bb.439:
	global_load_ushort v2, v[0:1], off
	s_waitcnt vmcnt(0)
	v_cvt_f64_u32_e32 v[2:3], v2
.LBB6_440:
	s_mov_b64 s[0:1], 0
.LBB6_441:
	s_andn2_b64 vcc, exec, s[0:1]
	s_cbranch_vccnz .LBB6_449
; %bb.442:
	global_load_ubyte v4, v[0:1], off
	s_movk_i32 s0, 0x7f
                                        ; implicit-def: $sgpr22_sgpr23
	s_waitcnt vmcnt(0)
	v_cmp_lt_i16_e32 vcc, s0, v4
	s_mov_b64 s[0:1], 0
	s_and_saveexec_b64 s[26:27], vcc
	s_xor_b64 s[26:27], exec, s[26:27]
	s_cbranch_execz .LBB6_463
; %bb.443:
	s_movk_i32 s0, 0x80
	v_cmp_eq_u16_e32 vcc, s0, v4
	s_mov_b64 s[28:29], -1
                                        ; implicit-def: $sgpr22_sgpr23
	s_and_saveexec_b64 s[0:1], vcc
; %bb.444:
	s_mov_b32 s23, 0x7ff80000
	s_brev_b32 s22, 4
	s_xor_b64 s[28:29], exec, -1
; %bb.445:
	s_or_b64 exec, exec, s[0:1]
	s_and_b64 s[0:1], s[28:29], exec
	s_or_saveexec_b64 s[26:27], s[26:27]
	v_pk_mov_b32 v[2:3], s[22:23], s[22:23] op_sel:[0,1]
	s_xor_b64 exec, exec, s[26:27]
	s_cbranch_execnz .LBB6_464
.LBB6_446:
	s_or_b64 exec, exec, s[26:27]
	s_and_saveexec_b64 s[22:23], s[0:1]
	s_cbranch_execz .LBB6_448
.LBB6_447:
	v_and_b32_e32 v3, 0xffff, v4
	v_lshlrev_b32_e32 v2, 24, v4
	v_and_b32_e32 v4, 7, v3
	v_ffbh_u32_e32 v6, v4
	v_min_u32_e32 v6, 32, v6
	v_subrev_u32_e32 v7, 28, v6
	v_bfe_u32 v5, v3, 3, 4
	v_lshlrev_b32_e32 v3, v7, v3
	v_sub_u32_e32 v6, 29, v6
	v_and_b32_e32 v3, 7, v3
	v_cmp_eq_u32_e32 vcc, 0, v5
	v_cndmask_b32_e32 v5, v5, v6, vcc
	v_cndmask_b32_e32 v3, v4, v3, vcc
	v_mov_b32_e32 v4, 0x3b800000
	v_lshlrev_b32_e32 v3, 20, v3
	v_and_b32_e32 v2, 0x80000000, v2
	v_lshl_add_u32 v4, v5, 23, v4
	v_or3_b32 v2, v2, v4, v3
	v_cvt_f64_f32_e32 v[2:3], v2
.LBB6_448:
	s_or_b64 exec, exec, s[22:23]
.LBB6_449:
	s_mov_b64 s[0:1], -1
.LBB6_450:
	s_mov_b64 s[22:23], 0
.LBB6_451:
	s_and_b64 vcc, exec, s[22:23]
	s_cbranch_vccz .LBB6_486
; %bb.452:
	v_cmp_lt_i16_e32 vcc, 22, v11
	s_cbranch_vccz .LBB6_462
; %bb.453:
	v_cmp_gt_i16_e32 vcc, 24, v11
	s_cbranch_vccnz .LBB6_465
; %bb.454:
	v_cmp_lt_i16_e32 vcc, 24, v11
	s_cbranch_vccz .LBB6_466
; %bb.455:
	global_load_ubyte v4, v[0:1], off
	s_movk_i32 s0, 0x7f
                                        ; implicit-def: $sgpr22_sgpr23
	s_waitcnt vmcnt(0)
	v_cmp_lt_i16_e32 vcc, s0, v4
	s_mov_b64 s[0:1], 0
	s_and_saveexec_b64 s[26:27], vcc
	s_xor_b64 s[26:27], exec, s[26:27]
	s_cbranch_execz .LBB6_478
; %bb.456:
	s_movk_i32 s0, 0x80
	v_cmp_eq_u16_e32 vcc, s0, v4
	s_mov_b64 s[28:29], -1
                                        ; implicit-def: $sgpr22_sgpr23
	s_and_saveexec_b64 s[0:1], vcc
; %bb.457:
	s_mov_b32 s23, 0x7ff80000
	s_brev_b32 s22, 4
	s_xor_b64 s[28:29], exec, -1
; %bb.458:
	s_or_b64 exec, exec, s[0:1]
	s_and_b64 s[0:1], s[28:29], exec
	s_or_saveexec_b64 s[26:27], s[26:27]
	v_pk_mov_b32 v[2:3], s[22:23], s[22:23] op_sel:[0,1]
	s_xor_b64 exec, exec, s[26:27]
	s_cbranch_execnz .LBB6_479
.LBB6_459:
	s_or_b64 exec, exec, s[26:27]
	s_and_saveexec_b64 s[22:23], s[0:1]
	s_cbranch_execz .LBB6_461
.LBB6_460:
	v_and_b32_e32 v3, 0xffff, v4
	v_lshlrev_b32_e32 v2, 24, v4
	v_and_b32_e32 v4, 3, v3
	v_ffbh_u32_e32 v6, v4
	v_min_u32_e32 v6, 32, v6
	v_subrev_u32_e32 v7, 29, v6
	v_bfe_u32 v5, v3, 2, 5
	v_lshlrev_b32_e32 v3, v7, v3
	v_sub_u32_e32 v6, 30, v6
	v_and_b32_e32 v3, 3, v3
	v_cmp_eq_u32_e32 vcc, 0, v5
	v_cndmask_b32_e32 v5, v5, v6, vcc
	v_cndmask_b32_e32 v3, v4, v3, vcc
	v_mov_b32_e32 v4, 0x37800000
	v_lshlrev_b32_e32 v3, 21, v3
	v_and_b32_e32 v2, 0x80000000, v2
	v_lshl_add_u32 v4, v5, 23, v4
	v_or3_b32 v2, v2, v4, v3
	v_cvt_f64_f32_e32 v[2:3], v2
.LBB6_461:
	s_or_b64 exec, exec, s[22:23]
	s_mov_b64 s[0:1], 0
	s_branch .LBB6_467
.LBB6_462:
	s_mov_b64 s[22:23], -1
                                        ; implicit-def: $vgpr2_vgpr3
	s_branch .LBB6_473
.LBB6_463:
	s_or_saveexec_b64 s[26:27], s[26:27]
	v_pk_mov_b32 v[2:3], s[22:23], s[22:23] op_sel:[0,1]
	s_xor_b64 exec, exec, s[26:27]
	s_cbranch_execz .LBB6_446
.LBB6_464:
	v_cmp_ne_u16_e32 vcc, 0, v4
	s_andn2_b64 s[0:1], s[0:1], exec
	s_and_b64 s[22:23], vcc, exec
	v_pk_mov_b32 v[2:3], 0, 0
	s_or_b64 s[0:1], s[0:1], s[22:23]
	s_or_b64 exec, exec, s[26:27]
	s_and_saveexec_b64 s[22:23], s[0:1]
	s_cbranch_execnz .LBB6_447
	s_branch .LBB6_448
.LBB6_465:
	s_mov_b64 s[0:1], -1
                                        ; implicit-def: $vgpr2_vgpr3
	s_branch .LBB6_470
.LBB6_466:
	s_mov_b64 s[0:1], -1
                                        ; implicit-def: $vgpr2_vgpr3
.LBB6_467:
	s_and_b64 vcc, exec, s[0:1]
	s_cbranch_vccz .LBB6_469
; %bb.468:
	global_load_ubyte v2, v[0:1], off
	s_mov_b32 s0, 0x7f800000
	s_waitcnt vmcnt(0)
	v_lshlrev_b32_e32 v2, 24, v2
	v_and_b32_e32 v3, 0x7f000000, v2
	v_ffbh_u32_e32 v4, v3
	v_min_u32_e32 v4, 32, v4
	v_sub_u32_e64 v4, v4, 4 clamp
	v_lshlrev_b32_e32 v6, v4, v3
	v_lshlrev_b32_e32 v4, 23, v4
	v_lshrrev_b32_e32 v6, 4, v6
	v_add_u32_e32 v5, 0x1000000, v3
	v_sub_u32_e32 v4, v6, v4
	v_ashrrev_i32_e32 v5, 8, v5
	v_add_u32_e32 v4, 0x3c000000, v4
	v_and_or_b32 v4, v5, s0, v4
	v_cmp_ne_u32_e32 vcc, 0, v3
	v_cndmask_b32_e32 v3, 0, v4, vcc
	s_brev_b32 s0, 1
	v_and_or_b32 v2, v2, s0, v3
	v_cvt_f64_f32_e32 v[2:3], v2
.LBB6_469:
	s_mov_b64 s[0:1], 0
.LBB6_470:
	s_andn2_b64 vcc, exec, s[0:1]
	s_cbranch_vccnz .LBB6_472
; %bb.471:
	global_load_ubyte v2, v[0:1], off
	s_movk_i32 s0, 0x7f00
	s_brev_b32 s1, 16
	s_waitcnt vmcnt(0)
	v_lshlrev_b16_e32 v3, 8, v2
	v_lshlrev_b32_e32 v2, 25, v2
	v_lshrrev_b32_e32 v4, 4, v2
	v_and_or_b32 v5, v3, s0, 0.5
	v_or_b32_e32 v4, 0x70000000, v4
	v_add_f32_e32 v5, -0.5, v5
	v_mul_f32_e32 v4, 0x7800000, v4
	v_cmp_gt_u32_e32 vcc, s1, v2
	v_bfe_i32 v3, v3, 0, 16
	v_cndmask_b32_e32 v2, v4, v5, vcc
	s_brev_b32 s0, 1
	v_and_or_b32 v2, v3, s0, v2
	v_cvt_f64_f32_e32 v[2:3], v2
.LBB6_472:
	s_mov_b64 s[22:23], 0
	s_mov_b64 s[0:1], -1
.LBB6_473:
	s_andn2_b64 vcc, exec, s[22:23]
	s_cbranch_vccnz .LBB6_486
; %bb.474:
	v_cmp_lt_i16_e32 vcc, 14, v11
	s_cbranch_vccz .LBB6_477
; %bb.475:
	v_cmp_eq_u16_e32 vcc, 15, v11
	s_cbranch_vccz .LBB6_480
; %bb.476:
	global_load_ushort v2, v[0:1], off
	s_mov_b64 s[0:1], -1
	s_mov_b64 s[20:21], 0
	s_waitcnt vmcnt(0)
	v_lshlrev_b32_e32 v2, 16, v2
	v_cvt_f64_f32_e32 v[2:3], v2
	s_branch .LBB6_481
.LBB6_477:
	s_mov_b64 s[22:23], -1
                                        ; implicit-def: $vgpr2_vgpr3
	s_branch .LBB6_482
.LBB6_478:
	s_or_saveexec_b64 s[26:27], s[26:27]
	v_pk_mov_b32 v[2:3], s[22:23], s[22:23] op_sel:[0,1]
	s_xor_b64 exec, exec, s[26:27]
	s_cbranch_execz .LBB6_459
.LBB6_479:
	v_cmp_ne_u16_e32 vcc, 0, v4
	s_andn2_b64 s[0:1], s[0:1], exec
	s_and_b64 s[22:23], vcc, exec
	v_pk_mov_b32 v[2:3], 0, 0
	s_or_b64 s[0:1], s[0:1], s[22:23]
	s_or_b64 exec, exec, s[26:27]
	s_and_saveexec_b64 s[22:23], s[0:1]
	s_cbranch_execnz .LBB6_460
	s_branch .LBB6_461
.LBB6_480:
	s_mov_b64 s[20:21], -1
                                        ; implicit-def: $vgpr2_vgpr3
.LBB6_481:
	s_mov_b64 s[22:23], 0
.LBB6_482:
	s_and_b64 vcc, exec, s[22:23]
	s_cbranch_vccz .LBB6_486
; %bb.483:
	v_cmp_eq_u16_e32 vcc, 11, v11
	s_cbranch_vccz .LBB6_485
; %bb.484:
	global_load_ubyte v3, v[0:1], off
	v_mov_b32_e32 v4, 0x3ff00000
	v_mov_b32_e32 v2, 0
	s_mov_b64 s[0:1], -1
	s_mov_b64 s[20:21], 0
	s_waitcnt vmcnt(0)
	v_cmp_ne_u16_e32 vcc, 0, v3
	v_cndmask_b32_e32 v3, 0, v4, vcc
	s_branch .LBB6_486
.LBB6_485:
	s_mov_b64 s[20:21], -1
                                        ; implicit-def: $vgpr2_vgpr3
.LBB6_486:
	s_branch .LBB6_277
.LBB6_487:
	v_cmp_gt_i16_e32 vcc, 5, v11
	s_cbranch_vccnz .LBB6_492
; %bb.488:
	v_cmp_gt_i16_e32 vcc, 8, v11
	s_cbranch_vccnz .LBB6_493
; %bb.489:
	;; [unrolled: 3-line block ×3, first 2 shown]
	v_cmp_lt_i16_e32 vcc, 9, v11
	s_cbranch_vccz .LBB6_495
; %bb.491:
	global_load_dwordx2 v[2:3], v[0:1], off
	s_mov_b64 s[0:1], 0
	s_branch .LBB6_496
.LBB6_492:
	s_mov_b64 s[0:1], -1
                                        ; implicit-def: $vgpr2_vgpr3
	s_branch .LBB6_514
.LBB6_493:
	s_mov_b64 s[0:1], -1
                                        ; implicit-def: $vgpr2_vgpr3
	s_branch .LBB6_502
.LBB6_494:
	s_mov_b64 s[0:1], -1
                                        ; implicit-def: $vgpr2_vgpr3
	s_branch .LBB6_499
.LBB6_495:
	s_mov_b64 s[0:1], -1
                                        ; implicit-def: $vgpr2_vgpr3
.LBB6_496:
	s_andn2_b64 vcc, exec, s[0:1]
	s_cbranch_vccnz .LBB6_498
; %bb.497:
	global_load_dword v2, v[0:1], off
	s_waitcnt vmcnt(0)
	v_cvt_f64_f32_e32 v[2:3], v2
.LBB6_498:
	s_mov_b64 s[0:1], 0
.LBB6_499:
	s_andn2_b64 vcc, exec, s[0:1]
	s_cbranch_vccnz .LBB6_501
; %bb.500:
	global_load_dword v2, v[0:1], off
	s_waitcnt vmcnt(0)
	v_cvt_f32_f16_e32 v2, v2
	v_cvt_f64_f32_e32 v[2:3], v2
.LBB6_501:
	s_mov_b64 s[0:1], 0
.LBB6_502:
	s_andn2_b64 vcc, exec, s[0:1]
	s_cbranch_vccnz .LBB6_513
; %bb.503:
	v_cmp_gt_i16_e32 vcc, 6, v11
	s_cbranch_vccnz .LBB6_506
; %bb.504:
	v_cmp_lt_i16_e32 vcc, 6, v11
	s_cbranch_vccz .LBB6_507
; %bb.505:
	global_load_dwordx2 v[2:3], v[0:1], off
	s_mov_b64 s[0:1], 0
	s_branch .LBB6_508
.LBB6_506:
	s_mov_b64 s[0:1], -1
                                        ; implicit-def: $vgpr2_vgpr3
	s_branch .LBB6_511
.LBB6_507:
	s_mov_b64 s[0:1], -1
                                        ; implicit-def: $vgpr2_vgpr3
.LBB6_508:
	s_andn2_b64 vcc, exec, s[0:1]
	s_cbranch_vccnz .LBB6_510
; %bb.509:
	global_load_dword v2, v[0:1], off
	s_waitcnt vmcnt(0)
	v_cvt_f64_f32_e32 v[2:3], v2
.LBB6_510:
	s_mov_b64 s[0:1], 0
.LBB6_511:
	s_andn2_b64 vcc, exec, s[0:1]
	s_cbranch_vccnz .LBB6_513
; %bb.512:
	global_load_ushort v2, v[0:1], off
	s_waitcnt vmcnt(0)
	v_cvt_f32_f16_e32 v2, v2
	v_cvt_f64_f32_e32 v[2:3], v2
.LBB6_513:
	s_mov_b64 s[0:1], 0
.LBB6_514:
	s_andn2_b64 vcc, exec, s[0:1]
	s_cbranch_vccnz .LBB6_534
; %bb.515:
	v_cmp_gt_i16_e32 vcc, 2, v11
	s_cbranch_vccnz .LBB6_519
; %bb.516:
	v_cmp_gt_i16_e32 vcc, 3, v11
	s_cbranch_vccnz .LBB6_520
; %bb.517:
	v_cmp_lt_i16_e32 vcc, 3, v11
	s_cbranch_vccz .LBB6_521
; %bb.518:
	global_load_dwordx2 v[2:3], v[0:1], off
	s_mov_b64 s[0:1], 0
	s_waitcnt vmcnt(0)
	v_cvt_f64_i32_e32 v[4:5], v3
	v_cvt_f64_u32_e32 v[2:3], v2
	v_ldexp_f64 v[4:5], v[4:5], 32
	v_add_f64 v[2:3], v[4:5], v[2:3]
	s_branch .LBB6_522
.LBB6_519:
	s_mov_b64 s[0:1], -1
                                        ; implicit-def: $vgpr2_vgpr3
	s_branch .LBB6_528
.LBB6_520:
	s_mov_b64 s[0:1], -1
                                        ; implicit-def: $vgpr2_vgpr3
	s_branch .LBB6_525
.LBB6_521:
	s_mov_b64 s[0:1], -1
                                        ; implicit-def: $vgpr2_vgpr3
.LBB6_522:
	s_andn2_b64 vcc, exec, s[0:1]
	s_cbranch_vccnz .LBB6_524
; %bb.523:
	global_load_dword v2, v[0:1], off
	s_waitcnt vmcnt(0)
	v_cvt_f64_i32_e32 v[2:3], v2
.LBB6_524:
	s_mov_b64 s[0:1], 0
.LBB6_525:
	s_andn2_b64 vcc, exec, s[0:1]
	s_cbranch_vccnz .LBB6_527
; %bb.526:
	global_load_sshort v2, v[0:1], off
	s_waitcnt vmcnt(0)
	v_cvt_f64_i32_e32 v[2:3], v2
.LBB6_527:
	s_mov_b64 s[0:1], 0
.LBB6_528:
	s_andn2_b64 vcc, exec, s[0:1]
	s_cbranch_vccnz .LBB6_534
; %bb.529:
	v_cmp_lt_i16_e32 vcc, 0, v11
	s_cbranch_vccz .LBB6_531
; %bb.530:
	global_load_sbyte v2, v[0:1], off
	s_mov_b64 s[0:1], 0
	s_waitcnt vmcnt(0)
	v_cvt_f64_i32_e32 v[2:3], v2
	s_branch .LBB6_532
.LBB6_531:
	s_mov_b64 s[0:1], -1
                                        ; implicit-def: $vgpr2_vgpr3
.LBB6_532:
	s_andn2_b64 vcc, exec, s[0:1]
	s_cbranch_vccnz .LBB6_534
; %bb.533:
	global_load_ubyte v0, v[0:1], off
	s_waitcnt vmcnt(0)
	v_cvt_f64_u32_e32 v[2:3], v0
.LBB6_534:
	s_branch .LBB6_278
.LBB6_535:
	s_mov_b64 s[26:27], 0
                                        ; implicit-def: $vgpr10
	s_mov_b64 s[0:1], s[14:15]
.LBB6_536:
	s_andn2_b64 s[22:23], s[14:15], exec
	s_and_b64 s[0:1], s[0:1], exec
	s_or_b64 s[22:23], s[22:23], s[0:1]
	s_andn2_b64 s[0:1], s[16:17], exec
	s_and_b64 s[20:21], s[20:21], exec
	s_or_b64 s[20:21], s[0:1], s[20:21]
	s_orn2_b64 s[0:1], s[26:27], exec
.LBB6_537:
	s_or_b64 exec, exec, s[24:25]
	s_mov_b64 s[26:27], 0
	s_mov_b64 s[28:29], 0
	;; [unrolled: 1-line block ×3, first 2 shown]
                                        ; implicit-def: $vgpr0_vgpr1
                                        ; implicit-def: $vgpr2_vgpr3
	s_and_saveexec_b64 s[24:25], s[0:1]
	s_cbranch_execz .LBB6_894
; %bb.538:
	v_cmp_gt_i32_e32 vcc, s42, v10
	s_mov_b64 s[36:37], -1
	s_mov_b64 s[0:1], s[20:21]
	s_mov_b64 s[30:31], s[22:23]
	s_and_saveexec_b64 s[26:27], vcc
	s_cbranch_execz .LBB6_808
; %bb.539:
	v_mul_lo_u32 v0, v10, s3
	v_ashrrev_i32_e32 v1, 31, v0
	s_waitcnt vmcnt(0)
	v_mov_b32_e32 v2, s11
	v_add_co_u32_e32 v0, vcc, s10, v0
	v_addc_co_u32_e32 v1, vcc, v2, v1, vcc
	v_cmp_gt_i16_e32 vcc, 11, v11
	s_cbranch_vccnz .LBB6_546
; %bb.540:
	v_cmp_lt_i16_e32 vcc, 25, v11
	s_cbranch_vccz .LBB6_547
; %bb.541:
	v_cmp_lt_i16_e32 vcc, 28, v11
	s_cbranch_vccz .LBB6_548
	;; [unrolled: 3-line block ×4, first 2 shown]
; %bb.544:
	v_cmp_eq_u16_e32 vcc, 46, v11
	s_mov_b64 s[30:31], 0
	s_cbranch_vccz .LBB6_555
; %bb.545:
	global_load_dword v2, v[0:1], off
	s_mov_b64 s[0:1], -1
	s_waitcnt vmcnt(0)
	v_lshlrev_b32_e32 v2, 16, v2
	v_cvt_f64_f32_e32 v[2:3], v2
	s_branch .LBB6_556
.LBB6_546:
	s_mov_b64 s[30:31], -1
	s_mov_b64 s[0:1], 0
                                        ; implicit-def: $vgpr2_vgpr3
	s_mov_b64 s[28:29], s[20:21]
	s_branch .LBB6_621
.LBB6_547:
	s_mov_b64 s[30:31], -1
	s_mov_b64 s[0:1], 0
	s_mov_b64 s[28:29], s[20:21]
                                        ; implicit-def: $vgpr2_vgpr3
	s_branch .LBB6_585
.LBB6_548:
	s_mov_b64 s[30:31], -1
	s_mov_b64 s[0:1], 0
	s_mov_b64 s[28:29], s[20:21]
                                        ; implicit-def: $vgpr2_vgpr3
	s_branch .LBB6_566
.LBB6_549:
	s_mov_b64 s[30:31], -1
	s_mov_b64 s[0:1], 0
	s_mov_b64 s[28:29], s[20:21]
                                        ; implicit-def: $vgpr2_vgpr3
	s_branch .LBB6_561
.LBB6_550:
	s_or_saveexec_b64 s[28:29], s[28:29]
                                        ; implicit-def: $sgpr30
	s_xor_b64 exec, exec, s[28:29]
	s_cbranch_execz .LBB6_335
.LBB6_551:
	s_mov_b32 s30, 0x46000000
	v_add_f32_e64 v3, |v2|, s30
	v_and_b32_e32 v3, 0xff, v3
	v_cmp_ne_u32_e32 vcc, 0, v3
	s_andn2_b64 s[26:27], s[26:27], exec
	s_and_b64 s[34:35], vcc, exec
	s_mov_b32 s30, 0
	s_or_b64 s[26:27], s[26:27], s[34:35]
	s_or_b64 exec, exec, s[28:29]
	v_mov_b32_e32 v6, s30
	s_and_saveexec_b64 s[28:29], s[26:27]
	s_cbranch_execnz .LBB6_336
	s_branch .LBB6_337
.LBB6_552:
	s_mov_b64 s[30:31], -1
	s_mov_b64 s[0:1], 0
	s_mov_b64 s[28:29], s[20:21]
                                        ; implicit-def: $vgpr2_vgpr3
	s_branch .LBB6_556
.LBB6_553:
	s_or_saveexec_b64 s[28:29], s[28:29]
                                        ; implicit-def: $sgpr30
	s_xor_b64 exec, exec, s[28:29]
	s_cbranch_execz .LBB6_348
.LBB6_554:
	s_mov_b32 s30, 0x42800000
	v_add_f32_e64 v3, |v2|, s30
	v_and_b32_e32 v3, 0xff, v3
	v_cmp_ne_u32_e32 vcc, 0, v3
	s_andn2_b64 s[26:27], s[26:27], exec
	s_and_b64 s[34:35], vcc, exec
	s_mov_b32 s30, 0
	s_or_b64 s[26:27], s[26:27], s[34:35]
	s_or_b64 exec, exec, s[28:29]
	v_mov_b32_e32 v6, s30
	s_and_saveexec_b64 s[28:29], s[26:27]
	s_cbranch_execnz .LBB6_349
	s_branch .LBB6_350
.LBB6_555:
	s_mov_b64 s[28:29], -1
                                        ; implicit-def: $vgpr2_vgpr3
	s_mov_b64 s[0:1], 0
.LBB6_556:
	s_and_b64 vcc, exec, s[30:31]
	s_cbranch_vccz .LBB6_560
; %bb.557:
	v_cmp_eq_u16_e32 vcc, 44, v11
	s_cbranch_vccz .LBB6_559
; %bb.558:
	global_load_ubyte v4, v[0:1], off
	s_movk_i32 s28, 0xff
	v_bfrev_b32_e32 v5, 4
	v_mov_b32_e32 v6, 0x7ff80000
	v_bfrev_b32_e32 v7, 28
	s_mov_b64 s[0:1], -1
	s_waitcnt vmcnt(0)
	v_lshlrev_b32_e32 v2, 23, v4
	v_cvt_f64_f32_e32 v[2:3], v2
	v_cmp_ne_u32_e32 vcc, s28, v4
	v_cndmask_b32_e32 v2, v5, v2, vcc
	v_cndmask_b32_e32 v3, v6, v3, vcc
	v_cmp_ne_u32_e32 vcc, 0, v4
	v_cndmask_b32_e32 v3, v7, v3, vcc
	v_cndmask_b32_e32 v2, 0, v2, vcc
	s_mov_b64 s[28:29], 0
	s_branch .LBB6_560
.LBB6_559:
	s_mov_b64 s[28:29], -1
                                        ; implicit-def: $vgpr2_vgpr3
.LBB6_560:
	s_mov_b64 s[30:31], 0
.LBB6_561:
	s_and_b64 vcc, exec, s[30:31]
	s_cbranch_vccz .LBB6_565
; %bb.562:
	v_cmp_eq_u16_e32 vcc, 29, v11
	s_cbranch_vccz .LBB6_564
; %bb.563:
	global_load_dwordx2 v[2:3], v[0:1], off
	s_mov_b64 s[0:1], -1
	s_mov_b64 s[28:29], 0
	s_mov_b64 s[30:31], 0
	s_waitcnt vmcnt(0)
	v_cvt_f64_u32_e32 v[4:5], v3
	v_cvt_f64_u32_e32 v[2:3], v2
	v_ldexp_f64 v[4:5], v[4:5], 32
	v_add_f64 v[2:3], v[4:5], v[2:3]
	s_branch .LBB6_566
.LBB6_564:
	s_mov_b64 s[28:29], -1
                                        ; implicit-def: $vgpr2_vgpr3
.LBB6_565:
	s_mov_b64 s[30:31], 0
.LBB6_566:
	s_and_b64 vcc, exec, s[30:31]
	s_cbranch_vccz .LBB6_584
; %bb.567:
	v_cmp_gt_i16_e32 vcc, 27, v11
	s_cbranch_vccnz .LBB6_570
; %bb.568:
	v_cmp_lt_i16_e32 vcc, 27, v11
	s_cbranch_vccz .LBB6_571
; %bb.569:
	global_load_dword v2, v[0:1], off
	s_mov_b64 s[0:1], 0
	s_waitcnt vmcnt(0)
	v_cvt_f64_u32_e32 v[2:3], v2
	s_branch .LBB6_572
.LBB6_570:
	s_mov_b64 s[0:1], -1
                                        ; implicit-def: $vgpr2_vgpr3
	s_branch .LBB6_575
.LBB6_571:
	s_mov_b64 s[0:1], -1
                                        ; implicit-def: $vgpr2_vgpr3
.LBB6_572:
	s_andn2_b64 vcc, exec, s[0:1]
	s_cbranch_vccnz .LBB6_574
; %bb.573:
	global_load_ushort v2, v[0:1], off
	s_waitcnt vmcnt(0)
	v_cvt_f64_u32_e32 v[2:3], v2
.LBB6_574:
	s_mov_b64 s[0:1], 0
.LBB6_575:
	s_andn2_b64 vcc, exec, s[0:1]
	s_cbranch_vccnz .LBB6_583
; %bb.576:
	global_load_ubyte v4, v[0:1], off
	s_movk_i32 s0, 0x7f
                                        ; implicit-def: $sgpr30_sgpr31
	s_waitcnt vmcnt(0)
	v_cmp_lt_i16_e32 vcc, s0, v4
	s_mov_b64 s[0:1], 0
	s_and_saveexec_b64 s[34:35], vcc
	s_xor_b64 s[34:35], exec, s[34:35]
	s_cbranch_execz .LBB6_597
; %bb.577:
	s_movk_i32 s0, 0x80
	v_cmp_eq_u16_e32 vcc, s0, v4
                                        ; implicit-def: $sgpr30_sgpr31
	s_and_saveexec_b64 s[0:1], vcc
; %bb.578:
	s_mov_b32 s31, 0x7ff80000
	s_brev_b32 s30, 4
	s_xor_b64 s[36:37], exec, -1
; %bb.579:
	s_or_b64 exec, exec, s[0:1]
	s_and_b64 s[0:1], s[36:37], exec
	s_or_saveexec_b64 s[34:35], s[34:35]
	v_pk_mov_b32 v[2:3], s[30:31], s[30:31] op_sel:[0,1]
	s_xor_b64 exec, exec, s[34:35]
	s_cbranch_execnz .LBB6_598
.LBB6_580:
	s_or_b64 exec, exec, s[34:35]
	s_and_saveexec_b64 s[30:31], s[0:1]
	s_cbranch_execz .LBB6_582
.LBB6_581:
	v_and_b32_e32 v3, 0xffff, v4
	v_lshlrev_b32_e32 v2, 24, v4
	v_and_b32_e32 v4, 7, v3
	v_ffbh_u32_e32 v6, v4
	v_min_u32_e32 v6, 32, v6
	v_subrev_u32_e32 v7, 28, v6
	v_bfe_u32 v5, v3, 3, 4
	v_lshlrev_b32_e32 v3, v7, v3
	v_sub_u32_e32 v6, 29, v6
	v_and_b32_e32 v3, 7, v3
	v_cmp_eq_u32_e32 vcc, 0, v5
	v_cndmask_b32_e32 v5, v5, v6, vcc
	v_cndmask_b32_e32 v3, v4, v3, vcc
	v_mov_b32_e32 v4, 0x3b800000
	v_lshlrev_b32_e32 v3, 20, v3
	v_and_b32_e32 v2, 0x80000000, v2
	v_lshl_add_u32 v4, v5, 23, v4
	v_or3_b32 v2, v2, v4, v3
	v_cvt_f64_f32_e32 v[2:3], v2
.LBB6_582:
	s_or_b64 exec, exec, s[30:31]
.LBB6_583:
	s_mov_b64 s[0:1], -1
.LBB6_584:
	s_mov_b64 s[30:31], 0
.LBB6_585:
	s_and_b64 vcc, exec, s[30:31]
	s_cbranch_vccz .LBB6_620
; %bb.586:
	v_cmp_lt_i16_e32 vcc, 22, v11
	s_cbranch_vccz .LBB6_596
; %bb.587:
	v_cmp_gt_i16_e32 vcc, 24, v11
	s_cbranch_vccnz .LBB6_599
; %bb.588:
	v_cmp_lt_i16_e32 vcc, 24, v11
	s_cbranch_vccz .LBB6_600
; %bb.589:
	global_load_ubyte v4, v[0:1], off
	s_movk_i32 s0, 0x7f
                                        ; implicit-def: $sgpr30_sgpr31
	s_waitcnt vmcnt(0)
	v_cmp_lt_i16_e32 vcc, s0, v4
	s_mov_b64 s[0:1], 0
	s_and_saveexec_b64 s[34:35], vcc
	s_xor_b64 s[34:35], exec, s[34:35]
	s_cbranch_execz .LBB6_612
; %bb.590:
	s_movk_i32 s0, 0x80
	v_cmp_eq_u16_e32 vcc, s0, v4
	s_mov_b64 s[36:37], -1
                                        ; implicit-def: $sgpr30_sgpr31
	s_and_saveexec_b64 s[0:1], vcc
; %bb.591:
	s_mov_b32 s31, 0x7ff80000
	s_brev_b32 s30, 4
	s_xor_b64 s[36:37], exec, -1
; %bb.592:
	s_or_b64 exec, exec, s[0:1]
	s_and_b64 s[0:1], s[36:37], exec
	s_or_saveexec_b64 s[34:35], s[34:35]
	v_pk_mov_b32 v[2:3], s[30:31], s[30:31] op_sel:[0,1]
	s_xor_b64 exec, exec, s[34:35]
	s_cbranch_execnz .LBB6_613
.LBB6_593:
	s_or_b64 exec, exec, s[34:35]
	s_and_saveexec_b64 s[30:31], s[0:1]
	s_cbranch_execz .LBB6_595
.LBB6_594:
	v_and_b32_e32 v3, 0xffff, v4
	v_lshlrev_b32_e32 v2, 24, v4
	v_and_b32_e32 v4, 3, v3
	v_ffbh_u32_e32 v6, v4
	v_min_u32_e32 v6, 32, v6
	v_subrev_u32_e32 v7, 29, v6
	v_bfe_u32 v5, v3, 2, 5
	v_lshlrev_b32_e32 v3, v7, v3
	v_sub_u32_e32 v6, 30, v6
	v_and_b32_e32 v3, 3, v3
	v_cmp_eq_u32_e32 vcc, 0, v5
	v_cndmask_b32_e32 v5, v5, v6, vcc
	v_cndmask_b32_e32 v3, v4, v3, vcc
	v_mov_b32_e32 v4, 0x37800000
	v_lshlrev_b32_e32 v3, 21, v3
	v_and_b32_e32 v2, 0x80000000, v2
	v_lshl_add_u32 v4, v5, 23, v4
	v_or3_b32 v2, v2, v4, v3
	v_cvt_f64_f32_e32 v[2:3], v2
.LBB6_595:
	s_or_b64 exec, exec, s[30:31]
	s_mov_b64 s[0:1], 0
	s_branch .LBB6_601
.LBB6_596:
	s_mov_b64 s[30:31], -1
                                        ; implicit-def: $vgpr2_vgpr3
	s_branch .LBB6_607
.LBB6_597:
	s_or_saveexec_b64 s[34:35], s[34:35]
	v_pk_mov_b32 v[2:3], s[30:31], s[30:31] op_sel:[0,1]
	s_xor_b64 exec, exec, s[34:35]
	s_cbranch_execz .LBB6_580
.LBB6_598:
	v_cmp_ne_u16_e32 vcc, 0, v4
	s_andn2_b64 s[0:1], s[0:1], exec
	s_and_b64 s[30:31], vcc, exec
	v_pk_mov_b32 v[2:3], 0, 0
	s_or_b64 s[0:1], s[0:1], s[30:31]
	s_or_b64 exec, exec, s[34:35]
	s_and_saveexec_b64 s[30:31], s[0:1]
	s_cbranch_execnz .LBB6_581
	s_branch .LBB6_582
.LBB6_599:
	s_mov_b64 s[0:1], -1
                                        ; implicit-def: $vgpr2_vgpr3
	s_branch .LBB6_604
.LBB6_600:
	s_mov_b64 s[0:1], -1
                                        ; implicit-def: $vgpr2_vgpr3
.LBB6_601:
	s_and_b64 vcc, exec, s[0:1]
	s_cbranch_vccz .LBB6_603
; %bb.602:
	global_load_ubyte v2, v[0:1], off
	s_mov_b32 s0, 0x7f800000
	s_waitcnt vmcnt(0)
	v_lshlrev_b32_e32 v2, 24, v2
	v_and_b32_e32 v3, 0x7f000000, v2
	v_ffbh_u32_e32 v4, v3
	v_min_u32_e32 v4, 32, v4
	v_sub_u32_e64 v4, v4, 4 clamp
	v_lshlrev_b32_e32 v6, v4, v3
	v_lshlrev_b32_e32 v4, 23, v4
	v_lshrrev_b32_e32 v6, 4, v6
	v_add_u32_e32 v5, 0x1000000, v3
	v_sub_u32_e32 v4, v6, v4
	v_ashrrev_i32_e32 v5, 8, v5
	v_add_u32_e32 v4, 0x3c000000, v4
	v_and_or_b32 v4, v5, s0, v4
	v_cmp_ne_u32_e32 vcc, 0, v3
	v_cndmask_b32_e32 v3, 0, v4, vcc
	s_brev_b32 s0, 1
	v_and_or_b32 v2, v2, s0, v3
	v_cvt_f64_f32_e32 v[2:3], v2
.LBB6_603:
	s_mov_b64 s[0:1], 0
.LBB6_604:
	s_andn2_b64 vcc, exec, s[0:1]
	s_cbranch_vccnz .LBB6_606
; %bb.605:
	global_load_ubyte v2, v[0:1], off
	s_movk_i32 s0, 0x7f00
	s_brev_b32 s1, 16
	s_waitcnt vmcnt(0)
	v_lshlrev_b16_e32 v3, 8, v2
	v_lshlrev_b32_e32 v2, 25, v2
	v_lshrrev_b32_e32 v4, 4, v2
	v_and_or_b32 v5, v3, s0, 0.5
	v_or_b32_e32 v4, 0x70000000, v4
	v_add_f32_e32 v5, -0.5, v5
	v_mul_f32_e32 v4, 0x7800000, v4
	v_cmp_gt_u32_e32 vcc, s1, v2
	v_bfe_i32 v3, v3, 0, 16
	v_cndmask_b32_e32 v2, v4, v5, vcc
	s_brev_b32 s0, 1
	v_and_or_b32 v2, v3, s0, v2
	v_cvt_f64_f32_e32 v[2:3], v2
.LBB6_606:
	s_mov_b64 s[30:31], 0
	s_mov_b64 s[0:1], -1
.LBB6_607:
	s_andn2_b64 vcc, exec, s[30:31]
	s_cbranch_vccnz .LBB6_620
; %bb.608:
	v_cmp_lt_i16_e32 vcc, 14, v11
	s_cbranch_vccz .LBB6_611
; %bb.609:
	v_cmp_eq_u16_e32 vcc, 15, v11
	s_cbranch_vccz .LBB6_614
; %bb.610:
	global_load_ushort v2, v[0:1], off
	s_mov_b64 s[0:1], -1
	s_mov_b64 s[28:29], 0
	s_waitcnt vmcnt(0)
	v_lshlrev_b32_e32 v2, 16, v2
	v_cvt_f64_f32_e32 v[2:3], v2
	s_branch .LBB6_615
.LBB6_611:
	s_mov_b64 s[30:31], -1
                                        ; implicit-def: $vgpr2_vgpr3
	s_branch .LBB6_616
.LBB6_612:
	s_or_saveexec_b64 s[34:35], s[34:35]
	v_pk_mov_b32 v[2:3], s[30:31], s[30:31] op_sel:[0,1]
	s_xor_b64 exec, exec, s[34:35]
	s_cbranch_execz .LBB6_593
.LBB6_613:
	v_cmp_ne_u16_e32 vcc, 0, v4
	s_andn2_b64 s[0:1], s[0:1], exec
	s_and_b64 s[30:31], vcc, exec
	v_pk_mov_b32 v[2:3], 0, 0
	s_or_b64 s[0:1], s[0:1], s[30:31]
	s_or_b64 exec, exec, s[34:35]
	s_and_saveexec_b64 s[30:31], s[0:1]
	s_cbranch_execnz .LBB6_594
	s_branch .LBB6_595
.LBB6_614:
	s_mov_b64 s[28:29], -1
                                        ; implicit-def: $vgpr2_vgpr3
.LBB6_615:
	s_mov_b64 s[30:31], 0
.LBB6_616:
	s_and_b64 vcc, exec, s[30:31]
	s_cbranch_vccz .LBB6_620
; %bb.617:
	v_cmp_eq_u16_e32 vcc, 11, v11
	s_cbranch_vccz .LBB6_619
; %bb.618:
	global_load_ubyte v3, v[0:1], off
	v_mov_b32_e32 v4, 0x3ff00000
	v_mov_b32_e32 v2, 0
	s_mov_b64 s[0:1], -1
	s_mov_b64 s[28:29], 0
	s_waitcnt vmcnt(0)
	v_cmp_ne_u16_e32 vcc, 0, v3
	v_cndmask_b32_e32 v3, 0, v4, vcc
	s_branch .LBB6_620
.LBB6_619:
	s_mov_b64 s[28:29], -1
                                        ; implicit-def: $vgpr2_vgpr3
.LBB6_620:
	s_mov_b64 s[30:31], 0
.LBB6_621:
	s_and_b64 vcc, exec, s[30:31]
	s_cbranch_vccz .LBB6_670
; %bb.622:
	v_cmp_gt_i16_e32 vcc, 5, v11
	s_cbranch_vccnz .LBB6_627
; %bb.623:
	v_cmp_gt_i16_e32 vcc, 8, v11
	s_cbranch_vccnz .LBB6_628
	;; [unrolled: 3-line block ×3, first 2 shown]
; %bb.625:
	v_cmp_lt_i16_e32 vcc, 9, v11
	s_cbranch_vccz .LBB6_630
; %bb.626:
	global_load_dwordx2 v[2:3], v[0:1], off
	s_mov_b64 s[0:1], 0
	s_branch .LBB6_631
.LBB6_627:
	s_mov_b64 s[0:1], -1
                                        ; implicit-def: $vgpr2_vgpr3
	s_branch .LBB6_649
.LBB6_628:
	s_mov_b64 s[0:1], -1
                                        ; implicit-def: $vgpr2_vgpr3
	s_branch .LBB6_637
.LBB6_629:
	s_mov_b64 s[0:1], -1
                                        ; implicit-def: $vgpr2_vgpr3
	s_branch .LBB6_634
.LBB6_630:
	s_mov_b64 s[0:1], -1
                                        ; implicit-def: $vgpr2_vgpr3
.LBB6_631:
	s_andn2_b64 vcc, exec, s[0:1]
	s_cbranch_vccnz .LBB6_633
; %bb.632:
	global_load_dword v2, v[0:1], off
	s_waitcnt vmcnt(0)
	v_cvt_f64_f32_e32 v[2:3], v2
.LBB6_633:
	s_mov_b64 s[0:1], 0
.LBB6_634:
	s_andn2_b64 vcc, exec, s[0:1]
	s_cbranch_vccnz .LBB6_636
; %bb.635:
	global_load_dword v2, v[0:1], off
	s_waitcnt vmcnt(0)
	v_cvt_f32_f16_e32 v2, v2
	v_cvt_f64_f32_e32 v[2:3], v2
.LBB6_636:
	s_mov_b64 s[0:1], 0
.LBB6_637:
	s_andn2_b64 vcc, exec, s[0:1]
	s_cbranch_vccnz .LBB6_648
; %bb.638:
	v_cmp_gt_i16_e32 vcc, 6, v11
	s_cbranch_vccnz .LBB6_641
; %bb.639:
	v_cmp_lt_i16_e32 vcc, 6, v11
	s_cbranch_vccz .LBB6_642
; %bb.640:
	global_load_dwordx2 v[2:3], v[0:1], off
	s_mov_b64 s[0:1], 0
	s_branch .LBB6_643
.LBB6_641:
	s_mov_b64 s[0:1], -1
                                        ; implicit-def: $vgpr2_vgpr3
	s_branch .LBB6_646
.LBB6_642:
	s_mov_b64 s[0:1], -1
                                        ; implicit-def: $vgpr2_vgpr3
.LBB6_643:
	s_andn2_b64 vcc, exec, s[0:1]
	s_cbranch_vccnz .LBB6_645
; %bb.644:
	global_load_dword v2, v[0:1], off
	s_waitcnt vmcnt(0)
	v_cvt_f64_f32_e32 v[2:3], v2
.LBB6_645:
	s_mov_b64 s[0:1], 0
.LBB6_646:
	s_andn2_b64 vcc, exec, s[0:1]
	s_cbranch_vccnz .LBB6_648
; %bb.647:
	global_load_ushort v2, v[0:1], off
	s_waitcnt vmcnt(0)
	v_cvt_f32_f16_e32 v2, v2
	v_cvt_f64_f32_e32 v[2:3], v2
.LBB6_648:
	s_mov_b64 s[0:1], 0
.LBB6_649:
	s_andn2_b64 vcc, exec, s[0:1]
	s_cbranch_vccnz .LBB6_669
; %bb.650:
	v_cmp_gt_i16_e32 vcc, 2, v11
	s_cbranch_vccnz .LBB6_654
; %bb.651:
	v_cmp_gt_i16_e32 vcc, 3, v11
	s_cbranch_vccnz .LBB6_655
; %bb.652:
	v_cmp_lt_i16_e32 vcc, 3, v11
	s_cbranch_vccz .LBB6_656
; %bb.653:
	global_load_dwordx2 v[2:3], v[0:1], off
	s_mov_b64 s[0:1], 0
	s_waitcnt vmcnt(0)
	v_cvt_f64_i32_e32 v[4:5], v3
	v_cvt_f64_u32_e32 v[2:3], v2
	v_ldexp_f64 v[4:5], v[4:5], 32
	v_add_f64 v[2:3], v[4:5], v[2:3]
	s_branch .LBB6_657
.LBB6_654:
	s_mov_b64 s[0:1], -1
                                        ; implicit-def: $vgpr2_vgpr3
	s_branch .LBB6_663
.LBB6_655:
	s_mov_b64 s[0:1], -1
                                        ; implicit-def: $vgpr2_vgpr3
	s_branch .LBB6_660
.LBB6_656:
	s_mov_b64 s[0:1], -1
                                        ; implicit-def: $vgpr2_vgpr3
.LBB6_657:
	s_andn2_b64 vcc, exec, s[0:1]
	s_cbranch_vccnz .LBB6_659
; %bb.658:
	global_load_dword v2, v[0:1], off
	s_waitcnt vmcnt(0)
	v_cvt_f64_i32_e32 v[2:3], v2
.LBB6_659:
	s_mov_b64 s[0:1], 0
.LBB6_660:
	s_andn2_b64 vcc, exec, s[0:1]
	s_cbranch_vccnz .LBB6_662
; %bb.661:
	global_load_sshort v2, v[0:1], off
	s_waitcnt vmcnt(0)
	v_cvt_f64_i32_e32 v[2:3], v2
.LBB6_662:
	s_mov_b64 s[0:1], 0
.LBB6_663:
	s_andn2_b64 vcc, exec, s[0:1]
	s_cbranch_vccnz .LBB6_669
; %bb.664:
	v_cmp_lt_i16_e32 vcc, 0, v11
	s_cbranch_vccz .LBB6_666
; %bb.665:
	global_load_sbyte v2, v[0:1], off
	s_mov_b64 s[0:1], 0
	s_waitcnt vmcnt(0)
	v_cvt_f64_i32_e32 v[2:3], v2
	s_branch .LBB6_667
.LBB6_666:
	s_mov_b64 s[0:1], -1
                                        ; implicit-def: $vgpr2_vgpr3
.LBB6_667:
	s_andn2_b64 vcc, exec, s[0:1]
	s_cbranch_vccnz .LBB6_669
; %bb.668:
	global_load_ubyte v0, v[0:1], off
	s_waitcnt vmcnt(0)
	v_cvt_f64_u32_e32 v[2:3], v0
.LBB6_669:
	s_mov_b64 s[0:1], -1
.LBB6_670:
	s_andn2_b64 vcc, exec, s[0:1]
	s_cbranch_vccnz .LBB6_690
; %bb.671:
	s_waitcnt vmcnt(0)
	v_trunc_f64_e32 v[0:1], v[2:3]
	s_movk_i32 s0, 0xffe0
	v_ldexp_f64 v[2:3], v[0:1], s0
	v_floor_f64_e32 v[4:5], v[2:3]
	v_fmac_f64_e32 v[0:1], 0xc1f00000, v[4:5]
	v_cvt_i32_f64_e32 v3, v[4:5]
	v_cvt_u32_f64_e32 v2, v[0:1]
	v_cmp_lt_i64_e32 vcc, -1, v[2:3]
	v_pk_mov_b32 v[0:1], 0, 0
	s_and_saveexec_b64 s[0:1], vcc
	s_cbranch_execz .LBB6_683
; %bb.672:
	v_mov_b32_e32 v0, 0
	v_cmp_lt_i64_e32 vcc, 0, v[2:3]
	v_mov_b32_e32 v1, 0x3ff00000
	s_and_saveexec_b64 s[30:31], vcc
	s_cbranch_execz .LBB6_682
; %bb.673:
	v_cmp_ne_u64_e32 vcc, 1, v[2:3]
                                        ; implicit-def: $vgpr0_vgpr1
	s_and_saveexec_b64 s[34:35], vcc
	s_xor_b64 s[34:35], exec, s[34:35]
	s_cbranch_execz .LBB6_679
; %bb.674:
	s_mov_b64 s[36:37], 0x201
	v_mov_b32_e32 v0, 0
	v_cmp_gt_u64_e32 vcc, s[36:37], v[2:3]
	v_mov_b32_e32 v1, 0x7ff80000
	s_and_saveexec_b64 s[36:37], vcc
	s_cbranch_execz .LBB6_678
; %bb.675:
	v_mov_b32_e32 v4, 0
	s_mov_b64 s[40:41], 1
	s_mov_b64 s[38:39], 0
	v_pk_mov_b32 v[0:1], s[12:13], s[12:13] op_sel:[0,1]
	v_mov_b32_e32 v5, 0x3ff00000
.LBB6_676:                              ; =>This Inner Loop Header: Depth=1
	v_cvt_f64_u32_e32 v[6:7], s41
	v_cvt_f64_u32_e32 v[8:9], s40
	s_add_u32 s40, s40, 1
	v_ldexp_f64 v[6:7], v[6:7], 32
	s_addc_u32 s41, s41, 0
	v_add_f64 v[6:7], v[6:7], v[8:9]
	v_cmp_eq_u64_e32 vcc, s[40:41], v[2:3]
	v_mul_f64 v[6:7], v[4:5], v[6:7]
	s_or_b64 s[38:39], vcc, s[38:39]
	v_pk_mov_b32 v[4:5], v[0:1], v[0:1] op_sel:[0,1]
	v_fma_f64 v[0:1], s[12:13], v[0:1], -v[6:7]
	s_andn2_b64 exec, exec, s[38:39]
	s_cbranch_execnz .LBB6_676
; %bb.677:
	s_or_b64 exec, exec, s[38:39]
.LBB6_678:
	s_or_b64 exec, exec, s[36:37]
.LBB6_679:
	s_andn2_saveexec_b64 s[34:35], s[34:35]
; %bb.680:
	v_pk_mov_b32 v[0:1], s[12:13], s[12:13] op_sel:[0,1]
; %bb.681:
	s_or_b64 exec, exec, s[34:35]
.LBB6_682:
	s_or_b64 exec, exec, s[30:31]
.LBB6_683:
	s_or_b64 exec, exec, s[0:1]
	v_mul_lo_u32 v2, v10, s2
	v_ashrrev_i32_e32 v3, 31, v2
	v_mov_b32_e32 v5, s9
	v_add_co_u32_e32 v4, vcc, s8, v2
	v_mov_b32_e32 v2, 11
	v_addc_co_u32_e32 v5, vcc, v5, v3, vcc
	v_cmp_lt_i16_sdwa s[0:1], s33, v2 src0_sel:BYTE_0 src1_sel:DWORD
	s_and_b64 vcc, exec, s[0:1]
	s_cbranch_vccnz .LBB6_691
; %bb.684:
	v_mov_b32_e32 v2, 25
	v_cmp_gt_i16_sdwa s[0:1], s33, v2 src0_sel:BYTE_0 src1_sel:DWORD
	s_and_b64 vcc, exec, s[0:1]
	s_cbranch_vccz .LBB6_692
; %bb.685:
	v_mov_b32_e32 v2, 28
	v_cmp_gt_i16_sdwa s[0:1], s33, v2 src0_sel:BYTE_0 src1_sel:DWORD
	s_and_b64 vcc, exec, s[0:1]
	s_cbranch_vccz .LBB6_693
	;; [unrolled: 5-line block ×4, first 2 shown]
; %bb.688:
	v_mov_b32_e32 v2, 46
	v_cmp_eq_u16_sdwa s[30:31], s33, v2 src0_sel:BYTE_0 src1_sel:DWORD
	s_mov_b64 s[34:35], 0
	s_mov_b64 s[0:1], -1
	s_and_b64 vcc, exec, s[30:31]
	s_mov_b64 s[30:31], 0
	s_cbranch_vccz .LBB6_696
; %bb.689:
	v_cvt_f32_f64_e32 v2, v[0:1]
	v_bfe_u32 v3, v2, 16, 1
	s_movk_i32 s0, 0x7fff
	v_add3_u32 v3, v2, v3, s0
	v_lshrrev_b32_e32 v3, 16, v3
	v_mov_b32_e32 v6, 0x7fc0
	v_cmp_o_f32_e32 vcc, v2, v2
	v_cndmask_b32_e32 v2, v6, v3, vcc
	global_store_dword v[4:5], v2, off
	s_mov_b64 s[30:31], -1
	s_mov_b64 s[0:1], 0
	s_branch .LBB6_696
.LBB6_690:
	s_mov_b64 s[34:35], 0
                                        ; implicit-def: $vgpr10
	s_mov_b64 s[0:1], s[22:23]
	s_branch .LBB6_807
.LBB6_691:
	s_mov_b64 s[34:35], -1
	s_mov_b64 s[30:31], 0
	s_mov_b64 s[0:1], s[22:23]
	s_branch .LBB6_765
.LBB6_692:
	s_mov_b64 s[34:35], -1
	s_mov_b64 s[30:31], 0
	s_mov_b64 s[0:1], s[22:23]
	s_branch .LBB6_723
.LBB6_693:
	s_mov_b64 s[34:35], -1
	s_mov_b64 s[30:31], 0
	s_mov_b64 s[0:1], s[22:23]
	s_branch .LBB6_706
.LBB6_694:
	s_mov_b64 s[34:35], -1
	s_mov_b64 s[30:31], 0
	s_mov_b64 s[0:1], s[22:23]
	s_branch .LBB6_702
.LBB6_695:
	s_mov_b64 s[34:35], -1
	s_mov_b64 s[30:31], 0
	s_mov_b64 s[0:1], s[22:23]
.LBB6_696:
	s_and_b64 vcc, exec, s[34:35]
	s_cbranch_vccz .LBB6_701
; %bb.697:
	v_mov_b32_e32 v2, 44
	v_cmp_eq_u16_sdwa s[34:35], s33, v2 src0_sel:BYTE_0 src1_sel:DWORD
	s_mov_b64 s[0:1], -1
	s_and_b64 vcc, exec, s[34:35]
	s_cbranch_vccz .LBB6_701
; %bb.698:
	v_cvt_f32_f64_e32 v2, v[0:1]
	v_bfe_u32 v3, v2, 23, 8
	s_movk_i32 s0, 0xff
	v_cmp_ne_u32_e32 vcc, s0, v3
	v_mov_b32_e32 v6, 0xff
	s_and_saveexec_b64 s[30:31], vcc
; %bb.699:
	s_mov_b32 s0, 0x3fffff
	v_lshrrev_b32_e32 v6, 23, v2
	v_and_b32_e32 v7, 0x400000, v2
	v_and_or_b32 v2, v2, s0, v3
	v_cmp_ne_u32_e32 vcc, 0, v7
	v_cmp_ne_u32_e64 s[0:1], 0, v2
	s_and_b64 s[0:1], vcc, s[0:1]
	v_cndmask_b32_e64 v2, 0, 1, s[0:1]
	v_add_u32_e32 v6, v6, v2
; %bb.700:
	s_or_b64 exec, exec, s[30:31]
	s_mov_b64 s[30:31], -1
	s_mov_b64 s[0:1], 0
	global_store_byte v[4:5], v6, off
.LBB6_701:
	s_mov_b64 s[34:35], 0
.LBB6_702:
	s_and_b64 vcc, exec, s[34:35]
	s_cbranch_vccz .LBB6_705
; %bb.703:
	v_mov_b32_e32 v2, 29
	v_cmp_eq_u16_sdwa s[34:35], s33, v2 src0_sel:BYTE_0 src1_sel:DWORD
	s_mov_b64 s[0:1], -1
	s_and_b64 vcc, exec, s[34:35]
	s_cbranch_vccz .LBB6_705
; %bb.704:
	v_trunc_f64_e32 v[2:3], v[0:1]
	s_movk_i32 s0, 0xffe0
	v_ldexp_f64 v[6:7], v[2:3], s0
	v_floor_f64_e32 v[6:7], v[6:7]
	v_fmac_f64_e32 v[2:3], 0xc1f00000, v[6:7]
	v_cvt_u32_f64_e32 v9, v[6:7]
	v_cvt_u32_f64_e32 v8, v[2:3]
	global_store_dwordx2 v[4:5], v[8:9], off
	s_mov_b64 s[30:31], -1
	s_mov_b64 s[0:1], 0
.LBB6_705:
	s_mov_b64 s[34:35], 0
.LBB6_706:
	s_and_b64 vcc, exec, s[34:35]
	s_cbranch_vccz .LBB6_722
; %bb.707:
	v_mov_b32_e32 v2, 27
	v_cmp_lt_i16_sdwa s[34:35], s33, v2 src0_sel:BYTE_0 src1_sel:DWORD
	s_mov_b64 s[30:31], -1
	s_and_b64 vcc, exec, s[34:35]
	s_cbranch_vccnz .LBB6_713
; %bb.708:
	v_cmp_gt_i16_sdwa s[34:35], s33, v2 src0_sel:BYTE_0 src1_sel:DWORD
	s_and_b64 vcc, exec, s[34:35]
	v_cvt_u32_f64_e32 v2, v[0:1]
	s_cbranch_vccz .LBB6_710
; %bb.709:
	s_mov_b64 s[30:31], 0
	global_store_dword v[4:5], v2, off
.LBB6_710:
	s_andn2_b64 vcc, exec, s[30:31]
	s_cbranch_vccnz .LBB6_712
; %bb.711:
	global_store_short v[4:5], v2, off
.LBB6_712:
	s_mov_b64 s[30:31], 0
.LBB6_713:
	s_andn2_b64 vcc, exec, s[30:31]
	s_cbranch_vccnz .LBB6_721
; %bb.714:
	v_cvt_f32_f64_e32 v2, v[0:1]
	v_and_b32_e32 v3, 0x7fffffff, v2
	s_mov_b32 s30, 0x43800000
	v_cmp_gt_u32_e32 vcc, s30, v3
	v_mov_b32_e32 v6, 0x80
	s_and_saveexec_b64 s[30:31], vcc
	s_cbranch_execz .LBB6_720
; %bb.715:
	s_mov_b32 s34, 0x3bffffff
	v_cmp_lt_u32_e32 vcc, s34, v3
	s_mov_b64 s[34:35], 0
                                        ; implicit-def: $vgpr3
	s_and_saveexec_b64 s[36:37], vcc
	s_xor_b64 s[36:37], exec, s[36:37]
	s_cbranch_execz .LBB6_821
; %bb.716:
	v_bfe_u32 v3, v2, 20, 1
	s_mov_b32 s38, 0x487ffff
	v_add3_u32 v3, v2, v3, s38
	s_mov_b64 s[34:35], exec
	v_lshrrev_b32_e32 v3, 20, v3
	s_or_saveexec_b64 s[36:37], s[36:37]
                                        ; implicit-def: $sgpr38
	s_xor_b64 exec, exec, s[36:37]
	s_cbranch_execnz .LBB6_822
.LBB6_717:
	s_or_b64 exec, exec, s[36:37]
	v_mov_b32_e32 v6, s38
	s_and_saveexec_b64 s[36:37], s[34:35]
.LBB6_718:
	v_lshrrev_b32_e32 v2, 24, v2
	s_movk_i32 s34, 0x80
	v_and_or_b32 v6, v2, s34, v3
.LBB6_719:
	s_or_b64 exec, exec, s[36:37]
.LBB6_720:
	s_or_b64 exec, exec, s[30:31]
	global_store_byte v[4:5], v6, off
.LBB6_721:
	s_mov_b64 s[30:31], -1
.LBB6_722:
	s_mov_b64 s[34:35], 0
.LBB6_723:
	s_and_b64 vcc, exec, s[34:35]
	s_cbranch_vccz .LBB6_764
; %bb.724:
	v_mov_b32_e32 v2, 22
	v_cmp_gt_i16_sdwa s[36:37], s33, v2 src0_sel:BYTE_0 src1_sel:DWORD
	s_mov_b64 s[34:35], -1
	s_and_b64 vcc, exec, s[36:37]
	s_cbranch_vccz .LBB6_756
; %bb.725:
	v_mov_b32_e32 v2, 24
	v_cmp_lt_i16_sdwa s[34:35], s33, v2 src0_sel:BYTE_0 src1_sel:DWORD
	s_mov_b64 s[30:31], -1
	s_and_b64 vcc, exec, s[34:35]
	s_cbranch_vccnz .LBB6_745
; %bb.726:
	v_cmp_gt_i16_sdwa s[34:35], s33, v2 src0_sel:BYTE_0 src1_sel:DWORD
	s_and_b64 vcc, exec, s[34:35]
	s_cbranch_vccz .LBB6_734
; %bb.727:
	v_cvt_f32_f64_e32 v2, v[0:1]
	v_and_b32_e32 v3, 0x7fffffff, v2
	s_mov_b32 s30, 0x47800000
	v_cmp_gt_u32_e32 vcc, s30, v3
	v_mov_b32_e32 v6, 0x80
	s_and_saveexec_b64 s[30:31], vcc
	s_cbranch_execz .LBB6_733
; %bb.728:
	s_mov_b32 s34, 0x37ffffff
	v_cmp_lt_u32_e32 vcc, s34, v3
	s_mov_b64 s[34:35], 0
                                        ; implicit-def: $vgpr3
	s_and_saveexec_b64 s[36:37], vcc
	s_xor_b64 s[36:37], exec, s[36:37]
	s_cbranch_execz .LBB6_824
; %bb.729:
	v_bfe_u32 v3, v2, 21, 1
	s_mov_b32 s38, 0x88fffff
	v_add3_u32 v3, v2, v3, s38
	s_mov_b64 s[34:35], exec
	v_lshrrev_b32_e32 v3, 21, v3
	s_or_saveexec_b64 s[36:37], s[36:37]
                                        ; implicit-def: $sgpr38
	s_xor_b64 exec, exec, s[36:37]
	s_cbranch_execnz .LBB6_825
.LBB6_730:
	s_or_b64 exec, exec, s[36:37]
	v_mov_b32_e32 v6, s38
	s_and_saveexec_b64 s[36:37], s[34:35]
.LBB6_731:
	v_lshrrev_b32_e32 v2, 24, v2
	s_movk_i32 s34, 0x80
	v_and_or_b32 v6, v2, s34, v3
.LBB6_732:
	s_or_b64 exec, exec, s[36:37]
.LBB6_733:
	s_or_b64 exec, exec, s[30:31]
	s_mov_b64 s[30:31], 0
	global_store_byte v[4:5], v6, off
.LBB6_734:
	s_and_b64 vcc, exec, s[30:31]
	s_cbranch_vccz .LBB6_744
; %bb.735:
	v_cvt_f32_f64_e32 v2, v[0:1]
	v_and_b32_e32 v6, 0x7fffffff, v2
	s_mov_b32 s30, 0x43f00000
	v_cmp_gt_u32_e32 vcc, s30, v6
                                        ; implicit-def: $vgpr3
	s_and_saveexec_b64 s[30:31], vcc
	s_xor_b64 s[30:31], exec, s[30:31]
	s_cbranch_execz .LBB6_741
; %bb.736:
	s_mov_b32 s34, 0x3c7fffff
	v_cmp_lt_u32_e32 vcc, s34, v6
                                        ; implicit-def: $vgpr3
	s_and_saveexec_b64 s[34:35], vcc
	s_xor_b64 s[34:35], exec, s[34:35]
; %bb.737:
	v_bfe_u32 v3, v2, 20, 1
	s_mov_b32 s36, 0x407ffff
	v_add3_u32 v3, v2, v3, s36
	v_lshrrev_b32_e32 v6, 20, v3
	v_and_b32_e32 v3, 0xff00000, v3
	s_mov_b32 s36, 0x7f00000
	v_mov_b32_e32 v7, 0x7e
	v_cmp_ne_u32_e32 vcc, s36, v3
	v_cndmask_b32_e32 v3, v7, v6, vcc
; %bb.738:
	s_andn2_saveexec_b64 s[34:35], s[34:35]
; %bb.739:
	s_mov_b32 s36, 0x46800000
	v_add_f32_e64 v3, |v2|, s36
; %bb.740:
	s_or_b64 exec, exec, s[34:35]
                                        ; implicit-def: $vgpr6
.LBB6_741:
	s_andn2_saveexec_b64 s[30:31], s[30:31]
; %bb.742:
	s_mov_b32 s34, 0x7f800000
	v_mov_b32_e32 v3, 0x7e
	v_mov_b32_e32 v7, 0x7f
	v_cmp_lt_u32_e32 vcc, s34, v6
	v_cndmask_b32_e32 v3, v3, v7, vcc
; %bb.743:
	s_or_b64 exec, exec, s[30:31]
	v_lshrrev_b32_e32 v2, 24, v2
	s_movk_i32 s30, 0x80
	v_and_or_b32 v2, v2, s30, v3
	global_store_byte v[4:5], v2, off
.LBB6_744:
	s_mov_b64 s[30:31], 0
.LBB6_745:
	s_andn2_b64 vcc, exec, s[30:31]
	s_cbranch_vccnz .LBB6_755
; %bb.746:
	v_cvt_f32_f64_e32 v2, v[0:1]
	v_and_b32_e32 v6, 0x7fffffff, v2
	s_mov_b32 s30, 0x47800000
	v_cmp_gt_u32_e32 vcc, s30, v6
                                        ; implicit-def: $vgpr3
	s_and_saveexec_b64 s[30:31], vcc
	s_xor_b64 s[30:31], exec, s[30:31]
	s_cbranch_execz .LBB6_752
; %bb.747:
	s_mov_b32 s34, 0x387fffff
	v_cmp_lt_u32_e32 vcc, s34, v6
                                        ; implicit-def: $vgpr3
	s_and_saveexec_b64 s[34:35], vcc
	s_xor_b64 s[34:35], exec, s[34:35]
; %bb.748:
	v_bfe_u32 v3, v2, 21, 1
	s_mov_b32 s36, 0x80fffff
	v_add3_u32 v3, v2, v3, s36
	v_lshrrev_b32_e32 v3, 21, v3
; %bb.749:
	s_andn2_saveexec_b64 s[34:35], s[34:35]
; %bb.750:
	s_mov_b32 s36, 0x43000000
	v_add_f32_e64 v3, |v2|, s36
; %bb.751:
	s_or_b64 exec, exec, s[34:35]
                                        ; implicit-def: $vgpr6
.LBB6_752:
	s_andn2_saveexec_b64 s[30:31], s[30:31]
; %bb.753:
	s_mov_b32 s34, 0x7f800000
	v_mov_b32_e32 v3, 0x7c
	v_mov_b32_e32 v7, 0x7f
	v_cmp_lt_u32_e32 vcc, s34, v6
	v_cndmask_b32_e32 v3, v3, v7, vcc
; %bb.754:
	s_or_b64 exec, exec, s[30:31]
	v_lshrrev_b32_e32 v2, 24, v2
	s_movk_i32 s30, 0x80
	v_and_or_b32 v2, v2, s30, v3
	global_store_byte v[4:5], v2, off
.LBB6_755:
	s_mov_b64 s[34:35], 0
	s_mov_b64 s[30:31], -1
.LBB6_756:
	s_andn2_b64 vcc, exec, s[34:35]
	s_cbranch_vccnz .LBB6_764
; %bb.757:
	v_mov_b32_e32 v2, 14
	v_cmp_gt_i16_sdwa s[36:37], s33, v2 src0_sel:BYTE_0 src1_sel:DWORD
	s_mov_b64 s[34:35], -1
	s_and_b64 vcc, exec, s[36:37]
	s_cbranch_vccz .LBB6_761
; %bb.758:
	v_mov_b32_e32 v2, 15
	v_cmp_eq_u16_sdwa s[34:35], s33, v2 src0_sel:BYTE_0 src1_sel:DWORD
	s_mov_b64 s[0:1], -1
	s_and_b64 vcc, exec, s[34:35]
	s_cbranch_vccz .LBB6_760
; %bb.759:
	v_cvt_f32_f64_e32 v2, v[0:1]
	v_bfe_u32 v3, v2, 16, 1
	s_movk_i32 s0, 0x7fff
	v_add3_u32 v3, v2, v3, s0
	v_lshrrev_b32_e32 v3, 16, v3
	v_mov_b32_e32 v6, 0x7fc0
	v_cmp_o_f32_e32 vcc, v2, v2
	v_cndmask_b32_e32 v2, v6, v3, vcc
	global_store_short v[4:5], v2, off
	s_mov_b64 s[30:31], -1
	s_mov_b64 s[0:1], 0
.LBB6_760:
	s_mov_b64 s[34:35], 0
.LBB6_761:
	s_and_b64 vcc, exec, s[34:35]
	s_cbranch_vccz .LBB6_764
; %bb.762:
	v_mov_b32_e32 v2, 11
	v_cmp_eq_u16_sdwa s[34:35], s33, v2 src0_sel:BYTE_0 src1_sel:DWORD
	s_mov_b64 s[0:1], -1
	s_and_b64 vcc, exec, s[34:35]
	s_cbranch_vccz .LBB6_764
; %bb.763:
	v_cmp_neq_f64_e32 vcc, 0, v[0:1]
	s_mov_b64 s[0:1], 0
	v_cndmask_b32_e64 v2, 0, 1, vcc
	s_mov_b64 s[30:31], -1
	global_store_byte v[4:5], v2, off
.LBB6_764:
	s_mov_b64 s[34:35], 0
.LBB6_765:
	s_and_b64 vcc, exec, s[34:35]
	s_cbranch_vccz .LBB6_804
; %bb.766:
	v_mov_b32_e32 v2, 5
	v_cmp_lt_i16_sdwa s[34:35], s33, v2 src0_sel:BYTE_0 src1_sel:DWORD
	s_mov_b64 s[30:31], -1
	s_and_b64 vcc, exec, s[34:35]
	s_cbranch_vccnz .LBB6_787
; %bb.767:
	v_mov_b32_e32 v2, 8
	v_cmp_lt_i16_sdwa s[34:35], s33, v2 src0_sel:BYTE_0 src1_sel:DWORD
	s_and_b64 vcc, exec, s[34:35]
	s_cbranch_vccnz .LBB6_777
; %bb.768:
	v_mov_b32_e32 v2, 9
	v_cmp_lt_i16_sdwa s[34:35], s33, v2 src0_sel:BYTE_0 src1_sel:DWORD
	s_and_b64 vcc, exec, s[34:35]
	s_cbranch_vccnz .LBB6_774
; %bb.769:
	v_cmp_gt_i16_sdwa s[34:35], s33, v2 src0_sel:BYTE_0 src1_sel:DWORD
	s_and_b64 vcc, exec, s[34:35]
	s_cbranch_vccz .LBB6_771
; %bb.770:
	v_mov_b32_e32 v2, 0
	v_mov_b32_e32 v3, v2
	s_mov_b64 s[30:31], 0
	global_store_dwordx4 v[4:5], v[0:3], off
.LBB6_771:
	s_andn2_b64 vcc, exec, s[30:31]
	s_cbranch_vccnz .LBB6_773
; %bb.772:
	v_cvt_f32_f64_e32 v2, v[0:1]
	v_mov_b32_e32 v3, 0
	global_store_dwordx2 v[4:5], v[2:3], off
.LBB6_773:
	s_mov_b64 s[30:31], 0
.LBB6_774:
	s_andn2_b64 vcc, exec, s[30:31]
	s_cbranch_vccnz .LBB6_776
; %bb.775:
	v_cvt_f32_f64_e32 v2, v[0:1]
	v_cvt_f16_f32_e32 v2, v2
	global_store_dword v[4:5], v2, off
.LBB6_776:
	s_mov_b64 s[30:31], 0
.LBB6_777:
	s_andn2_b64 vcc, exec, s[30:31]
	s_cbranch_vccnz .LBB6_786
; %bb.778:
	v_mov_b32_e32 v2, 6
	v_cmp_lt_i16_sdwa s[34:35], s33, v2 src0_sel:BYTE_0 src1_sel:DWORD
	s_mov_b64 s[30:31], -1
	s_and_b64 vcc, exec, s[34:35]
	s_cbranch_vccnz .LBB6_784
; %bb.779:
	v_cmp_gt_i16_sdwa s[34:35], s33, v2 src0_sel:BYTE_0 src1_sel:DWORD
	s_and_b64 vcc, exec, s[34:35]
	s_cbranch_vccz .LBB6_781
; %bb.780:
	s_mov_b64 s[30:31], 0
	global_store_dwordx2 v[4:5], v[0:1], off
.LBB6_781:
	s_andn2_b64 vcc, exec, s[30:31]
	s_cbranch_vccnz .LBB6_783
; %bb.782:
	v_cvt_f32_f64_e32 v2, v[0:1]
	global_store_dword v[4:5], v2, off
.LBB6_783:
	s_mov_b64 s[30:31], 0
.LBB6_784:
	s_andn2_b64 vcc, exec, s[30:31]
	s_cbranch_vccnz .LBB6_786
; %bb.785:
	v_cvt_f32_f64_e32 v2, v[0:1]
	v_cvt_f16_f32_e32 v2, v2
	global_store_short v[4:5], v2, off
.LBB6_786:
	s_mov_b64 s[30:31], 0
.LBB6_787:
	s_andn2_b64 vcc, exec, s[30:31]
	s_cbranch_vccnz .LBB6_803
; %bb.788:
	v_mov_b32_e32 v2, 2
	v_cmp_lt_i16_sdwa s[34:35], s33, v2 src0_sel:BYTE_0 src1_sel:DWORD
	s_mov_b64 s[30:31], -1
	s_and_b64 vcc, exec, s[34:35]
	s_cbranch_vccnz .LBB6_798
; %bb.789:
	v_mov_b32_e32 v2, 3
	v_cmp_lt_i16_sdwa s[34:35], s33, v2 src0_sel:BYTE_0 src1_sel:DWORD
	s_and_b64 vcc, exec, s[34:35]
	s_cbranch_vccnz .LBB6_795
; %bb.790:
	v_cmp_gt_i16_sdwa s[34:35], s33, v2 src0_sel:BYTE_0 src1_sel:DWORD
	s_and_b64 vcc, exec, s[34:35]
	s_cbranch_vccz .LBB6_792
; %bb.791:
	v_trunc_f64_e32 v[2:3], v[0:1]
	s_movk_i32 s30, 0xffe0
	v_ldexp_f64 v[6:7], v[2:3], s30
	v_floor_f64_e32 v[6:7], v[6:7]
	v_fmac_f64_e32 v[2:3], 0xc1f00000, v[6:7]
	v_cvt_i32_f64_e32 v9, v[6:7]
	v_cvt_u32_f64_e32 v8, v[2:3]
	s_mov_b64 s[30:31], 0
	global_store_dwordx2 v[4:5], v[8:9], off
.LBB6_792:
	s_andn2_b64 vcc, exec, s[30:31]
	s_cbranch_vccnz .LBB6_794
; %bb.793:
	v_cvt_i32_f64_e32 v2, v[0:1]
	global_store_dword v[4:5], v2, off
.LBB6_794:
	s_mov_b64 s[30:31], 0
.LBB6_795:
	s_andn2_b64 vcc, exec, s[30:31]
	s_cbranch_vccnz .LBB6_797
; %bb.796:
	v_cvt_i32_f64_e32 v2, v[0:1]
	global_store_short v[4:5], v2, off
.LBB6_797:
	s_mov_b64 s[30:31], 0
.LBB6_798:
	s_andn2_b64 vcc, exec, s[30:31]
	s_cbranch_vccnz .LBB6_803
; %bb.799:
	v_mov_b32_e32 v2, 0
	v_cmp_gt_i16_sdwa s[34:35], s33, v2 src0_sel:BYTE_0 src1_sel:DWORD
	s_mov_b64 s[30:31], -1
	s_and_b64 vcc, exec, s[34:35]
	s_cbranch_vccz .LBB6_801
; %bb.800:
	v_cvt_i32_f64_e32 v2, v[0:1]
	s_mov_b64 s[30:31], 0
	global_store_byte v[4:5], v2, off
.LBB6_801:
	s_andn2_b64 vcc, exec, s[30:31]
	s_cbranch_vccnz .LBB6_803
; %bb.802:
	v_trunc_f64_e32 v[0:1], v[0:1]
	s_movk_i32 s30, 0xffe0
	v_ldexp_f64 v[2:3], v[0:1], s30
	v_floor_f64_e32 v[2:3], v[2:3]
	v_fmac_f64_e32 v[0:1], 0xc1f00000, v[2:3]
	v_cvt_u32_f64_e32 v0, v[0:1]
	global_store_byte v[4:5], v0, off
.LBB6_803:
	s_mov_b64 s[30:31], -1
.LBB6_804:
	s_andn2_b64 vcc, exec, s[30:31]
	s_cbranch_vccnz .LBB6_806
; %bb.805:
	v_add_u32_e32 v10, 0x80, v10
	s_mov_b64 s[34:35], -1
	s_branch .LBB6_807
.LBB6_806:
	s_mov_b64 s[34:35], 0
                                        ; implicit-def: $vgpr10
.LBB6_807:
	s_andn2_b64 s[30:31], s[22:23], exec
	s_and_b64 s[0:1], s[0:1], exec
	s_or_b64 s[30:31], s[30:31], s[0:1]
	s_andn2_b64 s[0:1], s[20:21], exec
	s_and_b64 s[28:29], s[28:29], exec
	s_or_b64 s[0:1], s[0:1], s[28:29]
	s_orn2_b64 s[36:37], s[34:35], exec
.LBB6_808:
	s_or_b64 exec, exec, s[26:27]
	s_mov_b64 s[34:35], 0
	s_mov_b64 s[28:29], 0
	;; [unrolled: 1-line block ×3, first 2 shown]
                                        ; implicit-def: $vgpr0_vgpr1
                                        ; implicit-def: $vgpr2_vgpr3
	s_and_saveexec_b64 s[26:27], s[36:37]
	s_cbranch_execz .LBB6_893
; %bb.809:
	v_cmp_gt_i32_e32 vcc, s42, v10
	s_mov_b64 s[36:37], 0
	s_mov_b64 s[40:41], s[0:1]
	;; [unrolled: 1-line block ×3, first 2 shown]
                                        ; implicit-def: $vgpr0_vgpr1
                                        ; implicit-def: $vgpr2_vgpr3
	s_and_saveexec_b64 s[28:29], vcc
	s_cbranch_execz .LBB6_892
; %bb.810:
	v_mul_lo_u32 v0, v10, s3
	v_ashrrev_i32_e32 v1, 31, v0
	s_waitcnt vmcnt(0)
	v_mov_b32_e32 v2, s11
	v_add_co_u32_e32 v0, vcc, s10, v0
	v_addc_co_u32_e32 v1, vcc, v2, v1, vcc
	v_cmp_gt_i16_e32 vcc, 11, v11
	s_cbranch_vccnz .LBB6_817
; %bb.811:
	v_cmp_lt_i16_e32 vcc, 25, v11
	s_cbranch_vccz .LBB6_818
; %bb.812:
	v_cmp_lt_i16_e32 vcc, 28, v11
	s_cbranch_vccz .LBB6_819
	;; [unrolled: 3-line block ×4, first 2 shown]
; %bb.815:
	v_cmp_eq_u16_e32 vcc, 46, v11
	s_mov_b64 s[40:41], 0
	s_cbranch_vccz .LBB6_826
; %bb.816:
	global_load_dword v2, v[0:1], off
	s_mov_b64 s[38:39], -1
	s_waitcnt vmcnt(0)
	v_lshlrev_b32_e32 v2, 16, v2
	v_cvt_f64_f32_e32 v[2:3], v2
	s_branch .LBB6_828
.LBB6_817:
	s_mov_b64 s[40:41], -1
                                        ; implicit-def: $vgpr2_vgpr3
	s_mov_b64 s[34:35], s[0:1]
	s_branch .LBB6_891
.LBB6_818:
	s_mov_b64 s[40:41], -1
	s_mov_b64 s[34:35], s[0:1]
                                        ; implicit-def: $vgpr2_vgpr3
	s_branch .LBB6_857
.LBB6_819:
	s_mov_b64 s[40:41], -1
	s_mov_b64 s[34:35], s[0:1]
                                        ; implicit-def: $vgpr2_vgpr3
	s_branch .LBB6_838
.LBB6_820:
	s_mov_b64 s[40:41], -1
	s_mov_b64 s[34:35], s[0:1]
                                        ; implicit-def: $vgpr2_vgpr3
	s_branch .LBB6_833
.LBB6_821:
	s_or_saveexec_b64 s[36:37], s[36:37]
                                        ; implicit-def: $sgpr38
	s_xor_b64 exec, exec, s[36:37]
	s_cbranch_execz .LBB6_717
.LBB6_822:
	s_mov_b32 s38, 0x46000000
	v_add_f32_e64 v3, |v2|, s38
	v_and_b32_e32 v3, 0xff, v3
	v_cmp_ne_u32_e32 vcc, 0, v3
	s_andn2_b64 s[34:35], s[34:35], exec
	s_and_b64 s[40:41], vcc, exec
	s_mov_b32 s38, 0
	s_or_b64 s[34:35], s[34:35], s[40:41]
	s_or_b64 exec, exec, s[36:37]
	v_mov_b32_e32 v6, s38
	s_and_saveexec_b64 s[36:37], s[34:35]
	s_cbranch_execnz .LBB6_718
	s_branch .LBB6_719
.LBB6_823:
	s_mov_b64 s[40:41], -1
	s_mov_b64 s[34:35], s[0:1]
	s_branch .LBB6_827
.LBB6_824:
	s_or_saveexec_b64 s[36:37], s[36:37]
                                        ; implicit-def: $sgpr38
	s_xor_b64 exec, exec, s[36:37]
	s_cbranch_execz .LBB6_730
.LBB6_825:
	s_mov_b32 s38, 0x42800000
	v_add_f32_e64 v3, |v2|, s38
	v_and_b32_e32 v3, 0xff, v3
	v_cmp_ne_u32_e32 vcc, 0, v3
	s_andn2_b64 s[34:35], s[34:35], exec
	s_and_b64 s[40:41], vcc, exec
	s_mov_b32 s38, 0
	s_or_b64 s[34:35], s[34:35], s[40:41]
	s_or_b64 exec, exec, s[36:37]
	v_mov_b32_e32 v6, s38
	s_and_saveexec_b64 s[36:37], s[34:35]
	s_cbranch_execnz .LBB6_731
	s_branch .LBB6_732
.LBB6_826:
	s_mov_b64 s[34:35], -1
.LBB6_827:
                                        ; implicit-def: $vgpr2_vgpr3
.LBB6_828:
	s_and_b64 vcc, exec, s[40:41]
	s_cbranch_vccz .LBB6_832
; %bb.829:
	v_cmp_eq_u16_e32 vcc, 44, v11
	s_cbranch_vccz .LBB6_831
; %bb.830:
	global_load_ubyte v4, v[0:1], off
	s_movk_i32 s38, 0xff
	v_bfrev_b32_e32 v5, 4
	v_mov_b32_e32 v6, 0x7ff80000
	v_bfrev_b32_e32 v7, 28
	s_mov_b64 s[34:35], 0
	s_waitcnt vmcnt(0)
	v_lshlrev_b32_e32 v2, 23, v4
	v_cvt_f64_f32_e32 v[2:3], v2
	v_cmp_ne_u32_e32 vcc, s38, v4
	v_cndmask_b32_e32 v2, v5, v2, vcc
	v_cndmask_b32_e32 v3, v6, v3, vcc
	v_cmp_ne_u32_e32 vcc, 0, v4
	v_cndmask_b32_e32 v3, v7, v3, vcc
	v_cndmask_b32_e32 v2, 0, v2, vcc
	s_mov_b64 s[38:39], -1
	s_branch .LBB6_832
.LBB6_831:
	s_mov_b64 s[34:35], -1
                                        ; implicit-def: $vgpr2_vgpr3
.LBB6_832:
	s_mov_b64 s[40:41], 0
.LBB6_833:
	s_and_b64 vcc, exec, s[40:41]
	s_cbranch_vccz .LBB6_837
; %bb.834:
	v_cmp_eq_u16_e32 vcc, 29, v11
	s_cbranch_vccz .LBB6_836
; %bb.835:
	global_load_dwordx2 v[2:3], v[0:1], off
	s_mov_b64 s[34:35], 0
	s_mov_b64 s[38:39], -1
	s_mov_b64 s[40:41], 0
	s_waitcnt vmcnt(0)
	v_cvt_f64_u32_e32 v[4:5], v3
	v_cvt_f64_u32_e32 v[2:3], v2
	v_ldexp_f64 v[4:5], v[4:5], 32
	v_add_f64 v[2:3], v[4:5], v[2:3]
	s_branch .LBB6_838
.LBB6_836:
	s_mov_b64 s[34:35], -1
                                        ; implicit-def: $vgpr2_vgpr3
.LBB6_837:
	s_mov_b64 s[40:41], 0
.LBB6_838:
	s_and_b64 vcc, exec, s[40:41]
	s_cbranch_vccz .LBB6_856
; %bb.839:
	v_cmp_gt_i16_e32 vcc, 27, v11
	s_cbranch_vccnz .LBB6_842
; %bb.840:
	v_cmp_lt_i16_e32 vcc, 27, v11
	s_cbranch_vccz .LBB6_843
; %bb.841:
	global_load_dword v2, v[0:1], off
	s_mov_b64 s[38:39], 0
	s_waitcnt vmcnt(0)
	v_cvt_f64_u32_e32 v[2:3], v2
	s_branch .LBB6_844
.LBB6_842:
	s_mov_b64 s[38:39], -1
                                        ; implicit-def: $vgpr2_vgpr3
	s_branch .LBB6_847
.LBB6_843:
	s_mov_b64 s[38:39], -1
                                        ; implicit-def: $vgpr2_vgpr3
.LBB6_844:
	s_andn2_b64 vcc, exec, s[38:39]
	s_cbranch_vccnz .LBB6_846
; %bb.845:
	global_load_ushort v2, v[0:1], off
	s_waitcnt vmcnt(0)
	v_cvt_f64_u32_e32 v[2:3], v2
.LBB6_846:
	s_mov_b64 s[38:39], 0
.LBB6_847:
	s_andn2_b64 vcc, exec, s[38:39]
	s_cbranch_vccnz .LBB6_855
; %bb.848:
	global_load_ubyte v4, v[0:1], off
	s_movk_i32 s38, 0x7f
                                        ; implicit-def: $sgpr40_sgpr41
	s_waitcnt vmcnt(0)
	v_cmp_lt_i16_e32 vcc, s38, v4
	s_mov_b64 s[38:39], 0
	s_and_saveexec_b64 s[42:43], vcc
	s_xor_b64 s[42:43], exec, s[42:43]
	s_cbranch_execz .LBB6_869
; %bb.849:
	s_movk_i32 s38, 0x80
	v_cmp_eq_u16_e32 vcc, s38, v4
	s_mov_b64 s[44:45], -1
                                        ; implicit-def: $sgpr40_sgpr41
	s_and_saveexec_b64 s[38:39], vcc
; %bb.850:
	s_mov_b32 s41, 0x7ff80000
	s_brev_b32 s40, 4
	s_xor_b64 s[44:45], exec, -1
; %bb.851:
	s_or_b64 exec, exec, s[38:39]
	s_and_b64 s[38:39], s[44:45], exec
	s_or_saveexec_b64 s[42:43], s[42:43]
	v_pk_mov_b32 v[2:3], s[40:41], s[40:41] op_sel:[0,1]
	s_xor_b64 exec, exec, s[42:43]
	s_cbranch_execnz .LBB6_870
.LBB6_852:
	s_or_b64 exec, exec, s[42:43]
	s_and_saveexec_b64 s[40:41], s[38:39]
	s_cbranch_execz .LBB6_854
.LBB6_853:
	v_and_b32_e32 v3, 0xffff, v4
	v_lshlrev_b32_e32 v2, 24, v4
	v_and_b32_e32 v4, 7, v3
	v_ffbh_u32_e32 v6, v4
	v_min_u32_e32 v6, 32, v6
	v_subrev_u32_e32 v7, 28, v6
	v_bfe_u32 v5, v3, 3, 4
	v_lshlrev_b32_e32 v3, v7, v3
	v_sub_u32_e32 v6, 29, v6
	v_and_b32_e32 v3, 7, v3
	v_cmp_eq_u32_e32 vcc, 0, v5
	v_cndmask_b32_e32 v5, v5, v6, vcc
	v_cndmask_b32_e32 v3, v4, v3, vcc
	v_mov_b32_e32 v4, 0x3b800000
	v_lshlrev_b32_e32 v3, 20, v3
	v_and_b32_e32 v2, 0x80000000, v2
	v_lshl_add_u32 v4, v5, 23, v4
	v_or3_b32 v2, v2, v4, v3
	v_cvt_f64_f32_e32 v[2:3], v2
.LBB6_854:
	s_or_b64 exec, exec, s[40:41]
.LBB6_855:
	s_mov_b64 s[38:39], -1
.LBB6_856:
	s_mov_b64 s[40:41], 0
.LBB6_857:
	s_and_b64 vcc, exec, s[40:41]
	s_cbranch_vccz .LBB6_890
; %bb.858:
	v_cmp_lt_i16_e32 vcc, 22, v11
	s_cbranch_vccz .LBB6_868
; %bb.859:
	v_cmp_gt_i16_e32 vcc, 24, v11
	s_cbranch_vccnz .LBB6_871
; %bb.860:
	v_cmp_lt_i16_e32 vcc, 24, v11
	s_cbranch_vccz .LBB6_872
; %bb.861:
	global_load_ubyte v4, v[0:1], off
	s_movk_i32 s36, 0x7f
                                        ; implicit-def: $sgpr38_sgpr39
	s_waitcnt vmcnt(0)
	v_cmp_lt_i16_e32 vcc, s36, v4
	s_mov_b64 s[36:37], 0
	s_and_saveexec_b64 s[40:41], vcc
	s_xor_b64 s[40:41], exec, s[40:41]
	s_cbranch_execz .LBB6_884
; %bb.862:
	s_movk_i32 s36, 0x80
	v_cmp_eq_u16_e32 vcc, s36, v4
	s_mov_b64 s[42:43], -1
                                        ; implicit-def: $sgpr38_sgpr39
	s_and_saveexec_b64 s[36:37], vcc
; %bb.863:
	s_mov_b32 s39, 0x7ff80000
	s_brev_b32 s38, 4
	s_xor_b64 s[42:43], exec, -1
; %bb.864:
	s_or_b64 exec, exec, s[36:37]
	s_and_b64 s[36:37], s[42:43], exec
	s_or_saveexec_b64 s[40:41], s[40:41]
	v_pk_mov_b32 v[2:3], s[38:39], s[38:39] op_sel:[0,1]
	s_xor_b64 exec, exec, s[40:41]
	s_cbranch_execnz .LBB6_885
.LBB6_865:
	s_or_b64 exec, exec, s[40:41]
	s_and_saveexec_b64 s[38:39], s[36:37]
	s_cbranch_execz .LBB6_867
.LBB6_866:
	v_and_b32_e32 v3, 0xffff, v4
	v_lshlrev_b32_e32 v2, 24, v4
	v_and_b32_e32 v4, 3, v3
	v_ffbh_u32_e32 v6, v4
	v_min_u32_e32 v6, 32, v6
	v_subrev_u32_e32 v7, 29, v6
	v_bfe_u32 v5, v3, 2, 5
	v_lshlrev_b32_e32 v3, v7, v3
	v_sub_u32_e32 v6, 30, v6
	v_and_b32_e32 v3, 3, v3
	v_cmp_eq_u32_e32 vcc, 0, v5
	v_cndmask_b32_e32 v5, v5, v6, vcc
	v_cndmask_b32_e32 v3, v4, v3, vcc
	v_mov_b32_e32 v4, 0x37800000
	v_lshlrev_b32_e32 v3, 21, v3
	v_and_b32_e32 v2, 0x80000000, v2
	v_lshl_add_u32 v4, v5, 23, v4
	v_or3_b32 v2, v2, v4, v3
	v_cvt_f64_f32_e32 v[2:3], v2
.LBB6_867:
	s_or_b64 exec, exec, s[38:39]
	s_mov_b64 s[36:37], 0
	s_branch .LBB6_873
.LBB6_868:
	s_mov_b64 s[36:37], -1
                                        ; implicit-def: $vgpr2_vgpr3
	s_branch .LBB6_879
.LBB6_869:
	s_or_saveexec_b64 s[42:43], s[42:43]
	v_pk_mov_b32 v[2:3], s[40:41], s[40:41] op_sel:[0,1]
	s_xor_b64 exec, exec, s[42:43]
	s_cbranch_execz .LBB6_852
.LBB6_870:
	v_cmp_ne_u16_e32 vcc, 0, v4
	s_andn2_b64 s[38:39], s[38:39], exec
	s_and_b64 s[40:41], vcc, exec
	v_pk_mov_b32 v[2:3], 0, 0
	s_or_b64 s[38:39], s[38:39], s[40:41]
	s_or_b64 exec, exec, s[42:43]
	s_and_saveexec_b64 s[40:41], s[38:39]
	s_cbranch_execnz .LBB6_853
	s_branch .LBB6_854
.LBB6_871:
	s_mov_b64 s[36:37], -1
                                        ; implicit-def: $vgpr2_vgpr3
	s_branch .LBB6_876
.LBB6_872:
	s_mov_b64 s[36:37], -1
                                        ; implicit-def: $vgpr2_vgpr3
.LBB6_873:
	s_and_b64 vcc, exec, s[36:37]
	s_cbranch_vccz .LBB6_875
; %bb.874:
	global_load_ubyte v2, v[0:1], off
	s_mov_b32 s36, 0x7f800000
	s_waitcnt vmcnt(0)
	v_lshlrev_b32_e32 v2, 24, v2
	v_and_b32_e32 v3, 0x7f000000, v2
	v_ffbh_u32_e32 v4, v3
	v_min_u32_e32 v4, 32, v4
	v_sub_u32_e64 v4, v4, 4 clamp
	v_lshlrev_b32_e32 v6, v4, v3
	v_lshlrev_b32_e32 v4, 23, v4
	v_lshrrev_b32_e32 v6, 4, v6
	v_add_u32_e32 v5, 0x1000000, v3
	v_sub_u32_e32 v4, v6, v4
	v_ashrrev_i32_e32 v5, 8, v5
	v_add_u32_e32 v4, 0x3c000000, v4
	v_and_or_b32 v4, v5, s36, v4
	v_cmp_ne_u32_e32 vcc, 0, v3
	v_cndmask_b32_e32 v3, 0, v4, vcc
	s_brev_b32 s36, 1
	v_and_or_b32 v2, v2, s36, v3
	v_cvt_f64_f32_e32 v[2:3], v2
.LBB6_875:
	s_mov_b64 s[36:37], 0
.LBB6_876:
	s_andn2_b64 vcc, exec, s[36:37]
	s_cbranch_vccnz .LBB6_878
; %bb.877:
	global_load_ubyte v2, v[0:1], off
	s_movk_i32 s36, 0x7f00
	s_brev_b32 s37, 16
	s_waitcnt vmcnt(0)
	v_lshlrev_b16_e32 v3, 8, v2
	v_lshlrev_b32_e32 v2, 25, v2
	v_lshrrev_b32_e32 v4, 4, v2
	v_and_or_b32 v5, v3, s36, 0.5
	v_or_b32_e32 v4, 0x70000000, v4
	v_add_f32_e32 v5, -0.5, v5
	v_mul_f32_e32 v4, 0x7800000, v4
	v_cmp_gt_u32_e32 vcc, s37, v2
	v_bfe_i32 v3, v3, 0, 16
	v_cndmask_b32_e32 v2, v4, v5, vcc
	s_brev_b32 s36, 1
	v_and_or_b32 v2, v3, s36, v2
	v_cvt_f64_f32_e32 v[2:3], v2
.LBB6_878:
	s_mov_b64 s[36:37], 0
	s_mov_b64 s[38:39], -1
.LBB6_879:
	s_andn2_b64 vcc, exec, s[36:37]
	s_mov_b64 s[36:37], 0
	s_cbranch_vccnz .LBB6_890
; %bb.880:
	v_cmp_lt_i16_e32 vcc, 14, v11
	s_cbranch_vccz .LBB6_883
; %bb.881:
	v_cmp_eq_u16_e32 vcc, 15, v11
	s_cbranch_vccz .LBB6_886
; %bb.882:
	global_load_ushort v2, v[0:1], off
	s_mov_b64 s[34:35], 0
	s_mov_b64 s[38:39], -1
	s_waitcnt vmcnt(0)
	v_lshlrev_b32_e32 v2, 16, v2
	v_cvt_f64_f32_e32 v[2:3], v2
	s_branch .LBB6_887
.LBB6_883:
	s_mov_b64 s[40:41], -1
                                        ; implicit-def: $vgpr2_vgpr3
	s_branch .LBB6_888
.LBB6_884:
	s_or_saveexec_b64 s[40:41], s[40:41]
	v_pk_mov_b32 v[2:3], s[38:39], s[38:39] op_sel:[0,1]
	s_xor_b64 exec, exec, s[40:41]
	s_cbranch_execz .LBB6_865
.LBB6_885:
	v_cmp_ne_u16_e32 vcc, 0, v4
	s_andn2_b64 s[36:37], s[36:37], exec
	s_and_b64 s[38:39], vcc, exec
	v_pk_mov_b32 v[2:3], 0, 0
	s_or_b64 s[36:37], s[36:37], s[38:39]
	s_or_b64 exec, exec, s[40:41]
	s_and_saveexec_b64 s[38:39], s[36:37]
	s_cbranch_execnz .LBB6_866
	s_branch .LBB6_867
.LBB6_886:
	s_mov_b64 s[34:35], -1
                                        ; implicit-def: $vgpr2_vgpr3
.LBB6_887:
	s_mov_b64 s[40:41], 0
.LBB6_888:
	s_and_b64 vcc, exec, s[40:41]
	s_cbranch_vccz .LBB6_890
; %bb.889:
	v_cmp_ne_u16_e32 vcc, 11, v11
	s_andn2_b64 s[34:35], s[34:35], exec
	s_and_b64 s[40:41], vcc, exec
	s_mov_b64 s[36:37], -1
	s_or_b64 s[34:35], s[34:35], s[40:41]
                                        ; implicit-def: $vgpr2_vgpr3
.LBB6_890:
	s_mov_b64 s[40:41], 0
.LBB6_891:
	s_and_b64 s[42:43], s[40:41], exec
	s_andn2_b64 s[40:41], s[0:1], exec
	s_and_b64 s[34:35], s[34:35], exec
	s_and_b64 s[38:39], s[38:39], exec
	;; [unrolled: 1-line block ×3, first 2 shown]
	s_or_b64 s[40:41], s[40:41], s[34:35]
.LBB6_892:
	s_or_b64 exec, exec, s[28:29]
	s_and_b64 s[34:35], s[36:37], exec
	s_andn2_b64 s[0:1], s[0:1], exec
	s_and_b64 s[36:37], s[40:41], exec
	s_and_b64 s[38:39], s[38:39], exec
	;; [unrolled: 1-line block ×3, first 2 shown]
	s_or_b64 s[0:1], s[0:1], s[36:37]
.LBB6_893:
	s_or_b64 exec, exec, s[26:27]
	s_andn2_b64 s[22:23], s[22:23], exec
	s_and_b64 s[26:27], s[30:31], exec
	s_andn2_b64 s[20:21], s[20:21], exec
	s_and_b64 s[0:1], s[0:1], exec
	s_or_b64 s[22:23], s[22:23], s[26:27]
	s_and_b64 s[30:31], s[38:39], exec
	s_and_b64 s[28:29], s[28:29], exec
	;; [unrolled: 1-line block ×3, first 2 shown]
	s_or_b64 s[20:21], s[20:21], s[0:1]
.LBB6_894:
	s_or_b64 exec, exec, s[24:25]
	s_andn2_b64 s[0:1], s[14:15], exec
	s_and_b64 s[14:15], s[22:23], exec
	s_andn2_b64 s[16:17], s[16:17], exec
	s_and_b64 s[20:21], s[20:21], exec
	s_or_b64 s[14:15], s[0:1], s[14:15]
	s_and_b64 s[0:1], s[30:31], exec
	s_and_b64 s[24:25], s[28:29], exec
	;; [unrolled: 1-line block ×3, first 2 shown]
	s_or_b64 s[16:17], s[16:17], s[20:21]
	s_or_b64 exec, exec, s[18:19]
	s_mov_b64 s[18:19], 0
	s_and_saveexec_b64 s[20:21], s[16:17]
	s_cbranch_execz .LBB6_274
.LBB6_895:
	s_mov_b64 s[18:19], exec
	s_andn2_b64 s[22:23], s[22:23], exec
	s_trap 2
                                        ; implicit-def: $vgpr2_vgpr3
	s_or_b64 exec, exec, s[20:21]
	s_and_saveexec_b64 s[16:17], s[22:23]
	s_xor_b64 s[16:17], exec, s[16:17]
	s_cbranch_execnz .LBB6_275
.LBB6_896:
	s_or_b64 exec, exec, s[16:17]
	s_and_saveexec_b64 s[16:17], s[24:25]
	s_cbranch_execz .LBB6_942
.LBB6_897:
	v_cmp_gt_i16_e32 vcc, 5, v11
	s_cbranch_vccnz .LBB6_902
; %bb.898:
	v_cmp_gt_i16_e32 vcc, 8, v11
	s_cbranch_vccnz .LBB6_903
; %bb.899:
	;; [unrolled: 3-line block ×3, first 2 shown]
	v_cmp_lt_i16_e32 vcc, 9, v11
	s_cbranch_vccz .LBB6_905
; %bb.901:
	global_load_dwordx2 v[2:3], v[0:1], off
	s_mov_b64 s[20:21], 0
	s_branch .LBB6_906
.LBB6_902:
                                        ; implicit-def: $vgpr2_vgpr3
	s_branch .LBB6_923
.LBB6_903:
                                        ; implicit-def: $vgpr2_vgpr3
	s_branch .LBB6_912
.LBB6_904:
	s_mov_b64 s[20:21], -1
                                        ; implicit-def: $vgpr2_vgpr3
	s_branch .LBB6_909
.LBB6_905:
	s_mov_b64 s[20:21], -1
                                        ; implicit-def: $vgpr2_vgpr3
.LBB6_906:
	s_andn2_b64 vcc, exec, s[20:21]
	s_cbranch_vccnz .LBB6_908
; %bb.907:
	global_load_dword v2, v[0:1], off
	s_waitcnt vmcnt(0)
	v_cvt_f64_f32_e32 v[2:3], v2
.LBB6_908:
	s_mov_b64 s[20:21], 0
.LBB6_909:
	s_andn2_b64 vcc, exec, s[20:21]
	s_cbranch_vccnz .LBB6_911
; %bb.910:
	global_load_dword v2, v[0:1], off
	s_waitcnt vmcnt(0)
	v_cvt_f32_f16_e32 v2, v2
	v_cvt_f64_f32_e32 v[2:3], v2
.LBB6_911:
	s_cbranch_execnz .LBB6_922
.LBB6_912:
	v_cmp_gt_i16_e32 vcc, 6, v11
	s_cbranch_vccnz .LBB6_915
; %bb.913:
	v_cmp_lt_i16_e32 vcc, 6, v11
	s_cbranch_vccz .LBB6_916
; %bb.914:
	global_load_dwordx2 v[2:3], v[0:1], off
	s_mov_b64 s[20:21], 0
	s_branch .LBB6_917
.LBB6_915:
	s_mov_b64 s[20:21], -1
                                        ; implicit-def: $vgpr2_vgpr3
	s_branch .LBB6_920
.LBB6_916:
	s_mov_b64 s[20:21], -1
                                        ; implicit-def: $vgpr2_vgpr3
.LBB6_917:
	s_andn2_b64 vcc, exec, s[20:21]
	s_cbranch_vccnz .LBB6_919
; %bb.918:
	global_load_dword v2, v[0:1], off
	s_waitcnt vmcnt(0)
	v_cvt_f64_f32_e32 v[2:3], v2
.LBB6_919:
	s_mov_b64 s[20:21], 0
.LBB6_920:
	s_andn2_b64 vcc, exec, s[20:21]
	s_cbranch_vccnz .LBB6_922
; %bb.921:
	global_load_ushort v2, v[0:1], off
	s_waitcnt vmcnt(0)
	v_cvt_f32_f16_e32 v2, v2
	v_cvt_f64_f32_e32 v[2:3], v2
.LBB6_922:
	s_cbranch_execnz .LBB6_941
.LBB6_923:
	v_cmp_gt_i16_e32 vcc, 2, v11
	s_cbranch_vccnz .LBB6_927
; %bb.924:
	v_cmp_gt_i16_e32 vcc, 3, v11
	s_cbranch_vccnz .LBB6_928
; %bb.925:
	v_cmp_lt_i16_e32 vcc, 3, v11
	s_cbranch_vccz .LBB6_929
; %bb.926:
	global_load_dwordx2 v[2:3], v[0:1], off
	s_mov_b64 s[20:21], 0
	s_waitcnt vmcnt(0)
	v_cvt_f64_i32_e32 v[4:5], v3
	v_cvt_f64_u32_e32 v[2:3], v2
	v_ldexp_f64 v[4:5], v[4:5], 32
	v_add_f64 v[2:3], v[4:5], v[2:3]
	s_branch .LBB6_930
.LBB6_927:
                                        ; implicit-def: $vgpr2_vgpr3
	s_branch .LBB6_936
.LBB6_928:
	s_mov_b64 s[20:21], -1
                                        ; implicit-def: $vgpr2_vgpr3
	s_branch .LBB6_933
.LBB6_929:
	s_mov_b64 s[20:21], -1
                                        ; implicit-def: $vgpr2_vgpr3
.LBB6_930:
	s_andn2_b64 vcc, exec, s[20:21]
	s_cbranch_vccnz .LBB6_932
; %bb.931:
	global_load_dword v2, v[0:1], off
	s_waitcnt vmcnt(0)
	v_cvt_f64_i32_e32 v[2:3], v2
.LBB6_932:
	s_mov_b64 s[20:21], 0
.LBB6_933:
	s_andn2_b64 vcc, exec, s[20:21]
	s_cbranch_vccnz .LBB6_935
; %bb.934:
	global_load_sshort v2, v[0:1], off
	s_waitcnt vmcnt(0)
	v_cvt_f64_i32_e32 v[2:3], v2
.LBB6_935:
	s_cbranch_execnz .LBB6_941
.LBB6_936:
	v_cmp_lt_i16_e32 vcc, 0, v11
	s_cbranch_vccz .LBB6_938
; %bb.937:
	global_load_sbyte v2, v[0:1], off
	s_mov_b64 s[20:21], 0
	s_waitcnt vmcnt(0)
	v_cvt_f64_i32_e32 v[2:3], v2
	s_branch .LBB6_939
.LBB6_938:
	s_mov_b64 s[20:21], -1
                                        ; implicit-def: $vgpr2_vgpr3
.LBB6_939:
	s_andn2_b64 vcc, exec, s[20:21]
	s_cbranch_vccnz .LBB6_941
; %bb.940:
	global_load_ubyte v0, v[0:1], off
	s_waitcnt vmcnt(0)
	v_cvt_f64_u32_e32 v[2:3], v0
.LBB6_941:
	s_or_b64 s[0:1], s[0:1], exec
.LBB6_942:
	s_or_b64 exec, exec, s[16:17]
	s_mov_b64 s[22:23], 0
	s_mov_b64 s[20:21], 0
                                        ; implicit-def: $vgpr6
                                        ; implicit-def: $vgpr4_vgpr5
                                        ; implicit-def: $vgpr0_vgpr1
	s_and_saveexec_b64 s[16:17], s[0:1]
	s_cbranch_execz .LBB6_1029
; %bb.943:
	s_waitcnt vmcnt(0)
	v_trunc_f64_e32 v[0:1], v[2:3]
	s_movk_i32 s0, 0xffe0
	v_ldexp_f64 v[2:3], v[0:1], s0
	v_floor_f64_e32 v[4:5], v[2:3]
	v_fmac_f64_e32 v[0:1], 0xc1f00000, v[4:5]
	v_cvt_i32_f64_e32 v3, v[4:5]
	v_cvt_u32_f64_e32 v2, v[0:1]
	v_cmp_lt_i64_e32 vcc, -1, v[2:3]
	v_pk_mov_b32 v[0:1], 0, 0
	s_and_saveexec_b64 s[0:1], vcc
	s_cbranch_execz .LBB6_955
; %bb.944:
	v_mov_b32_e32 v0, 0
	v_cmp_lt_i64_e32 vcc, 0, v[2:3]
	v_mov_b32_e32 v1, 0x3ff00000
	s_and_saveexec_b64 s[20:21], vcc
	s_cbranch_execz .LBB6_954
; %bb.945:
	v_cmp_ne_u64_e32 vcc, 1, v[2:3]
                                        ; implicit-def: $vgpr0_vgpr1
	s_and_saveexec_b64 s[22:23], vcc
	s_xor_b64 s[22:23], exec, s[22:23]
	s_cbranch_execz .LBB6_951
; %bb.946:
	s_mov_b64 s[24:25], 0x201
	v_mov_b32_e32 v0, 0
	v_cmp_gt_u64_e32 vcc, s[24:25], v[2:3]
	v_mov_b32_e32 v1, 0x7ff80000
	s_and_saveexec_b64 s[24:25], vcc
	s_cbranch_execz .LBB6_950
; %bb.947:
	v_mov_b32_e32 v4, 0
	s_mov_b64 s[28:29], 1
	s_mov_b64 s[26:27], 0
	v_pk_mov_b32 v[0:1], s[12:13], s[12:13] op_sel:[0,1]
	v_mov_b32_e32 v5, 0x3ff00000
.LBB6_948:                              ; =>This Inner Loop Header: Depth=1
	v_cvt_f64_u32_e32 v[6:7], s29
	v_cvt_f64_u32_e32 v[8:9], s28
	s_add_u32 s28, s28, 1
	v_ldexp_f64 v[6:7], v[6:7], 32
	s_addc_u32 s29, s29, 0
	v_add_f64 v[6:7], v[6:7], v[8:9]
	v_cmp_eq_u64_e32 vcc, s[28:29], v[2:3]
	v_mul_f64 v[6:7], v[4:5], v[6:7]
	s_or_b64 s[26:27], vcc, s[26:27]
	v_pk_mov_b32 v[4:5], v[0:1], v[0:1] op_sel:[0,1]
	v_fma_f64 v[0:1], s[12:13], v[0:1], -v[6:7]
	s_andn2_b64 exec, exec, s[26:27]
	s_cbranch_execnz .LBB6_948
; %bb.949:
	s_or_b64 exec, exec, s[26:27]
.LBB6_950:
	s_or_b64 exec, exec, s[24:25]
.LBB6_951:
	s_andn2_saveexec_b64 s[22:23], s[22:23]
; %bb.952:
	v_pk_mov_b32 v[0:1], s[12:13], s[12:13] op_sel:[0,1]
; %bb.953:
	s_or_b64 exec, exec, s[22:23]
.LBB6_954:
	s_or_b64 exec, exec, s[20:21]
.LBB6_955:
	s_or_b64 exec, exec, s[0:1]
	v_mul_lo_u32 v2, v10, s2
	v_ashrrev_i32_e32 v3, 31, v2
	v_mov_b32_e32 v5, s9
	v_add_co_u32_e32 v4, vcc, s8, v2
	v_mov_b32_e32 v2, 0xff
	v_addc_co_u32_e32 v5, vcc, v5, v3, vcc
	v_and_b32_e32 v6, s33, v2
	v_cmp_gt_i16_e32 vcc, 11, v6
	s_cbranch_vccnz .LBB6_1032
; %bb.956:
	v_cmp_lt_i16_e32 vcc, 25, v6
	s_mov_b64 s[22:23], -1
	s_mov_b64 s[0:1], s[14:15]
	s_cbranch_vccz .LBB6_989
; %bb.957:
	v_cmp_lt_i16_e32 vcc, 28, v6
	s_mov_b64 s[20:21], -1
	s_mov_b64 s[0:1], s[14:15]
	s_cbranch_vccz .LBB6_973
; %bb.958:
	v_cmp_lt_i16_e32 vcc, 43, v6
	s_mov_b64 s[0:1], s[14:15]
	s_cbranch_vccz .LBB6_969
; %bb.959:
	v_cmp_lt_i16_e32 vcc, 45, v6
	s_mov_b64 s[0:1], s[14:15]
	s_cbranch_vccz .LBB6_963
; %bb.960:
	v_cmp_eq_u16_e32 vcc, 46, v6
	s_mov_b64 s[0:1], -1
	s_cbranch_vccz .LBB6_962
; %bb.961:
	v_cvt_f32_f64_e32 v2, v[0:1]
	v_bfe_u32 v3, v2, 16, 1
	s_movk_i32 s0, 0x7fff
	v_add3_u32 v3, v2, v3, s0
	v_lshrrev_b32_e32 v3, 16, v3
	v_mov_b32_e32 v7, 0x7fc0
	v_cmp_o_f32_e32 vcc, v2, v2
	v_cndmask_b32_e32 v2, v7, v3, vcc
	global_store_dword v[4:5], v2, off
	s_mov_b64 s[0:1], 0
.LBB6_962:
	s_mov_b64 s[20:21], 0
.LBB6_963:
	s_and_b64 vcc, exec, s[20:21]
	s_cbranch_vccz .LBB6_968
; %bb.964:
	v_cmp_eq_u16_e32 vcc, 44, v6
	s_mov_b64 s[0:1], -1
	s_cbranch_vccz .LBB6_968
; %bb.965:
	v_cvt_f32_f64_e32 v2, v[0:1]
	v_bfe_u32 v3, v2, 23, 8
	s_movk_i32 s0, 0xff
	v_cmp_ne_u32_e32 vcc, s0, v3
	v_mov_b32_e32 v7, 0xff
	s_and_saveexec_b64 s[20:21], vcc
; %bb.966:
	s_mov_b32 s0, 0x3fffff
	v_lshrrev_b32_e32 v7, 23, v2
	v_and_b32_e32 v8, 0x400000, v2
	v_and_or_b32 v2, v2, s0, v3
	v_cmp_ne_u32_e32 vcc, 0, v8
	v_cmp_ne_u32_e64 s[0:1], 0, v2
	s_and_b64 s[0:1], vcc, s[0:1]
	v_cndmask_b32_e64 v2, 0, 1, s[0:1]
	v_add_u32_e32 v7, v7, v2
; %bb.967:
	s_or_b64 exec, exec, s[20:21]
	s_mov_b64 s[0:1], 0
	global_store_byte v[4:5], v7, off
.LBB6_968:
	s_mov_b64 s[20:21], 0
.LBB6_969:
	s_and_b64 vcc, exec, s[20:21]
	s_cbranch_vccz .LBB6_972
; %bb.970:
	v_cmp_eq_u16_e32 vcc, 29, v6
	s_mov_b64 s[0:1], -1
	s_cbranch_vccz .LBB6_972
; %bb.971:
	v_trunc_f64_e32 v[2:3], v[0:1]
	s_movk_i32 s0, 0xffe0
	v_ldexp_f64 v[8:9], v[2:3], s0
	v_floor_f64_e32 v[8:9], v[8:9]
	v_fmac_f64_e32 v[2:3], 0xc1f00000, v[8:9]
	v_cvt_u32_f64_e32 v11, v[8:9]
	v_cvt_u32_f64_e32 v10, v[2:3]
	global_store_dwordx2 v[4:5], v[10:11], off
	s_mov_b64 s[0:1], 0
.LBB6_972:
	s_mov_b64 s[20:21], 0
.LBB6_973:
	s_and_b64 vcc, exec, s[20:21]
	s_cbranch_vccz .LBB6_988
; %bb.974:
	v_cmp_gt_i16_e32 vcc, 27, v6
	s_mov_b64 s[20:21], -1
	s_cbranch_vccnz .LBB6_980
; %bb.975:
	v_cmp_lt_i16_e32 vcc, 27, v6
	v_cvt_u32_f64_e32 v2, v[0:1]
	s_cbranch_vccz .LBB6_977
; %bb.976:
	s_mov_b64 s[20:21], 0
	global_store_dword v[4:5], v2, off
.LBB6_977:
	s_andn2_b64 vcc, exec, s[20:21]
	s_cbranch_vccnz .LBB6_979
; %bb.978:
	global_store_short v[4:5], v2, off
.LBB6_979:
	s_mov_b64 s[20:21], 0
.LBB6_980:
	s_andn2_b64 vcc, exec, s[20:21]
	s_cbranch_vccnz .LBB6_988
; %bb.981:
	v_cvt_f32_f64_e32 v2, v[0:1]
	v_and_b32_e32 v3, 0x7fffffff, v2
	s_mov_b32 s20, 0x43800000
	v_cmp_gt_u32_e32 vcc, s20, v3
	v_mov_b32_e32 v7, 0x80
	s_and_saveexec_b64 s[20:21], vcc
	s_cbranch_execz .LBB6_987
; %bb.982:
	s_mov_b32 s22, 0x3bffffff
	v_cmp_lt_u32_e32 vcc, s22, v3
	s_mov_b64 s[22:23], 0
                                        ; implicit-def: $vgpr3
	s_and_saveexec_b64 s[24:25], vcc
	s_xor_b64 s[24:25], exec, s[24:25]
	s_cbranch_execz .LBB6_1089
; %bb.983:
	v_bfe_u32 v3, v2, 20, 1
	s_mov_b32 s26, 0x487ffff
	v_add3_u32 v3, v2, v3, s26
	s_mov_b64 s[22:23], exec
	v_lshrrev_b32_e32 v3, 20, v3
	s_or_saveexec_b64 s[24:25], s[24:25]
                                        ; implicit-def: $sgpr26
	s_xor_b64 exec, exec, s[24:25]
	s_cbranch_execnz .LBB6_1090
.LBB6_984:
	s_or_b64 exec, exec, s[24:25]
	v_mov_b32_e32 v7, s26
	s_and_saveexec_b64 s[24:25], s[22:23]
.LBB6_985:
	v_lshrrev_b32_e32 v2, 24, v2
	s_movk_i32 s22, 0x80
	v_and_or_b32 v7, v2, s22, v3
.LBB6_986:
	s_or_b64 exec, exec, s[24:25]
.LBB6_987:
	s_or_b64 exec, exec, s[20:21]
	global_store_byte v[4:5], v7, off
.LBB6_988:
	s_mov_b64 s[22:23], 0
.LBB6_989:
	s_mov_b64 s[20:21], 0
	s_and_b64 vcc, exec, s[22:23]
	s_cbranch_vccz .LBB6_1033
; %bb.990:
	v_cmp_lt_i16_e32 vcc, 22, v6
	s_mov_b64 s[22:23], -1
	s_cbranch_vccz .LBB6_1022
; %bb.991:
	v_cmp_gt_i16_e32 vcc, 24, v6
	s_cbranch_vccnz .LBB6_1011
; %bb.992:
	v_cmp_lt_i16_e32 vcc, 24, v6
	s_cbranch_vccz .LBB6_1000
; %bb.993:
	v_cvt_f32_f64_e32 v2, v[0:1]
	v_and_b32_e32 v3, 0x7fffffff, v2
	s_mov_b32 s22, 0x47800000
	v_cmp_gt_u32_e32 vcc, s22, v3
	v_mov_b32_e32 v7, 0x80
	s_and_saveexec_b64 s[22:23], vcc
	s_cbranch_execz .LBB6_999
; %bb.994:
	s_mov_b32 s24, 0x37ffffff
	v_cmp_lt_u32_e32 vcc, s24, v3
	s_mov_b64 s[24:25], 0
                                        ; implicit-def: $vgpr3
	s_and_saveexec_b64 s[26:27], vcc
	s_xor_b64 s[26:27], exec, s[26:27]
	s_cbranch_execz .LBB6_1226
; %bb.995:
	v_bfe_u32 v3, v2, 21, 1
	s_mov_b32 s28, 0x88fffff
	v_add3_u32 v3, v2, v3, s28
	s_mov_b64 s[24:25], exec
	v_lshrrev_b32_e32 v3, 21, v3
	s_or_saveexec_b64 s[26:27], s[26:27]
                                        ; implicit-def: $sgpr28
	s_xor_b64 exec, exec, s[26:27]
	s_cbranch_execnz .LBB6_1227
.LBB6_996:
	s_or_b64 exec, exec, s[26:27]
	v_mov_b32_e32 v7, s28
	s_and_saveexec_b64 s[26:27], s[24:25]
.LBB6_997:
	v_lshrrev_b32_e32 v2, 24, v2
	s_movk_i32 s24, 0x80
	v_and_or_b32 v7, v2, s24, v3
.LBB6_998:
	s_or_b64 exec, exec, s[26:27]
.LBB6_999:
	s_or_b64 exec, exec, s[22:23]
	s_mov_b64 s[22:23], 0
	global_store_byte v[4:5], v7, off
.LBB6_1000:
	s_and_b64 vcc, exec, s[22:23]
	s_cbranch_vccz .LBB6_1010
; %bb.1001:
	v_cvt_f32_f64_e32 v2, v[0:1]
	v_and_b32_e32 v7, 0x7fffffff, v2
	s_mov_b32 s22, 0x43f00000
	v_cmp_gt_u32_e32 vcc, s22, v7
                                        ; implicit-def: $vgpr3
	s_and_saveexec_b64 s[22:23], vcc
	s_xor_b64 s[22:23], exec, s[22:23]
	s_cbranch_execz .LBB6_1007
; %bb.1002:
	s_mov_b32 s24, 0x3c7fffff
	v_cmp_lt_u32_e32 vcc, s24, v7
                                        ; implicit-def: $vgpr3
	s_and_saveexec_b64 s[24:25], vcc
	s_xor_b64 s[24:25], exec, s[24:25]
; %bb.1003:
	v_bfe_u32 v3, v2, 20, 1
	s_mov_b32 s26, 0x407ffff
	v_add3_u32 v3, v2, v3, s26
	v_lshrrev_b32_e32 v7, 20, v3
	v_and_b32_e32 v3, 0xff00000, v3
	s_mov_b32 s26, 0x7f00000
	v_mov_b32_e32 v8, 0x7e
	v_cmp_ne_u32_e32 vcc, s26, v3
	v_cndmask_b32_e32 v3, v8, v7, vcc
; %bb.1004:
	s_andn2_saveexec_b64 s[24:25], s[24:25]
; %bb.1005:
	s_mov_b32 s26, 0x46800000
	v_add_f32_e64 v3, |v2|, s26
; %bb.1006:
	s_or_b64 exec, exec, s[24:25]
                                        ; implicit-def: $vgpr7
.LBB6_1007:
	s_andn2_saveexec_b64 s[22:23], s[22:23]
; %bb.1008:
	s_mov_b32 s24, 0x7f800000
	v_mov_b32_e32 v3, 0x7e
	v_mov_b32_e32 v8, 0x7f
	v_cmp_lt_u32_e32 vcc, s24, v7
	v_cndmask_b32_e32 v3, v3, v8, vcc
; %bb.1009:
	s_or_b64 exec, exec, s[22:23]
	v_lshrrev_b32_e32 v2, 24, v2
	s_movk_i32 s22, 0x80
	v_and_or_b32 v2, v2, s22, v3
	global_store_byte v[4:5], v2, off
.LBB6_1010:
	s_mov_b64 s[22:23], 0
.LBB6_1011:
	s_andn2_b64 vcc, exec, s[22:23]
	s_cbranch_vccnz .LBB6_1021
; %bb.1012:
	v_cvt_f32_f64_e32 v2, v[0:1]
	v_and_b32_e32 v7, 0x7fffffff, v2
	s_mov_b32 s22, 0x47800000
	v_cmp_gt_u32_e32 vcc, s22, v7
                                        ; implicit-def: $vgpr3
	s_and_saveexec_b64 s[22:23], vcc
	s_xor_b64 s[22:23], exec, s[22:23]
	s_cbranch_execz .LBB6_1018
; %bb.1013:
	s_mov_b32 s24, 0x387fffff
	v_cmp_lt_u32_e32 vcc, s24, v7
                                        ; implicit-def: $vgpr3
	s_and_saveexec_b64 s[24:25], vcc
	s_xor_b64 s[24:25], exec, s[24:25]
; %bb.1014:
	v_bfe_u32 v3, v2, 21, 1
	s_mov_b32 s26, 0x80fffff
	v_add3_u32 v3, v2, v3, s26
	v_lshrrev_b32_e32 v3, 21, v3
; %bb.1015:
	s_andn2_saveexec_b64 s[24:25], s[24:25]
; %bb.1016:
	s_mov_b32 s26, 0x43000000
	v_add_f32_e64 v3, |v2|, s26
; %bb.1017:
	s_or_b64 exec, exec, s[24:25]
                                        ; implicit-def: $vgpr7
.LBB6_1018:
	s_andn2_saveexec_b64 s[22:23], s[22:23]
; %bb.1019:
	s_mov_b32 s24, 0x7f800000
	v_mov_b32_e32 v3, 0x7c
	v_mov_b32_e32 v8, 0x7f
	v_cmp_lt_u32_e32 vcc, s24, v7
	v_cndmask_b32_e32 v3, v3, v8, vcc
; %bb.1020:
	s_or_b64 exec, exec, s[22:23]
	v_lshrrev_b32_e32 v2, 24, v2
	s_movk_i32 s22, 0x80
	v_and_or_b32 v2, v2, s22, v3
	global_store_byte v[4:5], v2, off
.LBB6_1021:
	s_mov_b64 s[22:23], 0
.LBB6_1022:
	s_andn2_b64 vcc, exec, s[22:23]
	s_mov_b64 s[22:23], 0
	s_cbranch_vccnz .LBB6_1034
; %bb.1023:
	v_cmp_lt_i16_e32 vcc, 14, v6
	s_mov_b64 s[24:25], -1
	s_cbranch_vccz .LBB6_1027
; %bb.1024:
	v_cmp_eq_u16_e32 vcc, 15, v6
	s_mov_b64 s[0:1], -1
	s_cbranch_vccz .LBB6_1026
; %bb.1025:
	v_cvt_f32_f64_e32 v2, v[0:1]
	v_bfe_u32 v3, v2, 16, 1
	s_movk_i32 s0, 0x7fff
	v_add3_u32 v3, v2, v3, s0
	v_lshrrev_b32_e32 v3, 16, v3
	v_mov_b32_e32 v7, 0x7fc0
	v_cmp_o_f32_e32 vcc, v2, v2
	v_cndmask_b32_e32 v2, v7, v3, vcc
	global_store_short v[4:5], v2, off
	s_mov_b64 s[0:1], 0
.LBB6_1026:
	s_mov_b64 s[24:25], 0
.LBB6_1027:
	s_and_b64 vcc, exec, s[24:25]
	s_cbranch_vccz .LBB6_1034
; %bb.1028:
	v_cmp_ne_u16_e32 vcc, 11, v6
	s_andn2_b64 s[0:1], s[0:1], exec
	s_and_b64 s[24:25], vcc, exec
	s_mov_b64 s[22:23], -1
	s_or_b64 s[0:1], s[0:1], s[24:25]
	s_branch .LBB6_1034
.LBB6_1029:
	s_or_b64 exec, exec, s[16:17]
	s_and_saveexec_b64 s[0:1], s[14:15]
	s_cbranch_execnz .LBB6_1035
.LBB6_1030:
	s_or_b64 exec, exec, s[0:1]
	s_and_saveexec_b64 s[0:1], s[22:23]
	s_xor_b64 s[0:1], exec, s[0:1]
	s_cbranch_execz .LBB6_1036
.LBB6_1031:
	v_cmp_neq_f64_e32 vcc, 0, v[0:1]
	s_waitcnt vmcnt(0)
	v_cndmask_b32_e64 v2, 0, 1, vcc
	global_store_byte v[4:5], v2, off
	s_or_b64 exec, exec, s[0:1]
	s_and_saveexec_b64 s[0:1], s[20:21]
	s_xor_b64 s[0:1], exec, s[0:1]
	s_cbranch_execz .LBB6_1074
	s_branch .LBB6_1037
.LBB6_1032:
	s_mov_b64 s[22:23], 0
	s_mov_b64 s[20:21], -1
	s_mov_b64 s[0:1], s[14:15]
	s_branch .LBB6_1034
.LBB6_1033:
	s_mov_b64 s[22:23], 0
.LBB6_1034:
	s_andn2_b64 s[14:15], s[14:15], exec
	s_and_b64 s[0:1], s[0:1], exec
	s_and_b64 s[20:21], s[20:21], exec
	s_and_b64 s[22:23], s[22:23], exec
	s_or_b64 s[14:15], s[14:15], s[0:1]
	s_or_b64 exec, exec, s[16:17]
	s_and_saveexec_b64 s[0:1], s[14:15]
	s_cbranch_execz .LBB6_1030
.LBB6_1035:
	s_or_b64 s[18:19], s[18:19], exec
	s_andn2_b64 s[22:23], s[22:23], exec
	s_trap 2
	s_or_b64 exec, exec, s[0:1]
	s_and_saveexec_b64 s[0:1], s[22:23]
	s_xor_b64 s[0:1], exec, s[0:1]
	s_cbranch_execnz .LBB6_1031
.LBB6_1036:
	s_or_b64 exec, exec, s[0:1]
	s_and_saveexec_b64 s[0:1], s[20:21]
	s_xor_b64 s[0:1], exec, s[0:1]
	s_cbranch_execz .LBB6_1074
.LBB6_1037:
	v_cmp_gt_i16_e32 vcc, 5, v6
	s_mov_b64 s[14:15], -1
	s_cbranch_vccnz .LBB6_1058
; %bb.1038:
	v_cmp_gt_i16_e32 vcc, 8, v6
	s_cbranch_vccnz .LBB6_1048
; %bb.1039:
	v_cmp_gt_i16_e32 vcc, 9, v6
	s_cbranch_vccnz .LBB6_1045
; %bb.1040:
	v_cmp_lt_i16_e32 vcc, 9, v6
	s_cbranch_vccz .LBB6_1042
; %bb.1041:
	s_waitcnt vmcnt(0)
	v_mov_b32_e32 v2, 0
	v_mov_b32_e32 v3, v2
	s_mov_b64 s[14:15], 0
	global_store_dwordx4 v[4:5], v[0:3], off
.LBB6_1042:
	s_andn2_b64 vcc, exec, s[14:15]
	s_cbranch_vccnz .LBB6_1044
; %bb.1043:
	s_waitcnt vmcnt(0)
	v_cvt_f32_f64_e32 v2, v[0:1]
	v_mov_b32_e32 v3, 0
	global_store_dwordx2 v[4:5], v[2:3], off
.LBB6_1044:
	s_mov_b64 s[14:15], 0
.LBB6_1045:
	s_andn2_b64 vcc, exec, s[14:15]
	s_cbranch_vccnz .LBB6_1047
; %bb.1046:
	s_waitcnt vmcnt(0)
	v_cvt_f32_f64_e32 v2, v[0:1]
	v_cvt_f16_f32_e32 v2, v2
	global_store_dword v[4:5], v2, off
.LBB6_1047:
	s_mov_b64 s[14:15], 0
.LBB6_1048:
	s_andn2_b64 vcc, exec, s[14:15]
	s_cbranch_vccnz .LBB6_1057
; %bb.1049:
	v_cmp_gt_i16_e32 vcc, 6, v6
	s_mov_b64 s[14:15], -1
	s_cbranch_vccnz .LBB6_1055
; %bb.1050:
	v_cmp_lt_i16_e32 vcc, 6, v6
	s_cbranch_vccz .LBB6_1052
; %bb.1051:
	s_mov_b64 s[14:15], 0
	global_store_dwordx2 v[4:5], v[0:1], off
.LBB6_1052:
	s_andn2_b64 vcc, exec, s[14:15]
	s_cbranch_vccnz .LBB6_1054
; %bb.1053:
	s_waitcnt vmcnt(0)
	v_cvt_f32_f64_e32 v2, v[0:1]
	global_store_dword v[4:5], v2, off
.LBB6_1054:
	s_mov_b64 s[14:15], 0
.LBB6_1055:
	s_andn2_b64 vcc, exec, s[14:15]
	s_cbranch_vccnz .LBB6_1057
; %bb.1056:
	s_waitcnt vmcnt(0)
	v_cvt_f32_f64_e32 v2, v[0:1]
	v_cvt_f16_f32_e32 v2, v2
	global_store_short v[4:5], v2, off
.LBB6_1057:
	s_mov_b64 s[14:15], 0
.LBB6_1058:
	s_andn2_b64 vcc, exec, s[14:15]
	s_cbranch_vccnz .LBB6_1074
; %bb.1059:
	v_cmp_gt_i16_e32 vcc, 2, v6
	s_mov_b64 s[14:15], -1
	s_cbranch_vccnz .LBB6_1069
; %bb.1060:
	v_cmp_gt_i16_e32 vcc, 3, v6
	s_cbranch_vccnz .LBB6_1066
; %bb.1061:
	v_cmp_lt_i16_e32 vcc, 3, v6
	s_cbranch_vccz .LBB6_1063
; %bb.1062:
	s_waitcnt vmcnt(0)
	v_trunc_f64_e32 v[2:3], v[0:1]
	s_movk_i32 s14, 0xffe0
	v_ldexp_f64 v[8:9], v[2:3], s14
	v_floor_f64_e32 v[8:9], v[8:9]
	v_fmac_f64_e32 v[2:3], 0xc1f00000, v[8:9]
	v_cvt_i32_f64_e32 v11, v[8:9]
	v_cvt_u32_f64_e32 v10, v[2:3]
	s_mov_b64 s[14:15], 0
	global_store_dwordx2 v[4:5], v[10:11], off
.LBB6_1063:
	s_andn2_b64 vcc, exec, s[14:15]
	s_cbranch_vccnz .LBB6_1065
; %bb.1064:
	s_waitcnt vmcnt(0)
	v_cvt_i32_f64_e32 v2, v[0:1]
	global_store_dword v[4:5], v2, off
.LBB6_1065:
	s_mov_b64 s[14:15], 0
.LBB6_1066:
	s_andn2_b64 vcc, exec, s[14:15]
	s_cbranch_vccnz .LBB6_1068
; %bb.1067:
	s_waitcnt vmcnt(0)
	v_cvt_i32_f64_e32 v2, v[0:1]
	global_store_short v[4:5], v2, off
.LBB6_1068:
	s_mov_b64 s[14:15], 0
.LBB6_1069:
	s_andn2_b64 vcc, exec, s[14:15]
	s_cbranch_vccnz .LBB6_1074
; %bb.1070:
	v_cmp_lt_i16_e32 vcc, 0, v6
	s_mov_b64 s[14:15], -1
	s_cbranch_vccz .LBB6_1072
; %bb.1071:
	s_waitcnt vmcnt(0)
	v_cvt_i32_f64_e32 v2, v[0:1]
	s_mov_b64 s[14:15], 0
	global_store_byte v[4:5], v2, off
.LBB6_1072:
	s_andn2_b64 vcc, exec, s[14:15]
	s_cbranch_vccnz .LBB6_1074
; %bb.1073:
	v_trunc_f64_e32 v[0:1], v[0:1]
	s_movk_i32 s14, 0xffe0
	s_waitcnt vmcnt(0)
	v_ldexp_f64 v[2:3], v[0:1], s14
	v_floor_f64_e32 v[2:3], v[2:3]
	v_fmac_f64_e32 v[0:1], 0xc1f00000, v[2:3]
	v_cvt_u32_f64_e32 v0, v[0:1]
	global_store_byte v[4:5], v0, off
.LBB6_1074:
	s_or_b64 exec, exec, s[0:1]
	s_and_b64 s[14:15], s[18:19], exec
                                        ; implicit-def: $vgpr10
                                        ; implicit-def: $vgpr11
.LBB6_1075:
	s_or_saveexec_b64 s[6:7], s[6:7]
	s_mov_b64 s[0:1], 0
                                        ; implicit-def: $vgpr2
                                        ; implicit-def: $vgpr0_vgpr1
                                        ; implicit-def: $vgpr12_vgpr13
	s_xor_b64 exec, exec, s[6:7]
	s_cbranch_execz .LBB6_1646
; %bb.1076:
	v_mul_lo_u32 v6, s3, v10
	v_ashrrev_i32_e32 v1, 31, v6
	s_waitcnt vmcnt(0)
	v_mov_b32_e32 v2, s11
	v_add_co_u32_e32 v0, vcc, s10, v6
	v_addc_co_u32_e32 v1, vcc, v2, v1, vcc
	v_cmp_gt_i16_e64 s[0:1], 11, v11
	s_and_b64 vcc, exec, s[0:1]
	s_cbranch_vccnz .LBB6_1083
; %bb.1077:
	v_cmp_lt_i16_e32 vcc, 25, v11
	s_mov_b64 s[18:19], 0
	s_cbranch_vccz .LBB6_1085
; %bb.1078:
	v_cmp_lt_i16_e32 vcc, 28, v11
	s_cbranch_vccz .LBB6_1086
; %bb.1079:
	v_cmp_lt_i16_e32 vcc, 43, v11
	s_cbranch_vccz .LBB6_1087
; %bb.1080:
	v_cmp_lt_i16_e32 vcc, 45, v11
	s_cbranch_vccz .LBB6_1088
; %bb.1081:
	v_cmp_eq_u16_e32 vcc, 46, v11
	s_mov_b64 s[16:17], 0
	s_cbranch_vccz .LBB6_1091
; %bb.1082:
	global_load_dword v2, v[0:1], off
	s_mov_b64 s[4:5], 0
	s_mov_b64 s[20:21], -1
	s_waitcnt vmcnt(0)
	v_lshlrev_b32_e32 v2, 16, v2
	v_cvt_f64_f32_e32 v[2:3], v2
	s_branch .LBB6_1092
.LBB6_1083:
	s_mov_b64 s[20:21], 0
                                        ; implicit-def: $vgpr2_vgpr3
	s_mov_b64 s[16:17], s[14:15]
	s_cbranch_execnz .LBB6_1155
.LBB6_1084:
	s_andn2_b64 vcc, exec, s[20:21]
                                        ; implicit-def: $vgpr14_vgpr15
	s_cbranch_vccz .LBB6_1200
	s_branch .LBB6_1643
.LBB6_1085:
	s_mov_b64 s[20:21], 0
	s_mov_b64 s[4:5], 0
                                        ; implicit-def: $vgpr2_vgpr3
	s_cbranch_execnz .LBB6_1120
	s_branch .LBB6_1151
.LBB6_1086:
	s_mov_b64 s[16:17], -1
	s_mov_b64 s[20:21], 0
	s_mov_b64 s[4:5], 0
                                        ; implicit-def: $vgpr2_vgpr3
	s_branch .LBB6_1101
.LBB6_1087:
	s_mov_b64 s[20:21], 0
	s_mov_b64 s[4:5], 0
                                        ; implicit-def: $vgpr2_vgpr3
	s_cbranch_execnz .LBB6_1097
	s_branch .LBB6_1100
.LBB6_1088:
	s_mov_b64 s[16:17], -1
	s_mov_b64 s[20:21], 0
	s_mov_b64 s[4:5], 0
                                        ; implicit-def: $vgpr2_vgpr3
	s_branch .LBB6_1092
.LBB6_1089:
	s_or_saveexec_b64 s[24:25], s[24:25]
                                        ; implicit-def: $sgpr26
	s_xor_b64 exec, exec, s[24:25]
	s_cbranch_execz .LBB6_984
.LBB6_1090:
	s_mov_b32 s26, 0x46000000
	v_add_f32_e64 v3, |v2|, s26
	v_and_b32_e32 v3, 0xff, v3
	v_cmp_ne_u32_e32 vcc, 0, v3
	s_andn2_b64 s[22:23], s[22:23], exec
	s_and_b64 s[28:29], vcc, exec
	s_mov_b32 s26, 0
	s_or_b64 s[22:23], s[22:23], s[28:29]
	s_or_b64 exec, exec, s[24:25]
	v_mov_b32_e32 v7, s26
	s_and_saveexec_b64 s[24:25], s[22:23]
	s_cbranch_execnz .LBB6_985
	s_branch .LBB6_986
.LBB6_1091:
	s_mov_b64 s[4:5], -1
                                        ; implicit-def: $vgpr2_vgpr3
	s_mov_b64 s[20:21], 0
.LBB6_1092:
	s_and_b64 vcc, exec, s[16:17]
	s_cbranch_vccz .LBB6_1095
; %bb.1093:
	v_cmp_eq_u16_e32 vcc, 44, v11
	s_cbranch_vccz .LBB6_1096
; %bb.1094:
	global_load_ubyte v4, v[0:1], off
	s_movk_i32 s16, 0xff
	v_bfrev_b32_e32 v5, 4
	v_mov_b32_e32 v7, 0x7ff80000
	v_bfrev_b32_e32 v8, 28
	s_mov_b64 s[4:5], 0
	s_mov_b64 s[20:21], -1
	s_waitcnt vmcnt(0)
	v_lshlrev_b32_e32 v2, 23, v4
	v_cvt_f64_f32_e32 v[2:3], v2
	v_cmp_ne_u32_e32 vcc, s16, v4
	v_cndmask_b32_e32 v2, v5, v2, vcc
	v_cndmask_b32_e32 v3, v7, v3, vcc
	v_cmp_ne_u32_e32 vcc, 0, v4
	v_cndmask_b32_e32 v3, v8, v3, vcc
	v_cndmask_b32_e32 v2, 0, v2, vcc
.LBB6_1095:
	s_branch .LBB6_1100
.LBB6_1096:
	s_mov_b64 s[4:5], -1
                                        ; implicit-def: $vgpr2_vgpr3
	s_branch .LBB6_1100
.LBB6_1097:
	v_cmp_eq_u16_e32 vcc, 29, v11
	s_cbranch_vccz .LBB6_1099
; %bb.1098:
	global_load_dwordx2 v[2:3], v[0:1], off
	s_mov_b64 s[4:5], 0
	s_mov_b64 s[20:21], -1
	s_mov_b64 s[16:17], 0
	s_waitcnt vmcnt(0)
	v_cvt_f64_u32_e32 v[4:5], v3
	v_cvt_f64_u32_e32 v[2:3], v2
	v_ldexp_f64 v[4:5], v[4:5], 32
	v_add_f64 v[2:3], v[4:5], v[2:3]
	s_branch .LBB6_1101
.LBB6_1099:
	s_mov_b64 s[4:5], -1
                                        ; implicit-def: $vgpr2_vgpr3
.LBB6_1100:
	s_mov_b64 s[16:17], 0
.LBB6_1101:
	s_and_b64 vcc, exec, s[16:17]
	s_cbranch_vccz .LBB6_1119
; %bb.1102:
	v_cmp_gt_i16_e32 vcc, 27, v11
	s_cbranch_vccnz .LBB6_1105
; %bb.1103:
	v_cmp_lt_i16_e32 vcc, 27, v11
	s_cbranch_vccz .LBB6_1106
; %bb.1104:
	global_load_dword v2, v[0:1], off
	s_mov_b64 s[16:17], 0
	s_waitcnt vmcnt(0)
	v_cvt_f64_u32_e32 v[2:3], v2
	s_branch .LBB6_1107
.LBB6_1105:
	s_mov_b64 s[16:17], -1
                                        ; implicit-def: $vgpr2_vgpr3
	s_branch .LBB6_1110
.LBB6_1106:
	s_mov_b64 s[16:17], -1
                                        ; implicit-def: $vgpr2_vgpr3
.LBB6_1107:
	s_andn2_b64 vcc, exec, s[16:17]
	s_cbranch_vccnz .LBB6_1109
; %bb.1108:
	global_load_ushort v2, v[0:1], off
	s_waitcnt vmcnt(0)
	v_cvt_f64_u32_e32 v[2:3], v2
.LBB6_1109:
	s_mov_b64 s[16:17], 0
.LBB6_1110:
	s_andn2_b64 vcc, exec, s[16:17]
	s_cbranch_vccnz .LBB6_1118
; %bb.1111:
	global_load_ubyte v4, v[0:1], off
	s_movk_i32 s16, 0x7f
                                        ; implicit-def: $sgpr20_sgpr21
	s_waitcnt vmcnt(0)
	v_cmp_lt_i16_e32 vcc, s16, v4
	s_mov_b64 s[16:17], 0
	s_and_saveexec_b64 s[22:23], vcc
	s_xor_b64 s[22:23], exec, s[22:23]
	s_cbranch_execz .LBB6_1131
; %bb.1112:
	s_movk_i32 s16, 0x80
	v_cmp_eq_u16_e32 vcc, s16, v4
	s_mov_b64 s[24:25], -1
                                        ; implicit-def: $sgpr20_sgpr21
	s_and_saveexec_b64 s[16:17], vcc
; %bb.1113:
	s_mov_b32 s21, 0x7ff80000
	s_brev_b32 s20, 4
	s_xor_b64 s[24:25], exec, -1
; %bb.1114:
	s_or_b64 exec, exec, s[16:17]
	s_and_b64 s[16:17], s[24:25], exec
	s_or_saveexec_b64 s[22:23], s[22:23]
	v_pk_mov_b32 v[2:3], s[20:21], s[20:21] op_sel:[0,1]
	s_xor_b64 exec, exec, s[22:23]
	s_cbranch_execnz .LBB6_1132
.LBB6_1115:
	s_or_b64 exec, exec, s[22:23]
	s_and_saveexec_b64 s[20:21], s[16:17]
	s_cbranch_execz .LBB6_1117
.LBB6_1116:
	v_and_b32_e32 v3, 0xffff, v4
	v_lshlrev_b32_e32 v2, 24, v4
	v_and_b32_e32 v4, 7, v3
	v_ffbh_u32_e32 v7, v4
	v_min_u32_e32 v7, 32, v7
	v_subrev_u32_e32 v8, 28, v7
	v_bfe_u32 v5, v3, 3, 4
	v_lshlrev_b32_e32 v3, v8, v3
	v_sub_u32_e32 v7, 29, v7
	v_and_b32_e32 v3, 7, v3
	v_cmp_eq_u32_e32 vcc, 0, v5
	v_cndmask_b32_e32 v5, v5, v7, vcc
	v_cndmask_b32_e32 v3, v4, v3, vcc
	v_mov_b32_e32 v4, 0x3b800000
	v_lshlrev_b32_e32 v3, 20, v3
	v_and_b32_e32 v2, 0x80000000, v2
	v_lshl_add_u32 v4, v5, 23, v4
	v_or3_b32 v2, v2, v4, v3
	v_cvt_f64_f32_e32 v[2:3], v2
.LBB6_1117:
	s_or_b64 exec, exec, s[20:21]
.LBB6_1118:
	s_mov_b64 s[20:21], -1
.LBB6_1119:
	s_branch .LBB6_1151
.LBB6_1120:
	v_cmp_lt_i16_e32 vcc, 22, v11
	s_cbranch_vccz .LBB6_1130
; %bb.1121:
	v_cmp_gt_i16_e32 vcc, 24, v11
	s_cbranch_vccnz .LBB6_1133
; %bb.1122:
	v_cmp_lt_i16_e32 vcc, 24, v11
	s_cbranch_vccz .LBB6_1134
; %bb.1123:
	global_load_ubyte v4, v[0:1], off
	s_movk_i32 s16, 0x7f
                                        ; implicit-def: $sgpr18_sgpr19
	s_waitcnt vmcnt(0)
	v_cmp_lt_i16_e32 vcc, s16, v4
	s_mov_b64 s[16:17], 0
	s_and_saveexec_b64 s[20:21], vcc
	s_xor_b64 s[20:21], exec, s[20:21]
	s_cbranch_execz .LBB6_1145
; %bb.1124:
	s_movk_i32 s16, 0x80
	v_cmp_eq_u16_e32 vcc, s16, v4
	s_mov_b64 s[22:23], -1
                                        ; implicit-def: $sgpr18_sgpr19
	s_and_saveexec_b64 s[16:17], vcc
; %bb.1125:
	s_mov_b32 s19, 0x7ff80000
	s_brev_b32 s18, 4
	s_xor_b64 s[22:23], exec, -1
; %bb.1126:
	s_or_b64 exec, exec, s[16:17]
	s_and_b64 s[16:17], s[22:23], exec
	s_or_saveexec_b64 s[20:21], s[20:21]
	v_pk_mov_b32 v[2:3], s[18:19], s[18:19] op_sel:[0,1]
	s_xor_b64 exec, exec, s[20:21]
	s_cbranch_execnz .LBB6_1146
.LBB6_1127:
	s_or_b64 exec, exec, s[20:21]
	s_and_saveexec_b64 s[18:19], s[16:17]
	s_cbranch_execz .LBB6_1129
.LBB6_1128:
	v_and_b32_e32 v3, 0xffff, v4
	v_lshlrev_b32_e32 v2, 24, v4
	v_and_b32_e32 v4, 3, v3
	v_ffbh_u32_e32 v7, v4
	v_min_u32_e32 v7, 32, v7
	v_subrev_u32_e32 v8, 29, v7
	v_bfe_u32 v5, v3, 2, 5
	v_lshlrev_b32_e32 v3, v8, v3
	v_sub_u32_e32 v7, 30, v7
	v_and_b32_e32 v3, 3, v3
	v_cmp_eq_u32_e32 vcc, 0, v5
	v_cndmask_b32_e32 v5, v5, v7, vcc
	v_cndmask_b32_e32 v3, v4, v3, vcc
	v_mov_b32_e32 v4, 0x37800000
	v_lshlrev_b32_e32 v3, 21, v3
	v_and_b32_e32 v2, 0x80000000, v2
	v_lshl_add_u32 v4, v5, 23, v4
	v_or3_b32 v2, v2, v4, v3
	v_cvt_f64_f32_e32 v[2:3], v2
.LBB6_1129:
	s_or_b64 exec, exec, s[18:19]
	s_mov_b64 s[16:17], 0
	s_branch .LBB6_1135
.LBB6_1130:
                                        ; implicit-def: $vgpr2_vgpr3
	s_mov_b64 s[18:19], 0
	s_branch .LBB6_1141
.LBB6_1131:
	s_or_saveexec_b64 s[22:23], s[22:23]
	v_pk_mov_b32 v[2:3], s[20:21], s[20:21] op_sel:[0,1]
	s_xor_b64 exec, exec, s[22:23]
	s_cbranch_execz .LBB6_1115
.LBB6_1132:
	v_cmp_ne_u16_e32 vcc, 0, v4
	s_andn2_b64 s[16:17], s[16:17], exec
	s_and_b64 s[20:21], vcc, exec
	v_pk_mov_b32 v[2:3], 0, 0
	s_or_b64 s[16:17], s[16:17], s[20:21]
	s_or_b64 exec, exec, s[22:23]
	s_and_saveexec_b64 s[20:21], s[16:17]
	s_cbranch_execnz .LBB6_1116
	s_branch .LBB6_1117
.LBB6_1133:
	s_mov_b64 s[16:17], -1
                                        ; implicit-def: $vgpr2_vgpr3
	s_branch .LBB6_1138
.LBB6_1134:
	s_mov_b64 s[16:17], -1
                                        ; implicit-def: $vgpr2_vgpr3
.LBB6_1135:
	s_and_b64 vcc, exec, s[16:17]
	s_cbranch_vccz .LBB6_1137
; %bb.1136:
	global_load_ubyte v2, v[0:1], off
	s_mov_b32 s16, 0x7f800000
	s_waitcnt vmcnt(0)
	v_lshlrev_b32_e32 v2, 24, v2
	v_and_b32_e32 v3, 0x7f000000, v2
	v_ffbh_u32_e32 v4, v3
	v_min_u32_e32 v4, 32, v4
	v_sub_u32_e64 v4, v4, 4 clamp
	v_lshlrev_b32_e32 v7, v4, v3
	v_lshlrev_b32_e32 v4, 23, v4
	v_lshrrev_b32_e32 v7, 4, v7
	v_add_u32_e32 v5, 0x1000000, v3
	v_sub_u32_e32 v4, v7, v4
	v_ashrrev_i32_e32 v5, 8, v5
	v_add_u32_e32 v4, 0x3c000000, v4
	v_and_or_b32 v4, v5, s16, v4
	v_cmp_ne_u32_e32 vcc, 0, v3
	v_cndmask_b32_e32 v3, 0, v4, vcc
	s_brev_b32 s16, 1
	v_and_or_b32 v2, v2, s16, v3
	v_cvt_f64_f32_e32 v[2:3], v2
.LBB6_1137:
	s_mov_b64 s[16:17], 0
.LBB6_1138:
	s_andn2_b64 vcc, exec, s[16:17]
	s_cbranch_vccnz .LBB6_1140
; %bb.1139:
	global_load_ubyte v2, v[0:1], off
	s_movk_i32 s16, 0x7f00
	s_brev_b32 s17, 16
	s_waitcnt vmcnt(0)
	v_lshlrev_b16_e32 v3, 8, v2
	v_lshlrev_b32_e32 v2, 25, v2
	v_lshrrev_b32_e32 v4, 4, v2
	v_and_or_b32 v5, v3, s16, 0.5
	v_or_b32_e32 v4, 0x70000000, v4
	v_add_f32_e32 v5, -0.5, v5
	v_mul_f32_e32 v4, 0x7800000, v4
	v_cmp_gt_u32_e32 vcc, s17, v2
	v_bfe_i32 v3, v3, 0, 16
	v_cndmask_b32_e32 v2, v4, v5, vcc
	s_brev_b32 s16, 1
	v_and_or_b32 v2, v3, s16, v2
	v_cvt_f64_f32_e32 v[2:3], v2
.LBB6_1140:
	s_mov_b64 s[20:21], -1
	s_mov_b64 s[18:19], 0
	s_cbranch_execnz .LBB6_1151
.LBB6_1141:
	v_cmp_lt_i16_e32 vcc, 14, v11
	s_cbranch_vccz .LBB6_1144
; %bb.1142:
	v_cmp_eq_u16_e32 vcc, 15, v11
	s_cbranch_vccz .LBB6_1147
; %bb.1143:
	global_load_ushort v2, v[0:1], off
	s_mov_b64 s[4:5], 0
	s_mov_b64 s[20:21], -1
	s_waitcnt vmcnt(0)
	v_lshlrev_b32_e32 v2, 16, v2
	v_cvt_f64_f32_e32 v[2:3], v2
	s_branch .LBB6_1148
.LBB6_1144:
	s_mov_b64 s[16:17], -1
                                        ; implicit-def: $vgpr2_vgpr3
	s_branch .LBB6_1149
.LBB6_1145:
	s_or_saveexec_b64 s[20:21], s[20:21]
	v_pk_mov_b32 v[2:3], s[18:19], s[18:19] op_sel:[0,1]
	s_xor_b64 exec, exec, s[20:21]
	s_cbranch_execz .LBB6_1127
.LBB6_1146:
	v_cmp_ne_u16_e32 vcc, 0, v4
	s_andn2_b64 s[16:17], s[16:17], exec
	s_and_b64 s[18:19], vcc, exec
	v_pk_mov_b32 v[2:3], 0, 0
	s_or_b64 s[16:17], s[16:17], s[18:19]
	s_or_b64 exec, exec, s[20:21]
	s_and_saveexec_b64 s[18:19], s[16:17]
	s_cbranch_execnz .LBB6_1128
	s_branch .LBB6_1129
.LBB6_1147:
	s_mov_b64 s[4:5], -1
                                        ; implicit-def: $vgpr2_vgpr3
.LBB6_1148:
	s_mov_b64 s[16:17], 0
.LBB6_1149:
	s_and_b64 vcc, exec, s[16:17]
	s_cbranch_vccz .LBB6_1151
; %bb.1150:
	v_cmp_ne_u16_e64 s[4:5], 11, v11
	s_mov_b64 s[18:19], -1
                                        ; implicit-def: $vgpr2_vgpr3
.LBB6_1151:
	s_and_b64 vcc, exec, s[4:5]
	s_mov_b64 s[16:17], s[14:15]
	s_cbranch_vccnz .LBB6_1224
; %bb.1152:
	s_andn2_b64 vcc, exec, s[18:19]
	s_cbranch_vccnz .LBB6_1154
.LBB6_1153:
	global_load_ubyte v3, v[0:1], off
	v_mov_b32_e32 v4, 0x3ff00000
	v_mov_b32_e32 v2, 0
	s_mov_b64 s[20:21], -1
	s_waitcnt vmcnt(0)
	v_cmp_ne_u16_e32 vcc, 0, v3
	v_cndmask_b32_e32 v3, 0, v4, vcc
.LBB6_1154:
	s_branch .LBB6_1084
.LBB6_1155:
	v_cmp_gt_i16_e32 vcc, 5, v11
	s_cbranch_vccnz .LBB6_1160
; %bb.1156:
	v_cmp_gt_i16_e32 vcc, 8, v11
	s_cbranch_vccnz .LBB6_1161
; %bb.1157:
	;; [unrolled: 3-line block ×3, first 2 shown]
	v_cmp_lt_i16_e32 vcc, 9, v11
	s_cbranch_vccz .LBB6_1163
; %bb.1159:
	global_load_dwordx2 v[2:3], v[0:1], off
	s_mov_b64 s[4:5], 0
	s_branch .LBB6_1164
.LBB6_1160:
                                        ; implicit-def: $vgpr2_vgpr3
	s_branch .LBB6_1181
.LBB6_1161:
                                        ; implicit-def: $vgpr2_vgpr3
	s_branch .LBB6_1170
.LBB6_1162:
	s_mov_b64 s[4:5], -1
                                        ; implicit-def: $vgpr2_vgpr3
	s_branch .LBB6_1167
.LBB6_1163:
	s_mov_b64 s[4:5], -1
                                        ; implicit-def: $vgpr2_vgpr3
.LBB6_1164:
	s_andn2_b64 vcc, exec, s[4:5]
	s_cbranch_vccnz .LBB6_1166
; %bb.1165:
	global_load_dword v2, v[0:1], off
	s_waitcnt vmcnt(0)
	v_cvt_f64_f32_e32 v[2:3], v2
.LBB6_1166:
	s_mov_b64 s[4:5], 0
.LBB6_1167:
	s_andn2_b64 vcc, exec, s[4:5]
	s_cbranch_vccnz .LBB6_1169
; %bb.1168:
	global_load_dword v2, v[0:1], off
	s_waitcnt vmcnt(0)
	v_cvt_f32_f16_e32 v2, v2
	v_cvt_f64_f32_e32 v[2:3], v2
.LBB6_1169:
	s_cbranch_execnz .LBB6_1180
.LBB6_1170:
	v_cmp_gt_i16_e32 vcc, 6, v11
	s_cbranch_vccnz .LBB6_1173
; %bb.1171:
	v_cmp_lt_i16_e32 vcc, 6, v11
	s_cbranch_vccz .LBB6_1174
; %bb.1172:
	global_load_dwordx2 v[2:3], v[0:1], off
	s_mov_b64 s[4:5], 0
	s_branch .LBB6_1175
.LBB6_1173:
	s_mov_b64 s[4:5], -1
                                        ; implicit-def: $vgpr2_vgpr3
	s_branch .LBB6_1178
.LBB6_1174:
	s_mov_b64 s[4:5], -1
                                        ; implicit-def: $vgpr2_vgpr3
.LBB6_1175:
	s_andn2_b64 vcc, exec, s[4:5]
	s_cbranch_vccnz .LBB6_1177
; %bb.1176:
	global_load_dword v2, v[0:1], off
	s_waitcnt vmcnt(0)
	v_cvt_f64_f32_e32 v[2:3], v2
.LBB6_1177:
	s_mov_b64 s[4:5], 0
.LBB6_1178:
	s_andn2_b64 vcc, exec, s[4:5]
	s_cbranch_vccnz .LBB6_1180
; %bb.1179:
	global_load_ushort v2, v[0:1], off
	s_waitcnt vmcnt(0)
	v_cvt_f32_f16_e32 v2, v2
	v_cvt_f64_f32_e32 v[2:3], v2
.LBB6_1180:
	s_cbranch_execnz .LBB6_1199
.LBB6_1181:
	v_cmp_gt_i16_e32 vcc, 2, v11
	s_cbranch_vccnz .LBB6_1185
; %bb.1182:
	v_cmp_gt_i16_e32 vcc, 3, v11
	s_cbranch_vccnz .LBB6_1186
; %bb.1183:
	v_cmp_lt_i16_e32 vcc, 3, v11
	s_cbranch_vccz .LBB6_1187
; %bb.1184:
	global_load_dwordx2 v[2:3], v[0:1], off
	s_mov_b64 s[4:5], 0
	s_waitcnt vmcnt(0)
	v_cvt_f64_i32_e32 v[4:5], v3
	v_cvt_f64_u32_e32 v[2:3], v2
	v_ldexp_f64 v[4:5], v[4:5], 32
	v_add_f64 v[2:3], v[4:5], v[2:3]
	s_branch .LBB6_1188
.LBB6_1185:
                                        ; implicit-def: $vgpr2_vgpr3
	s_branch .LBB6_1194
.LBB6_1186:
	s_mov_b64 s[4:5], -1
                                        ; implicit-def: $vgpr2_vgpr3
	s_branch .LBB6_1191
.LBB6_1187:
	s_mov_b64 s[4:5], -1
                                        ; implicit-def: $vgpr2_vgpr3
.LBB6_1188:
	s_andn2_b64 vcc, exec, s[4:5]
	s_cbranch_vccnz .LBB6_1190
; %bb.1189:
	global_load_dword v2, v[0:1], off
	s_waitcnt vmcnt(0)
	v_cvt_f64_i32_e32 v[2:3], v2
.LBB6_1190:
	s_mov_b64 s[4:5], 0
.LBB6_1191:
	s_andn2_b64 vcc, exec, s[4:5]
	s_cbranch_vccnz .LBB6_1193
; %bb.1192:
	global_load_sshort v2, v[0:1], off
	s_waitcnt vmcnt(0)
	v_cvt_f64_i32_e32 v[2:3], v2
.LBB6_1193:
	s_cbranch_execnz .LBB6_1199
.LBB6_1194:
	v_cmp_lt_i16_e32 vcc, 0, v11
	s_cbranch_vccz .LBB6_1196
; %bb.1195:
	global_load_sbyte v2, v[0:1], off
	s_mov_b64 s[4:5], 0
	s_waitcnt vmcnt(0)
	v_cvt_f64_i32_e32 v[2:3], v2
	s_branch .LBB6_1197
.LBB6_1196:
	s_mov_b64 s[4:5], -1
                                        ; implicit-def: $vgpr2_vgpr3
.LBB6_1197:
	s_andn2_b64 vcc, exec, s[4:5]
	s_cbranch_vccnz .LBB6_1199
; %bb.1198:
	global_load_ubyte v0, v[0:1], off
	s_waitcnt vmcnt(0)
	v_cvt_f64_u32_e32 v[2:3], v0
.LBB6_1199:
                                        ; implicit-def: $vgpr14_vgpr15
.LBB6_1200:
	s_waitcnt vmcnt(0)
	v_trunc_f64_e32 v[0:1], v[2:3]
	s_movk_i32 s4, 0xffe0
	v_ldexp_f64 v[2:3], v[0:1], s4
	v_floor_f64_e32 v[4:5], v[2:3]
	v_fmac_f64_e32 v[0:1], 0xc1f00000, v[4:5]
	v_cvt_i32_f64_e32 v3, v[4:5]
	v_cvt_u32_f64_e32 v2, v[0:1]
	v_cmp_lt_i64_e32 vcc, -1, v[2:3]
	v_pk_mov_b32 v[0:1], 0, 0
	s_and_saveexec_b64 s[4:5], vcc
	s_cbranch_execz .LBB6_1212
; %bb.1201:
	v_mov_b32_e32 v0, 0
	v_cmp_lt_i64_e32 vcc, 0, v[2:3]
	v_mov_b32_e32 v1, 0x3ff00000
	s_and_saveexec_b64 s[18:19], vcc
	s_cbranch_execz .LBB6_1211
; %bb.1202:
	v_cmp_ne_u64_e32 vcc, 1, v[2:3]
                                        ; implicit-def: $vgpr0_vgpr1
	s_and_saveexec_b64 s[20:21], vcc
	s_xor_b64 s[20:21], exec, s[20:21]
	s_cbranch_execz .LBB6_1208
; %bb.1203:
	s_mov_b64 s[22:23], 0x201
	v_mov_b32_e32 v0, 0
	v_cmp_gt_u64_e32 vcc, s[22:23], v[2:3]
	v_mov_b32_e32 v1, 0x7ff80000
	s_and_saveexec_b64 s[22:23], vcc
	s_cbranch_execz .LBB6_1207
; %bb.1204:
	v_mov_b32_e32 v4, 0
	s_mov_b64 s[26:27], 1
	s_mov_b64 s[24:25], 0
	v_pk_mov_b32 v[0:1], s[12:13], s[12:13] op_sel:[0,1]
	v_mov_b32_e32 v5, 0x3ff00000
.LBB6_1205:                             ; =>This Inner Loop Header: Depth=1
	v_cvt_f64_u32_e32 v[8:9], s27
	v_cvt_f64_u32_e32 v[12:13], s26
	s_add_u32 s26, s26, 1
	v_ldexp_f64 v[8:9], v[8:9], 32
	s_addc_u32 s27, s27, 0
	v_add_f64 v[8:9], v[8:9], v[12:13]
	v_cmp_eq_u64_e32 vcc, s[26:27], v[2:3]
	v_mul_f64 v[8:9], v[4:5], v[8:9]
	s_or_b64 s[24:25], vcc, s[24:25]
	v_pk_mov_b32 v[4:5], v[0:1], v[0:1] op_sel:[0,1]
	v_fma_f64 v[0:1], s[12:13], v[0:1], -v[8:9]
	s_andn2_b64 exec, exec, s[24:25]
	s_cbranch_execnz .LBB6_1205
; %bb.1206:
	s_or_b64 exec, exec, s[24:25]
.LBB6_1207:
	s_or_b64 exec, exec, s[22:23]
.LBB6_1208:
	s_andn2_saveexec_b64 s[20:21], s[20:21]
; %bb.1209:
	v_pk_mov_b32 v[0:1], s[12:13], s[12:13] op_sel:[0,1]
; %bb.1210:
	s_or_b64 exec, exec, s[20:21]
.LBB6_1211:
	s_or_b64 exec, exec, s[18:19]
.LBB6_1212:
	s_or_b64 exec, exec, s[4:5]
	s_lshl_b32 s3, s3, 7
	v_add_u32_e32 v8, s3, v6
	v_ashrrev_i32_e32 v3, 31, v8
	v_mov_b32_e32 v4, s11
	v_add_co_u32_e32 v2, vcc, s10, v8
	v_addc_co_u32_e32 v3, vcc, v4, v3, vcc
	s_and_b64 vcc, exec, s[0:1]
	s_cbranch_vccnz .LBB6_1219
; %bb.1213:
	v_cmp_lt_i16_e32 vcc, 25, v11
	s_mov_b64 s[18:19], 0
	s_cbranch_vccz .LBB6_1221
; %bb.1214:
	v_cmp_lt_i16_e32 vcc, 28, v11
	s_cbranch_vccz .LBB6_1222
; %bb.1215:
	v_cmp_lt_i16_e32 vcc, 43, v11
	;; [unrolled: 3-line block ×3, first 2 shown]
	s_cbranch_vccz .LBB6_1225
; %bb.1217:
	v_cmp_eq_u16_e32 vcc, 46, v11
	s_mov_b64 s[22:23], 0
	s_cbranch_vccz .LBB6_1228
; %bb.1218:
	global_load_dword v4, v[2:3], off
	s_mov_b64 s[4:5], 0
	s_mov_b64 s[20:21], -1
	s_waitcnt vmcnt(0)
	v_lshlrev_b32_e32 v4, 16, v4
	v_cvt_f64_f32_e32 v[4:5], v4
	s_branch .LBB6_1229
.LBB6_1219:
	s_mov_b64 s[20:21], 0
                                        ; implicit-def: $vgpr4_vgpr5
	s_cbranch_execnz .LBB6_1294
.LBB6_1220:
	s_andn2_b64 vcc, exec, s[20:21]
	s_cbranch_vccnz .LBB6_1643
	s_branch .LBB6_1341
.LBB6_1221:
	s_mov_b64 s[20:21], 0
	s_mov_b64 s[4:5], 0
                                        ; implicit-def: $vgpr4_vgpr5
	s_cbranch_execnz .LBB6_1258
	s_branch .LBB6_1290
.LBB6_1222:
	s_mov_b64 s[22:23], -1
	s_mov_b64 s[20:21], 0
	s_mov_b64 s[4:5], 0
                                        ; implicit-def: $vgpr4_vgpr5
	s_branch .LBB6_1239
.LBB6_1223:
	s_mov_b64 s[22:23], -1
	s_mov_b64 s[20:21], 0
	s_mov_b64 s[4:5], 0
                                        ; implicit-def: $vgpr4_vgpr5
	s_branch .LBB6_1234
.LBB6_1224:
	s_or_b64 s[16:17], s[14:15], exec
	s_trap 2
                                        ; implicit-def: $vgpr2_vgpr3
	s_cbranch_execz .LBB6_1153
	s_branch .LBB6_1154
.LBB6_1225:
	s_mov_b64 s[22:23], -1
	s_mov_b64 s[20:21], 0
	s_mov_b64 s[4:5], 0
                                        ; implicit-def: $vgpr4_vgpr5
	s_branch .LBB6_1229
.LBB6_1226:
	s_or_saveexec_b64 s[26:27], s[26:27]
                                        ; implicit-def: $sgpr28
	s_xor_b64 exec, exec, s[26:27]
	s_cbranch_execz .LBB6_996
.LBB6_1227:
	s_mov_b32 s28, 0x42800000
	v_add_f32_e64 v3, |v2|, s28
	v_and_b32_e32 v3, 0xff, v3
	v_cmp_ne_u32_e32 vcc, 0, v3
	s_andn2_b64 s[24:25], s[24:25], exec
	s_and_b64 s[30:31], vcc, exec
	s_mov_b32 s28, 0
	s_or_b64 s[24:25], s[24:25], s[30:31]
	s_or_b64 exec, exec, s[26:27]
	v_mov_b32_e32 v7, s28
	s_and_saveexec_b64 s[26:27], s[24:25]
	s_cbranch_execnz .LBB6_997
	s_branch .LBB6_998
.LBB6_1228:
	s_mov_b64 s[4:5], -1
                                        ; implicit-def: $vgpr4_vgpr5
	s_mov_b64 s[20:21], 0
.LBB6_1229:
	s_and_b64 vcc, exec, s[22:23]
	s_cbranch_vccz .LBB6_1233
; %bb.1230:
	v_cmp_eq_u16_e32 vcc, 44, v11
	s_cbranch_vccz .LBB6_1232
; %bb.1231:
	global_load_ubyte v6, v[2:3], off
	s_movk_i32 s20, 0xff
	v_bfrev_b32_e32 v7, 4
	v_mov_b32_e32 v9, 0x7ff80000
	v_bfrev_b32_e32 v12, 28
	s_mov_b64 s[4:5], 0
	s_waitcnt vmcnt(0)
	v_lshlrev_b32_e32 v4, 23, v6
	v_cvt_f64_f32_e32 v[4:5], v4
	v_cmp_ne_u32_e32 vcc, s20, v6
	v_cndmask_b32_e32 v4, v7, v4, vcc
	v_cndmask_b32_e32 v5, v9, v5, vcc
	v_cmp_ne_u32_e32 vcc, 0, v6
	v_cndmask_b32_e32 v5, v12, v5, vcc
	v_cndmask_b32_e32 v4, 0, v4, vcc
	s_mov_b64 s[20:21], -1
	s_branch .LBB6_1233
.LBB6_1232:
	s_mov_b64 s[4:5], -1
                                        ; implicit-def: $vgpr4_vgpr5
.LBB6_1233:
	s_mov_b64 s[22:23], 0
.LBB6_1234:
	s_and_b64 vcc, exec, s[22:23]
	s_cbranch_vccz .LBB6_1238
; %bb.1235:
	v_cmp_eq_u16_e32 vcc, 29, v11
	s_cbranch_vccz .LBB6_1237
; %bb.1236:
	global_load_dwordx2 v[4:5], v[2:3], off
	s_mov_b64 s[4:5], 0
	s_mov_b64 s[20:21], -1
	s_mov_b64 s[22:23], 0
	s_waitcnt vmcnt(0)
	v_cvt_f64_u32_e32 v[6:7], v5
	v_cvt_f64_u32_e32 v[4:5], v4
	v_ldexp_f64 v[6:7], v[6:7], 32
	v_add_f64 v[4:5], v[6:7], v[4:5]
	s_branch .LBB6_1239
.LBB6_1237:
	s_mov_b64 s[4:5], -1
                                        ; implicit-def: $vgpr4_vgpr5
.LBB6_1238:
	s_mov_b64 s[22:23], 0
.LBB6_1239:
	s_and_b64 vcc, exec, s[22:23]
	s_cbranch_vccz .LBB6_1257
; %bb.1240:
	v_cmp_gt_i16_e32 vcc, 27, v11
	s_cbranch_vccnz .LBB6_1243
; %bb.1241:
	v_cmp_lt_i16_e32 vcc, 27, v11
	s_cbranch_vccz .LBB6_1244
; %bb.1242:
	global_load_dword v4, v[2:3], off
	s_mov_b64 s[20:21], 0
	s_waitcnt vmcnt(0)
	v_cvt_f64_u32_e32 v[4:5], v4
	s_branch .LBB6_1245
.LBB6_1243:
	s_mov_b64 s[20:21], -1
                                        ; implicit-def: $vgpr4_vgpr5
	s_branch .LBB6_1248
.LBB6_1244:
	s_mov_b64 s[20:21], -1
                                        ; implicit-def: $vgpr4_vgpr5
.LBB6_1245:
	s_andn2_b64 vcc, exec, s[20:21]
	s_cbranch_vccnz .LBB6_1247
; %bb.1246:
	global_load_ushort v4, v[2:3], off
	s_waitcnt vmcnt(0)
	v_cvt_f64_u32_e32 v[4:5], v4
.LBB6_1247:
	s_mov_b64 s[20:21], 0
.LBB6_1248:
	s_andn2_b64 vcc, exec, s[20:21]
	s_cbranch_vccnz .LBB6_1256
; %bb.1249:
	global_load_ubyte v6, v[2:3], off
	s_movk_i32 s20, 0x7f
                                        ; implicit-def: $sgpr22_sgpr23
	s_waitcnt vmcnt(0)
	v_cmp_lt_i16_e32 vcc, s20, v6
	s_mov_b64 s[20:21], 0
	s_and_saveexec_b64 s[24:25], vcc
	s_xor_b64 s[24:25], exec, s[24:25]
	s_cbranch_execz .LBB6_1269
; %bb.1250:
	s_movk_i32 s20, 0x80
	v_cmp_eq_u16_e32 vcc, s20, v6
	s_mov_b64 s[26:27], -1
                                        ; implicit-def: $sgpr22_sgpr23
	s_and_saveexec_b64 s[20:21], vcc
; %bb.1251:
	s_mov_b32 s23, 0x7ff80000
	s_brev_b32 s22, 4
	s_xor_b64 s[26:27], exec, -1
; %bb.1252:
	s_or_b64 exec, exec, s[20:21]
	s_and_b64 s[20:21], s[26:27], exec
	s_or_saveexec_b64 s[24:25], s[24:25]
	v_pk_mov_b32 v[4:5], s[22:23], s[22:23] op_sel:[0,1]
	s_xor_b64 exec, exec, s[24:25]
	s_cbranch_execnz .LBB6_1270
.LBB6_1253:
	s_or_b64 exec, exec, s[24:25]
	s_and_saveexec_b64 s[22:23], s[20:21]
	s_cbranch_execz .LBB6_1255
.LBB6_1254:
	v_and_b32_e32 v5, 0xffff, v6
	v_lshlrev_b32_e32 v4, 24, v6
	v_and_b32_e32 v6, 7, v5
	v_ffbh_u32_e32 v9, v6
	v_min_u32_e32 v9, 32, v9
	v_subrev_u32_e32 v12, 28, v9
	v_bfe_u32 v7, v5, 3, 4
	v_lshlrev_b32_e32 v5, v12, v5
	v_sub_u32_e32 v9, 29, v9
	v_and_b32_e32 v5, 7, v5
	v_cmp_eq_u32_e32 vcc, 0, v7
	v_cndmask_b32_e32 v7, v7, v9, vcc
	v_cndmask_b32_e32 v5, v6, v5, vcc
	v_mov_b32_e32 v6, 0x3b800000
	v_lshlrev_b32_e32 v5, 20, v5
	v_and_b32_e32 v4, 0x80000000, v4
	v_lshl_add_u32 v6, v7, 23, v6
	v_or3_b32 v4, v4, v6, v5
	v_cvt_f64_f32_e32 v[4:5], v4
.LBB6_1255:
	s_or_b64 exec, exec, s[22:23]
.LBB6_1256:
	s_mov_b64 s[20:21], -1
.LBB6_1257:
	s_branch .LBB6_1290
.LBB6_1258:
	v_cmp_lt_i16_e32 vcc, 22, v11
	s_cbranch_vccz .LBB6_1268
; %bb.1259:
	v_cmp_gt_i16_e32 vcc, 24, v11
	s_cbranch_vccnz .LBB6_1271
; %bb.1260:
	v_cmp_lt_i16_e32 vcc, 24, v11
	s_cbranch_vccz .LBB6_1272
; %bb.1261:
	global_load_ubyte v6, v[2:3], off
	s_movk_i32 s18, 0x7f
                                        ; implicit-def: $sgpr20_sgpr21
	s_waitcnt vmcnt(0)
	v_cmp_lt_i16_e32 vcc, s18, v6
	s_mov_b64 s[18:19], 0
	s_and_saveexec_b64 s[22:23], vcc
	s_xor_b64 s[22:23], exec, s[22:23]
	s_cbranch_execz .LBB6_1284
; %bb.1262:
	s_movk_i32 s18, 0x80
	v_cmp_eq_u16_e32 vcc, s18, v6
	s_mov_b64 s[24:25], -1
                                        ; implicit-def: $sgpr20_sgpr21
	s_and_saveexec_b64 s[18:19], vcc
; %bb.1263:
	s_mov_b32 s21, 0x7ff80000
	s_brev_b32 s20, 4
	s_xor_b64 s[24:25], exec, -1
; %bb.1264:
	s_or_b64 exec, exec, s[18:19]
	s_and_b64 s[18:19], s[24:25], exec
	s_or_saveexec_b64 s[22:23], s[22:23]
	v_pk_mov_b32 v[4:5], s[20:21], s[20:21] op_sel:[0,1]
	s_xor_b64 exec, exec, s[22:23]
	s_cbranch_execnz .LBB6_1285
.LBB6_1265:
	s_or_b64 exec, exec, s[22:23]
	s_and_saveexec_b64 s[20:21], s[18:19]
	s_cbranch_execz .LBB6_1267
.LBB6_1266:
	v_and_b32_e32 v5, 0xffff, v6
	v_lshlrev_b32_e32 v4, 24, v6
	v_and_b32_e32 v6, 3, v5
	v_ffbh_u32_e32 v9, v6
	v_min_u32_e32 v9, 32, v9
	v_subrev_u32_e32 v12, 29, v9
	v_bfe_u32 v7, v5, 2, 5
	v_lshlrev_b32_e32 v5, v12, v5
	v_sub_u32_e32 v9, 30, v9
	v_and_b32_e32 v5, 3, v5
	v_cmp_eq_u32_e32 vcc, 0, v7
	v_cndmask_b32_e32 v7, v7, v9, vcc
	v_cndmask_b32_e32 v5, v6, v5, vcc
	v_mov_b32_e32 v6, 0x37800000
	v_lshlrev_b32_e32 v5, 21, v5
	v_and_b32_e32 v4, 0x80000000, v4
	v_lshl_add_u32 v6, v7, 23, v6
	v_or3_b32 v4, v4, v6, v5
	v_cvt_f64_f32_e32 v[4:5], v4
.LBB6_1267:
	s_or_b64 exec, exec, s[20:21]
	s_mov_b64 s[18:19], 0
	s_branch .LBB6_1273
.LBB6_1268:
	s_mov_b64 s[18:19], -1
                                        ; implicit-def: $vgpr4_vgpr5
	s_branch .LBB6_1279
.LBB6_1269:
	s_or_saveexec_b64 s[24:25], s[24:25]
	v_pk_mov_b32 v[4:5], s[22:23], s[22:23] op_sel:[0,1]
	s_xor_b64 exec, exec, s[24:25]
	s_cbranch_execz .LBB6_1253
.LBB6_1270:
	v_cmp_ne_u16_e32 vcc, 0, v6
	s_andn2_b64 s[20:21], s[20:21], exec
	s_and_b64 s[22:23], vcc, exec
	v_pk_mov_b32 v[4:5], 0, 0
	s_or_b64 s[20:21], s[20:21], s[22:23]
	s_or_b64 exec, exec, s[24:25]
	s_and_saveexec_b64 s[22:23], s[20:21]
	s_cbranch_execnz .LBB6_1254
	s_branch .LBB6_1255
.LBB6_1271:
	s_mov_b64 s[18:19], -1
                                        ; implicit-def: $vgpr4_vgpr5
	s_branch .LBB6_1276
.LBB6_1272:
	s_mov_b64 s[18:19], -1
                                        ; implicit-def: $vgpr4_vgpr5
.LBB6_1273:
	s_and_b64 vcc, exec, s[18:19]
	s_cbranch_vccz .LBB6_1275
; %bb.1274:
	global_load_ubyte v4, v[2:3], off
	s_mov_b32 s18, 0x7f800000
	s_waitcnt vmcnt(0)
	v_lshlrev_b32_e32 v4, 24, v4
	v_and_b32_e32 v5, 0x7f000000, v4
	v_ffbh_u32_e32 v6, v5
	v_min_u32_e32 v6, 32, v6
	v_sub_u32_e64 v6, v6, 4 clamp
	v_lshlrev_b32_e32 v9, v6, v5
	v_lshlrev_b32_e32 v6, 23, v6
	v_lshrrev_b32_e32 v9, 4, v9
	v_add_u32_e32 v7, 0x1000000, v5
	v_sub_u32_e32 v6, v9, v6
	v_ashrrev_i32_e32 v7, 8, v7
	v_add_u32_e32 v6, 0x3c000000, v6
	v_and_or_b32 v6, v7, s18, v6
	v_cmp_ne_u32_e32 vcc, 0, v5
	v_cndmask_b32_e32 v5, 0, v6, vcc
	s_brev_b32 s18, 1
	v_and_or_b32 v4, v4, s18, v5
	v_cvt_f64_f32_e32 v[4:5], v4
.LBB6_1275:
	s_mov_b64 s[18:19], 0
.LBB6_1276:
	s_andn2_b64 vcc, exec, s[18:19]
	s_cbranch_vccnz .LBB6_1278
; %bb.1277:
	global_load_ubyte v4, v[2:3], off
	s_movk_i32 s18, 0x7f00
	s_brev_b32 s19, 16
	s_waitcnt vmcnt(0)
	v_lshlrev_b16_e32 v5, 8, v4
	v_lshlrev_b32_e32 v4, 25, v4
	v_lshrrev_b32_e32 v6, 4, v4
	v_and_or_b32 v7, v5, s18, 0.5
	v_or_b32_e32 v6, 0x70000000, v6
	v_add_f32_e32 v7, -0.5, v7
	v_mul_f32_e32 v6, 0x7800000, v6
	v_cmp_gt_u32_e32 vcc, s19, v4
	v_bfe_i32 v5, v5, 0, 16
	v_cndmask_b32_e32 v4, v6, v7, vcc
	s_brev_b32 s18, 1
	v_and_or_b32 v4, v5, s18, v4
	v_cvt_f64_f32_e32 v[4:5], v4
.LBB6_1278:
	s_mov_b64 s[18:19], 0
	s_mov_b64 s[20:21], -1
.LBB6_1279:
	s_andn2_b64 vcc, exec, s[18:19]
	s_mov_b64 s[18:19], 0
	s_cbranch_vccnz .LBB6_1290
; %bb.1280:
	v_cmp_lt_i16_e32 vcc, 14, v11
	s_cbranch_vccz .LBB6_1283
; %bb.1281:
	v_cmp_eq_u16_e32 vcc, 15, v11
	s_cbranch_vccz .LBB6_1286
; %bb.1282:
	global_load_ushort v4, v[2:3], off
	s_mov_b64 s[4:5], 0
	s_mov_b64 s[20:21], -1
	s_waitcnt vmcnt(0)
	v_lshlrev_b32_e32 v4, 16, v4
	v_cvt_f64_f32_e32 v[4:5], v4
	s_branch .LBB6_1287
.LBB6_1283:
	s_mov_b64 s[22:23], -1
                                        ; implicit-def: $vgpr4_vgpr5
	s_branch .LBB6_1288
.LBB6_1284:
	s_or_saveexec_b64 s[22:23], s[22:23]
	v_pk_mov_b32 v[4:5], s[20:21], s[20:21] op_sel:[0,1]
	s_xor_b64 exec, exec, s[22:23]
	s_cbranch_execz .LBB6_1265
.LBB6_1285:
	v_cmp_ne_u16_e32 vcc, 0, v6
	s_andn2_b64 s[18:19], s[18:19], exec
	s_and_b64 s[20:21], vcc, exec
	v_pk_mov_b32 v[4:5], 0, 0
	s_or_b64 s[18:19], s[18:19], s[20:21]
	s_or_b64 exec, exec, s[22:23]
	s_and_saveexec_b64 s[20:21], s[18:19]
	s_cbranch_execnz .LBB6_1266
	s_branch .LBB6_1267
.LBB6_1286:
	s_mov_b64 s[4:5], -1
                                        ; implicit-def: $vgpr4_vgpr5
.LBB6_1287:
	s_mov_b64 s[22:23], 0
.LBB6_1288:
	s_and_b64 vcc, exec, s[22:23]
	s_cbranch_vccz .LBB6_1290
; %bb.1289:
	v_cmp_ne_u16_e64 s[4:5], 11, v11
	s_mov_b64 s[18:19], -1
                                        ; implicit-def: $vgpr4_vgpr5
.LBB6_1290:
	s_and_b64 vcc, exec, s[4:5]
	s_cbranch_vccnz .LBB6_1365
; %bb.1291:
	s_andn2_b64 vcc, exec, s[18:19]
	s_cbranch_vccnz .LBB6_1293
.LBB6_1292:
	global_load_ubyte v5, v[2:3], off
	v_mov_b32_e32 v6, 0x3ff00000
	v_mov_b32_e32 v4, 0
	s_mov_b64 s[20:21], -1
	s_waitcnt vmcnt(0)
	v_cmp_ne_u16_e32 vcc, 0, v5
	v_cndmask_b32_e32 v5, 0, v6, vcc
.LBB6_1293:
	s_branch .LBB6_1220
.LBB6_1294:
	v_cmp_gt_i16_e32 vcc, 5, v11
	s_cbranch_vccnz .LBB6_1299
; %bb.1295:
	v_cmp_gt_i16_e32 vcc, 8, v11
	s_cbranch_vccnz .LBB6_1300
; %bb.1296:
	;; [unrolled: 3-line block ×3, first 2 shown]
	v_cmp_lt_i16_e32 vcc, 9, v11
	s_cbranch_vccz .LBB6_1302
; %bb.1298:
	global_load_dwordx2 v[4:5], v[2:3], off
	s_mov_b64 s[4:5], 0
	s_branch .LBB6_1303
.LBB6_1299:
                                        ; implicit-def: $vgpr4_vgpr5
	s_branch .LBB6_1321
.LBB6_1300:
	s_mov_b64 s[4:5], -1
                                        ; implicit-def: $vgpr4_vgpr5
	s_branch .LBB6_1309
.LBB6_1301:
	s_mov_b64 s[4:5], -1
                                        ; implicit-def: $vgpr4_vgpr5
	s_branch .LBB6_1306
.LBB6_1302:
	s_mov_b64 s[4:5], -1
                                        ; implicit-def: $vgpr4_vgpr5
.LBB6_1303:
	s_andn2_b64 vcc, exec, s[4:5]
	s_cbranch_vccnz .LBB6_1305
; %bb.1304:
	global_load_dword v4, v[2:3], off
	s_waitcnt vmcnt(0)
	v_cvt_f64_f32_e32 v[4:5], v4
.LBB6_1305:
	s_mov_b64 s[4:5], 0
.LBB6_1306:
	s_andn2_b64 vcc, exec, s[4:5]
	s_cbranch_vccnz .LBB6_1308
; %bb.1307:
	global_load_dword v4, v[2:3], off
	s_waitcnt vmcnt(0)
	v_cvt_f32_f16_e32 v4, v4
	v_cvt_f64_f32_e32 v[4:5], v4
.LBB6_1308:
	s_mov_b64 s[4:5], 0
.LBB6_1309:
	s_andn2_b64 vcc, exec, s[4:5]
	s_cbranch_vccnz .LBB6_1320
; %bb.1310:
	v_cmp_gt_i16_e32 vcc, 6, v11
	s_cbranch_vccnz .LBB6_1313
; %bb.1311:
	v_cmp_lt_i16_e32 vcc, 6, v11
	s_cbranch_vccz .LBB6_1314
; %bb.1312:
	global_load_dwordx2 v[4:5], v[2:3], off
	s_mov_b64 s[4:5], 0
	s_branch .LBB6_1315
.LBB6_1313:
	s_mov_b64 s[4:5], -1
                                        ; implicit-def: $vgpr4_vgpr5
	s_branch .LBB6_1318
.LBB6_1314:
	s_mov_b64 s[4:5], -1
                                        ; implicit-def: $vgpr4_vgpr5
.LBB6_1315:
	s_andn2_b64 vcc, exec, s[4:5]
	s_cbranch_vccnz .LBB6_1317
; %bb.1316:
	global_load_dword v4, v[2:3], off
	s_waitcnt vmcnt(0)
	v_cvt_f64_f32_e32 v[4:5], v4
.LBB6_1317:
	s_mov_b64 s[4:5], 0
.LBB6_1318:
	s_andn2_b64 vcc, exec, s[4:5]
	s_cbranch_vccnz .LBB6_1320
; %bb.1319:
	global_load_ushort v4, v[2:3], off
	s_waitcnt vmcnt(0)
	v_cvt_f32_f16_e32 v4, v4
	v_cvt_f64_f32_e32 v[4:5], v4
.LBB6_1320:
	s_cbranch_execnz .LBB6_1340
.LBB6_1321:
	v_cmp_gt_i16_e32 vcc, 2, v11
	s_cbranch_vccnz .LBB6_1325
; %bb.1322:
	v_cmp_gt_i16_e32 vcc, 3, v11
	s_cbranch_vccnz .LBB6_1326
; %bb.1323:
	v_cmp_lt_i16_e32 vcc, 3, v11
	s_cbranch_vccz .LBB6_1327
; %bb.1324:
	global_load_dwordx2 v[4:5], v[2:3], off
	s_mov_b64 s[4:5], 0
	s_waitcnt vmcnt(0)
	v_cvt_f64_i32_e32 v[6:7], v5
	v_cvt_f64_u32_e32 v[4:5], v4
	v_ldexp_f64 v[6:7], v[6:7], 32
	v_add_f64 v[4:5], v[6:7], v[4:5]
	s_branch .LBB6_1328
.LBB6_1325:
	s_mov_b64 s[4:5], -1
                                        ; implicit-def: $vgpr4_vgpr5
	s_branch .LBB6_1334
.LBB6_1326:
	s_mov_b64 s[4:5], -1
                                        ; implicit-def: $vgpr4_vgpr5
	s_branch .LBB6_1331
.LBB6_1327:
	s_mov_b64 s[4:5], -1
                                        ; implicit-def: $vgpr4_vgpr5
.LBB6_1328:
	s_andn2_b64 vcc, exec, s[4:5]
	s_cbranch_vccnz .LBB6_1330
; %bb.1329:
	global_load_dword v4, v[2:3], off
	s_waitcnt vmcnt(0)
	v_cvt_f64_i32_e32 v[4:5], v4
.LBB6_1330:
	s_mov_b64 s[4:5], 0
.LBB6_1331:
	s_andn2_b64 vcc, exec, s[4:5]
	s_cbranch_vccnz .LBB6_1333
; %bb.1332:
	global_load_sshort v4, v[2:3], off
	s_waitcnt vmcnt(0)
	v_cvt_f64_i32_e32 v[4:5], v4
.LBB6_1333:
	s_mov_b64 s[4:5], 0
.LBB6_1334:
	s_andn2_b64 vcc, exec, s[4:5]
	s_cbranch_vccnz .LBB6_1340
; %bb.1335:
	v_cmp_lt_i16_e32 vcc, 0, v11
	s_cbranch_vccz .LBB6_1337
; %bb.1336:
	global_load_sbyte v4, v[2:3], off
	s_mov_b64 s[4:5], 0
	s_waitcnt vmcnt(0)
	v_cvt_f64_i32_e32 v[4:5], v4
	s_branch .LBB6_1338
.LBB6_1337:
	s_mov_b64 s[4:5], -1
                                        ; implicit-def: $vgpr4_vgpr5
.LBB6_1338:
	s_andn2_b64 vcc, exec, s[4:5]
	s_cbranch_vccnz .LBB6_1340
; %bb.1339:
	global_load_ubyte v2, v[2:3], off
	s_waitcnt vmcnt(0)
	v_cvt_f64_u32_e32 v[4:5], v2
.LBB6_1340:
.LBB6_1341:
	s_waitcnt vmcnt(0)
	v_trunc_f64_e32 v[4:5], v[4:5]
	s_movk_i32 s4, 0xffe0
	v_ldexp_f64 v[2:3], v[4:5], s4
	v_floor_f64_e32 v[6:7], v[2:3]
	v_fmac_f64_e32 v[4:5], 0xc1f00000, v[6:7]
	v_cvt_i32_f64_e32 v3, v[6:7]
	v_cvt_u32_f64_e32 v2, v[4:5]
	v_cmp_lt_i64_e32 vcc, -1, v[2:3]
	v_pk_mov_b32 v[4:5], 0, 0
	s_and_saveexec_b64 s[4:5], vcc
	s_cbranch_execz .LBB6_1353
; %bb.1342:
	v_mov_b32_e32 v4, 0
	v_cmp_lt_i64_e32 vcc, 0, v[2:3]
	v_mov_b32_e32 v5, 0x3ff00000
	s_and_saveexec_b64 s[18:19], vcc
	s_cbranch_execz .LBB6_1352
; %bb.1343:
	v_cmp_ne_u64_e32 vcc, 1, v[2:3]
                                        ; implicit-def: $vgpr4_vgpr5
	s_and_saveexec_b64 s[20:21], vcc
	s_xor_b64 s[20:21], exec, s[20:21]
	s_cbranch_execz .LBB6_1349
; %bb.1344:
	s_mov_b64 s[22:23], 0x201
	v_mov_b32_e32 v4, 0
	v_cmp_gt_u64_e32 vcc, s[22:23], v[2:3]
	v_mov_b32_e32 v5, 0x7ff80000
	s_and_saveexec_b64 s[22:23], vcc
	s_cbranch_execz .LBB6_1348
; %bb.1345:
	v_mov_b32_e32 v6, 0
	s_mov_b64 s[26:27], 1
	s_mov_b64 s[24:25], 0
	v_pk_mov_b32 v[4:5], s[12:13], s[12:13] op_sel:[0,1]
	v_mov_b32_e32 v7, 0x3ff00000
.LBB6_1346:                             ; =>This Inner Loop Header: Depth=1
	v_cvt_f64_u32_e32 v[12:13], s27
	v_cvt_f64_u32_e32 v[14:15], s26
	s_add_u32 s26, s26, 1
	v_ldexp_f64 v[12:13], v[12:13], 32
	s_addc_u32 s27, s27, 0
	v_add_f64 v[12:13], v[12:13], v[14:15]
	v_cmp_eq_u64_e32 vcc, s[26:27], v[2:3]
	v_mul_f64 v[12:13], v[6:7], v[12:13]
	s_or_b64 s[24:25], vcc, s[24:25]
	v_pk_mov_b32 v[6:7], v[4:5], v[4:5] op_sel:[0,1]
	v_fma_f64 v[4:5], s[12:13], v[4:5], -v[12:13]
	s_andn2_b64 exec, exec, s[24:25]
	s_cbranch_execnz .LBB6_1346
; %bb.1347:
	s_or_b64 exec, exec, s[24:25]
.LBB6_1348:
	s_or_b64 exec, exec, s[22:23]
.LBB6_1349:
	s_andn2_saveexec_b64 s[20:21], s[20:21]
; %bb.1350:
	v_pk_mov_b32 v[4:5], s[12:13], s[12:13] op_sel:[0,1]
; %bb.1351:
	s_or_b64 exec, exec, s[20:21]
.LBB6_1352:
	s_or_b64 exec, exec, s[18:19]
.LBB6_1353:
	s_or_b64 exec, exec, s[4:5]
	v_add_u32_e32 v12, s3, v8
	v_ashrrev_i32_e32 v3, 31, v12
	v_mov_b32_e32 v6, s11
	v_add_co_u32_e32 v2, vcc, s10, v12
	v_addc_co_u32_e32 v3, vcc, v6, v3, vcc
	s_and_b64 vcc, exec, s[0:1]
	s_cbranch_vccnz .LBB6_1360
; %bb.1354:
	v_cmp_lt_i16_e32 vcc, 25, v11
	s_mov_b64 s[18:19], 0
	s_cbranch_vccz .LBB6_1362
; %bb.1355:
	v_cmp_lt_i16_e32 vcc, 28, v11
	s_cbranch_vccz .LBB6_1363
; %bb.1356:
	v_cmp_lt_i16_e32 vcc, 43, v11
	;; [unrolled: 3-line block ×3, first 2 shown]
	s_cbranch_vccz .LBB6_1366
; %bb.1358:
	v_cmp_eq_u16_e32 vcc, 46, v11
	s_mov_b64 s[22:23], 0
	s_cbranch_vccz .LBB6_1367
; %bb.1359:
	global_load_dword v6, v[2:3], off
	s_mov_b64 s[4:5], 0
	s_mov_b64 s[20:21], -1
	s_waitcnt vmcnt(0)
	v_lshlrev_b32_e32 v6, 16, v6
	v_cvt_f64_f32_e32 v[6:7], v6
	s_branch .LBB6_1368
.LBB6_1360:
	s_mov_b64 s[20:21], 0
                                        ; implicit-def: $vgpr6_vgpr7
	s_cbranch_execnz .LBB6_1434
.LBB6_1361:
	s_andn2_b64 vcc, exec, s[20:21]
	s_cbranch_vccnz .LBB6_1643
	s_branch .LBB6_1482
.LBB6_1362:
	s_mov_b64 s[22:23], -1
	s_mov_b64 s[20:21], 0
	s_mov_b64 s[4:5], 0
                                        ; implicit-def: $vgpr6_vgpr7
	s_branch .LBB6_1397
.LBB6_1363:
	s_mov_b64 s[22:23], -1
	s_mov_b64 s[20:21], 0
	s_mov_b64 s[4:5], 0
                                        ; implicit-def: $vgpr6_vgpr7
	s_branch .LBB6_1378
.LBB6_1364:
	s_mov_b64 s[22:23], -1
	s_mov_b64 s[20:21], 0
	s_mov_b64 s[4:5], 0
                                        ; implicit-def: $vgpr6_vgpr7
	s_branch .LBB6_1373
.LBB6_1365:
	s_trap 2
	s_or_b64 s[16:17], s[16:17], exec
                                        ; implicit-def: $vgpr4_vgpr5
	s_cbranch_execz .LBB6_1292
	s_branch .LBB6_1293
.LBB6_1366:
	s_mov_b64 s[22:23], -1
	s_mov_b64 s[20:21], 0
	s_mov_b64 s[4:5], 0
                                        ; implicit-def: $vgpr6_vgpr7
	s_branch .LBB6_1368
.LBB6_1367:
	s_mov_b64 s[4:5], -1
                                        ; implicit-def: $vgpr6_vgpr7
	s_mov_b64 s[20:21], 0
.LBB6_1368:
	s_and_b64 vcc, exec, s[22:23]
	s_cbranch_vccz .LBB6_1372
; %bb.1369:
	v_cmp_eq_u16_e32 vcc, 44, v11
	s_cbranch_vccz .LBB6_1371
; %bb.1370:
	global_load_ubyte v8, v[2:3], off
	s_movk_i32 s20, 0xff
	v_bfrev_b32_e32 v9, 4
	v_mov_b32_e32 v13, 0x7ff80000
	v_bfrev_b32_e32 v14, 28
	s_mov_b64 s[4:5], 0
	s_waitcnt vmcnt(0)
	v_lshlrev_b32_e32 v6, 23, v8
	v_cvt_f64_f32_e32 v[6:7], v6
	v_cmp_ne_u32_e32 vcc, s20, v8
	v_cndmask_b32_e32 v6, v9, v6, vcc
	v_cndmask_b32_e32 v7, v13, v7, vcc
	v_cmp_ne_u32_e32 vcc, 0, v8
	v_cndmask_b32_e32 v7, v14, v7, vcc
	v_cndmask_b32_e32 v6, 0, v6, vcc
	s_mov_b64 s[20:21], -1
	s_branch .LBB6_1372
.LBB6_1371:
	s_mov_b64 s[4:5], -1
                                        ; implicit-def: $vgpr6_vgpr7
.LBB6_1372:
	s_mov_b64 s[22:23], 0
.LBB6_1373:
	s_and_b64 vcc, exec, s[22:23]
	s_cbranch_vccz .LBB6_1377
; %bb.1374:
	v_cmp_eq_u16_e32 vcc, 29, v11
	s_cbranch_vccz .LBB6_1376
; %bb.1375:
	global_load_dwordx2 v[6:7], v[2:3], off
	s_mov_b64 s[4:5], 0
	s_mov_b64 s[20:21], -1
	s_mov_b64 s[22:23], 0
	s_waitcnt vmcnt(0)
	v_cvt_f64_u32_e32 v[8:9], v7
	v_cvt_f64_u32_e32 v[6:7], v6
	v_ldexp_f64 v[8:9], v[8:9], 32
	v_add_f64 v[6:7], v[8:9], v[6:7]
	s_branch .LBB6_1378
.LBB6_1376:
	s_mov_b64 s[4:5], -1
                                        ; implicit-def: $vgpr6_vgpr7
.LBB6_1377:
	s_mov_b64 s[22:23], 0
.LBB6_1378:
	s_and_b64 vcc, exec, s[22:23]
	s_cbranch_vccz .LBB6_1396
; %bb.1379:
	v_cmp_gt_i16_e32 vcc, 27, v11
	s_cbranch_vccnz .LBB6_1382
; %bb.1380:
	v_cmp_lt_i16_e32 vcc, 27, v11
	s_cbranch_vccz .LBB6_1383
; %bb.1381:
	global_load_dword v6, v[2:3], off
	s_mov_b64 s[20:21], 0
	s_waitcnt vmcnt(0)
	v_cvt_f64_u32_e32 v[6:7], v6
	s_branch .LBB6_1384
.LBB6_1382:
	s_mov_b64 s[20:21], -1
                                        ; implicit-def: $vgpr6_vgpr7
	s_branch .LBB6_1387
.LBB6_1383:
	s_mov_b64 s[20:21], -1
                                        ; implicit-def: $vgpr6_vgpr7
.LBB6_1384:
	s_andn2_b64 vcc, exec, s[20:21]
	s_cbranch_vccnz .LBB6_1386
; %bb.1385:
	global_load_ushort v6, v[2:3], off
	s_waitcnt vmcnt(0)
	v_cvt_f64_u32_e32 v[6:7], v6
.LBB6_1386:
	s_mov_b64 s[20:21], 0
.LBB6_1387:
	s_andn2_b64 vcc, exec, s[20:21]
	s_cbranch_vccnz .LBB6_1395
; %bb.1388:
	global_load_ubyte v8, v[2:3], off
	s_movk_i32 s20, 0x7f
                                        ; implicit-def: $sgpr22_sgpr23
	s_waitcnt vmcnt(0)
	v_cmp_lt_i16_e32 vcc, s20, v8
	s_mov_b64 s[20:21], 0
	s_and_saveexec_b64 s[24:25], vcc
	s_xor_b64 s[24:25], exec, s[24:25]
	s_cbranch_execz .LBB6_1409
; %bb.1389:
	s_movk_i32 s20, 0x80
	v_cmp_eq_u16_e32 vcc, s20, v8
	s_mov_b64 s[26:27], -1
                                        ; implicit-def: $sgpr22_sgpr23
	s_and_saveexec_b64 s[20:21], vcc
; %bb.1390:
	s_mov_b32 s23, 0x7ff80000
	s_brev_b32 s22, 4
	s_xor_b64 s[26:27], exec, -1
; %bb.1391:
	s_or_b64 exec, exec, s[20:21]
	s_and_b64 s[20:21], s[26:27], exec
	s_or_saveexec_b64 s[24:25], s[24:25]
	v_pk_mov_b32 v[6:7], s[22:23], s[22:23] op_sel:[0,1]
	s_xor_b64 exec, exec, s[24:25]
	s_cbranch_execnz .LBB6_1410
.LBB6_1392:
	s_or_b64 exec, exec, s[24:25]
	s_and_saveexec_b64 s[22:23], s[20:21]
	s_cbranch_execz .LBB6_1394
.LBB6_1393:
	v_and_b32_e32 v7, 0xffff, v8
	v_lshlrev_b32_e32 v6, 24, v8
	v_and_b32_e32 v8, 7, v7
	v_ffbh_u32_e32 v13, v8
	v_min_u32_e32 v13, 32, v13
	v_subrev_u32_e32 v14, 28, v13
	v_bfe_u32 v9, v7, 3, 4
	v_lshlrev_b32_e32 v7, v14, v7
	v_sub_u32_e32 v13, 29, v13
	v_and_b32_e32 v7, 7, v7
	v_cmp_eq_u32_e32 vcc, 0, v9
	v_cndmask_b32_e32 v9, v9, v13, vcc
	v_cndmask_b32_e32 v7, v8, v7, vcc
	v_mov_b32_e32 v8, 0x3b800000
	v_lshlrev_b32_e32 v7, 20, v7
	v_and_b32_e32 v6, 0x80000000, v6
	v_lshl_add_u32 v8, v9, 23, v8
	v_or3_b32 v6, v6, v8, v7
	v_cvt_f64_f32_e32 v[6:7], v6
.LBB6_1394:
	s_or_b64 exec, exec, s[22:23]
.LBB6_1395:
	s_mov_b64 s[20:21], -1
.LBB6_1396:
	s_mov_b64 s[22:23], 0
.LBB6_1397:
	s_and_b64 vcc, exec, s[22:23]
	s_cbranch_vccz .LBB6_1430
; %bb.1398:
	v_cmp_lt_i16_e32 vcc, 22, v11
	s_cbranch_vccz .LBB6_1408
; %bb.1399:
	v_cmp_gt_i16_e32 vcc, 24, v11
	s_cbranch_vccnz .LBB6_1411
; %bb.1400:
	v_cmp_lt_i16_e32 vcc, 24, v11
	s_cbranch_vccz .LBB6_1412
; %bb.1401:
	global_load_ubyte v8, v[2:3], off
	s_movk_i32 s18, 0x7f
                                        ; implicit-def: $sgpr20_sgpr21
	s_waitcnt vmcnt(0)
	v_cmp_lt_i16_e32 vcc, s18, v8
	s_mov_b64 s[18:19], 0
	s_and_saveexec_b64 s[22:23], vcc
	s_xor_b64 s[22:23], exec, s[22:23]
	s_cbranch_execz .LBB6_1424
; %bb.1402:
	s_movk_i32 s18, 0x80
	v_cmp_eq_u16_e32 vcc, s18, v8
	s_mov_b64 s[24:25], -1
                                        ; implicit-def: $sgpr20_sgpr21
	s_and_saveexec_b64 s[18:19], vcc
; %bb.1403:
	s_mov_b32 s21, 0x7ff80000
	s_brev_b32 s20, 4
	s_xor_b64 s[24:25], exec, -1
; %bb.1404:
	s_or_b64 exec, exec, s[18:19]
	s_and_b64 s[18:19], s[24:25], exec
	s_or_saveexec_b64 s[22:23], s[22:23]
	v_pk_mov_b32 v[6:7], s[20:21], s[20:21] op_sel:[0,1]
	s_xor_b64 exec, exec, s[22:23]
	s_cbranch_execnz .LBB6_1425
.LBB6_1405:
	s_or_b64 exec, exec, s[22:23]
	s_and_saveexec_b64 s[20:21], s[18:19]
	s_cbranch_execz .LBB6_1407
.LBB6_1406:
	v_and_b32_e32 v7, 0xffff, v8
	v_lshlrev_b32_e32 v6, 24, v8
	v_and_b32_e32 v8, 3, v7
	v_ffbh_u32_e32 v13, v8
	v_min_u32_e32 v13, 32, v13
	v_subrev_u32_e32 v14, 29, v13
	v_bfe_u32 v9, v7, 2, 5
	v_lshlrev_b32_e32 v7, v14, v7
	v_sub_u32_e32 v13, 30, v13
	v_and_b32_e32 v7, 3, v7
	v_cmp_eq_u32_e32 vcc, 0, v9
	v_cndmask_b32_e32 v9, v9, v13, vcc
	v_cndmask_b32_e32 v7, v8, v7, vcc
	v_mov_b32_e32 v8, 0x37800000
	v_lshlrev_b32_e32 v7, 21, v7
	v_and_b32_e32 v6, 0x80000000, v6
	v_lshl_add_u32 v8, v9, 23, v8
	v_or3_b32 v6, v6, v8, v7
	v_cvt_f64_f32_e32 v[6:7], v6
.LBB6_1407:
	s_or_b64 exec, exec, s[20:21]
	s_mov_b64 s[18:19], 0
	s_branch .LBB6_1413
.LBB6_1408:
	s_mov_b64 s[18:19], -1
                                        ; implicit-def: $vgpr6_vgpr7
	s_branch .LBB6_1419
.LBB6_1409:
	s_or_saveexec_b64 s[24:25], s[24:25]
	v_pk_mov_b32 v[6:7], s[22:23], s[22:23] op_sel:[0,1]
	s_xor_b64 exec, exec, s[24:25]
	s_cbranch_execz .LBB6_1392
.LBB6_1410:
	v_cmp_ne_u16_e32 vcc, 0, v8
	s_andn2_b64 s[20:21], s[20:21], exec
	s_and_b64 s[22:23], vcc, exec
	v_pk_mov_b32 v[6:7], 0, 0
	s_or_b64 s[20:21], s[20:21], s[22:23]
	s_or_b64 exec, exec, s[24:25]
	s_and_saveexec_b64 s[22:23], s[20:21]
	s_cbranch_execnz .LBB6_1393
	s_branch .LBB6_1394
.LBB6_1411:
	s_mov_b64 s[18:19], -1
                                        ; implicit-def: $vgpr6_vgpr7
	s_branch .LBB6_1416
.LBB6_1412:
	s_mov_b64 s[18:19], -1
                                        ; implicit-def: $vgpr6_vgpr7
.LBB6_1413:
	s_and_b64 vcc, exec, s[18:19]
	s_cbranch_vccz .LBB6_1415
; %bb.1414:
	global_load_ubyte v6, v[2:3], off
	s_mov_b32 s18, 0x7f800000
	s_waitcnt vmcnt(0)
	v_lshlrev_b32_e32 v6, 24, v6
	v_and_b32_e32 v7, 0x7f000000, v6
	v_ffbh_u32_e32 v8, v7
	v_min_u32_e32 v8, 32, v8
	v_sub_u32_e64 v8, v8, 4 clamp
	v_lshlrev_b32_e32 v13, v8, v7
	v_lshlrev_b32_e32 v8, 23, v8
	v_lshrrev_b32_e32 v13, 4, v13
	v_add_u32_e32 v9, 0x1000000, v7
	v_sub_u32_e32 v8, v13, v8
	v_ashrrev_i32_e32 v9, 8, v9
	v_add_u32_e32 v8, 0x3c000000, v8
	v_and_or_b32 v8, v9, s18, v8
	v_cmp_ne_u32_e32 vcc, 0, v7
	v_cndmask_b32_e32 v7, 0, v8, vcc
	s_brev_b32 s18, 1
	v_and_or_b32 v6, v6, s18, v7
	v_cvt_f64_f32_e32 v[6:7], v6
.LBB6_1415:
	s_mov_b64 s[18:19], 0
.LBB6_1416:
	s_andn2_b64 vcc, exec, s[18:19]
	s_cbranch_vccnz .LBB6_1418
; %bb.1417:
	global_load_ubyte v6, v[2:3], off
	s_movk_i32 s18, 0x7f00
	s_brev_b32 s19, 16
	s_waitcnt vmcnt(0)
	v_lshlrev_b16_e32 v7, 8, v6
	v_lshlrev_b32_e32 v6, 25, v6
	v_lshrrev_b32_e32 v8, 4, v6
	v_and_or_b32 v9, v7, s18, 0.5
	v_or_b32_e32 v8, 0x70000000, v8
	v_add_f32_e32 v9, -0.5, v9
	v_mul_f32_e32 v8, 0x7800000, v8
	v_cmp_gt_u32_e32 vcc, s19, v6
	v_bfe_i32 v7, v7, 0, 16
	v_cndmask_b32_e32 v6, v8, v9, vcc
	s_brev_b32 s18, 1
	v_and_or_b32 v6, v7, s18, v6
	v_cvt_f64_f32_e32 v[6:7], v6
.LBB6_1418:
	s_mov_b64 s[18:19], 0
	s_mov_b64 s[20:21], -1
.LBB6_1419:
	s_andn2_b64 vcc, exec, s[18:19]
	s_mov_b64 s[18:19], 0
	s_cbranch_vccnz .LBB6_1430
; %bb.1420:
	v_cmp_lt_i16_e32 vcc, 14, v11
	s_cbranch_vccz .LBB6_1423
; %bb.1421:
	v_cmp_eq_u16_e32 vcc, 15, v11
	s_cbranch_vccz .LBB6_1426
; %bb.1422:
	global_load_ushort v6, v[2:3], off
	s_mov_b64 s[4:5], 0
	s_mov_b64 s[20:21], -1
	s_waitcnt vmcnt(0)
	v_lshlrev_b32_e32 v6, 16, v6
	v_cvt_f64_f32_e32 v[6:7], v6
	s_branch .LBB6_1427
.LBB6_1423:
	s_mov_b64 s[22:23], -1
                                        ; implicit-def: $vgpr6_vgpr7
	s_branch .LBB6_1428
.LBB6_1424:
	s_or_saveexec_b64 s[22:23], s[22:23]
	v_pk_mov_b32 v[6:7], s[20:21], s[20:21] op_sel:[0,1]
	s_xor_b64 exec, exec, s[22:23]
	s_cbranch_execz .LBB6_1405
.LBB6_1425:
	v_cmp_ne_u16_e32 vcc, 0, v8
	s_andn2_b64 s[18:19], s[18:19], exec
	s_and_b64 s[20:21], vcc, exec
	v_pk_mov_b32 v[6:7], 0, 0
	s_or_b64 s[18:19], s[18:19], s[20:21]
	s_or_b64 exec, exec, s[22:23]
	s_and_saveexec_b64 s[20:21], s[18:19]
	s_cbranch_execnz .LBB6_1406
	s_branch .LBB6_1407
.LBB6_1426:
	s_mov_b64 s[4:5], -1
                                        ; implicit-def: $vgpr6_vgpr7
.LBB6_1427:
	s_mov_b64 s[22:23], 0
.LBB6_1428:
	s_and_b64 vcc, exec, s[22:23]
	s_cbranch_vccz .LBB6_1430
; %bb.1429:
	v_cmp_ne_u16_e64 s[4:5], 11, v11
	s_mov_b64 s[18:19], -1
                                        ; implicit-def: $vgpr6_vgpr7
.LBB6_1430:
	s_and_b64 vcc, exec, s[4:5]
	s_cbranch_vccnz .LBB6_1505
; %bb.1431:
	s_andn2_b64 vcc, exec, s[18:19]
	s_cbranch_vccnz .LBB6_1433
.LBB6_1432:
	global_load_ubyte v7, v[2:3], off
	v_mov_b32_e32 v8, 0x3ff00000
	v_mov_b32_e32 v6, 0
	s_mov_b64 s[20:21], -1
	s_waitcnt vmcnt(0)
	v_cmp_ne_u16_e32 vcc, 0, v7
	v_cndmask_b32_e32 v7, 0, v8, vcc
.LBB6_1433:
	s_branch .LBB6_1361
.LBB6_1434:
	v_cmp_gt_i16_e32 vcc, 5, v11
	s_cbranch_vccnz .LBB6_1439
; %bb.1435:
	v_cmp_gt_i16_e32 vcc, 8, v11
	s_cbranch_vccnz .LBB6_1440
; %bb.1436:
	;; [unrolled: 3-line block ×3, first 2 shown]
	v_cmp_lt_i16_e32 vcc, 9, v11
	s_cbranch_vccz .LBB6_1442
; %bb.1438:
	global_load_dwordx2 v[6:7], v[2:3], off
	s_mov_b64 s[4:5], 0
	s_branch .LBB6_1443
.LBB6_1439:
	s_mov_b64 s[4:5], -1
                                        ; implicit-def: $vgpr6_vgpr7
	s_branch .LBB6_1461
.LBB6_1440:
	s_mov_b64 s[4:5], -1
                                        ; implicit-def: $vgpr6_vgpr7
	s_branch .LBB6_1449
.LBB6_1441:
	s_mov_b64 s[4:5], -1
                                        ; implicit-def: $vgpr6_vgpr7
	s_branch .LBB6_1446
.LBB6_1442:
	s_mov_b64 s[4:5], -1
                                        ; implicit-def: $vgpr6_vgpr7
.LBB6_1443:
	s_andn2_b64 vcc, exec, s[4:5]
	s_cbranch_vccnz .LBB6_1445
; %bb.1444:
	global_load_dword v6, v[2:3], off
	s_waitcnt vmcnt(0)
	v_cvt_f64_f32_e32 v[6:7], v6
.LBB6_1445:
	s_mov_b64 s[4:5], 0
.LBB6_1446:
	s_andn2_b64 vcc, exec, s[4:5]
	s_cbranch_vccnz .LBB6_1448
; %bb.1447:
	global_load_dword v6, v[2:3], off
	s_waitcnt vmcnt(0)
	v_cvt_f32_f16_e32 v6, v6
	v_cvt_f64_f32_e32 v[6:7], v6
.LBB6_1448:
	s_mov_b64 s[4:5], 0
.LBB6_1449:
	s_andn2_b64 vcc, exec, s[4:5]
	s_cbranch_vccnz .LBB6_1460
; %bb.1450:
	v_cmp_gt_i16_e32 vcc, 6, v11
	s_cbranch_vccnz .LBB6_1453
; %bb.1451:
	v_cmp_lt_i16_e32 vcc, 6, v11
	s_cbranch_vccz .LBB6_1454
; %bb.1452:
	global_load_dwordx2 v[6:7], v[2:3], off
	s_mov_b64 s[4:5], 0
	s_branch .LBB6_1455
.LBB6_1453:
	s_mov_b64 s[4:5], -1
                                        ; implicit-def: $vgpr6_vgpr7
	s_branch .LBB6_1458
.LBB6_1454:
	s_mov_b64 s[4:5], -1
                                        ; implicit-def: $vgpr6_vgpr7
.LBB6_1455:
	s_andn2_b64 vcc, exec, s[4:5]
	s_cbranch_vccnz .LBB6_1457
; %bb.1456:
	global_load_dword v6, v[2:3], off
	s_waitcnt vmcnt(0)
	v_cvt_f64_f32_e32 v[6:7], v6
.LBB6_1457:
	s_mov_b64 s[4:5], 0
.LBB6_1458:
	s_andn2_b64 vcc, exec, s[4:5]
	s_cbranch_vccnz .LBB6_1460
; %bb.1459:
	global_load_ushort v6, v[2:3], off
	s_waitcnt vmcnt(0)
	v_cvt_f32_f16_e32 v6, v6
	v_cvt_f64_f32_e32 v[6:7], v6
.LBB6_1460:
	s_mov_b64 s[4:5], 0
.LBB6_1461:
	s_andn2_b64 vcc, exec, s[4:5]
	s_cbranch_vccnz .LBB6_1481
; %bb.1462:
	v_cmp_gt_i16_e32 vcc, 2, v11
	s_cbranch_vccnz .LBB6_1466
; %bb.1463:
	v_cmp_gt_i16_e32 vcc, 3, v11
	s_cbranch_vccnz .LBB6_1467
; %bb.1464:
	v_cmp_lt_i16_e32 vcc, 3, v11
	s_cbranch_vccz .LBB6_1468
; %bb.1465:
	global_load_dwordx2 v[6:7], v[2:3], off
	s_mov_b64 s[4:5], 0
	s_waitcnt vmcnt(0)
	v_cvt_f64_i32_e32 v[8:9], v7
	v_cvt_f64_u32_e32 v[6:7], v6
	v_ldexp_f64 v[8:9], v[8:9], 32
	v_add_f64 v[6:7], v[8:9], v[6:7]
	s_branch .LBB6_1469
.LBB6_1466:
	s_mov_b64 s[4:5], -1
                                        ; implicit-def: $vgpr6_vgpr7
	s_branch .LBB6_1475
.LBB6_1467:
	s_mov_b64 s[4:5], -1
                                        ; implicit-def: $vgpr6_vgpr7
	s_branch .LBB6_1472
.LBB6_1468:
	s_mov_b64 s[4:5], -1
                                        ; implicit-def: $vgpr6_vgpr7
.LBB6_1469:
	s_andn2_b64 vcc, exec, s[4:5]
	s_cbranch_vccnz .LBB6_1471
; %bb.1470:
	global_load_dword v6, v[2:3], off
	s_waitcnt vmcnt(0)
	v_cvt_f64_i32_e32 v[6:7], v6
.LBB6_1471:
	s_mov_b64 s[4:5], 0
.LBB6_1472:
	s_andn2_b64 vcc, exec, s[4:5]
	s_cbranch_vccnz .LBB6_1474
; %bb.1473:
	global_load_sshort v6, v[2:3], off
	s_waitcnt vmcnt(0)
	v_cvt_f64_i32_e32 v[6:7], v6
.LBB6_1474:
	s_mov_b64 s[4:5], 0
.LBB6_1475:
	s_andn2_b64 vcc, exec, s[4:5]
	s_cbranch_vccnz .LBB6_1481
; %bb.1476:
	v_cmp_lt_i16_e32 vcc, 0, v11
	s_cbranch_vccz .LBB6_1478
; %bb.1477:
	global_load_sbyte v6, v[2:3], off
	s_mov_b64 s[4:5], 0
	s_waitcnt vmcnt(0)
	v_cvt_f64_i32_e32 v[6:7], v6
	s_branch .LBB6_1479
.LBB6_1478:
	s_mov_b64 s[4:5], -1
                                        ; implicit-def: $vgpr6_vgpr7
.LBB6_1479:
	s_andn2_b64 vcc, exec, s[4:5]
	s_cbranch_vccnz .LBB6_1481
; %bb.1480:
	global_load_ubyte v2, v[2:3], off
	s_waitcnt vmcnt(0)
	v_cvt_f64_u32_e32 v[6:7], v2
.LBB6_1481:
.LBB6_1482:
	s_waitcnt vmcnt(0)
	v_trunc_f64_e32 v[6:7], v[6:7]
	s_movk_i32 s4, 0xffe0
	v_ldexp_f64 v[2:3], v[6:7], s4
	v_floor_f64_e32 v[8:9], v[2:3]
	v_fmac_f64_e32 v[6:7], 0xc1f00000, v[8:9]
	v_cvt_i32_f64_e32 v3, v[8:9]
	v_cvt_u32_f64_e32 v2, v[6:7]
	v_cmp_lt_i64_e32 vcc, -1, v[2:3]
	v_pk_mov_b32 v[8:9], 0, 0
	s_and_saveexec_b64 s[4:5], vcc
	s_cbranch_execz .LBB6_1494
; %bb.1483:
	v_mov_b32_e32 v8, 0
	v_cmp_lt_i64_e32 vcc, 0, v[2:3]
	v_mov_b32_e32 v9, 0x3ff00000
	s_and_saveexec_b64 s[18:19], vcc
	s_cbranch_execz .LBB6_1493
; %bb.1484:
	v_cmp_ne_u64_e32 vcc, 1, v[2:3]
                                        ; implicit-def: $vgpr8_vgpr9
	s_and_saveexec_b64 s[20:21], vcc
	s_xor_b64 s[20:21], exec, s[20:21]
	s_cbranch_execz .LBB6_1490
; %bb.1485:
	s_mov_b64 s[22:23], 0x201
	v_mov_b32_e32 v8, 0
	v_cmp_gt_u64_e32 vcc, s[22:23], v[2:3]
	v_mov_b32_e32 v9, 0x7ff80000
	s_and_saveexec_b64 s[22:23], vcc
	s_cbranch_execz .LBB6_1489
; %bb.1486:
	v_mov_b32_e32 v6, 0
	s_mov_b64 s[26:27], 1
	s_mov_b64 s[24:25], 0
	v_pk_mov_b32 v[8:9], s[12:13], s[12:13] op_sel:[0,1]
	v_mov_b32_e32 v7, 0x3ff00000
.LBB6_1487:                             ; =>This Inner Loop Header: Depth=1
	v_cvt_f64_u32_e32 v[14:15], s27
	v_cvt_f64_u32_e32 v[16:17], s26
	s_add_u32 s26, s26, 1
	v_ldexp_f64 v[14:15], v[14:15], 32
	s_addc_u32 s27, s27, 0
	v_add_f64 v[14:15], v[14:15], v[16:17]
	v_cmp_eq_u64_e32 vcc, s[26:27], v[2:3]
	v_mul_f64 v[14:15], v[6:7], v[14:15]
	s_or_b64 s[24:25], vcc, s[24:25]
	v_pk_mov_b32 v[6:7], v[8:9], v[8:9] op_sel:[0,1]
	v_fma_f64 v[8:9], s[12:13], v[8:9], -v[14:15]
	s_andn2_b64 exec, exec, s[24:25]
	s_cbranch_execnz .LBB6_1487
; %bb.1488:
	s_or_b64 exec, exec, s[24:25]
.LBB6_1489:
	s_or_b64 exec, exec, s[22:23]
.LBB6_1490:
	s_andn2_saveexec_b64 s[20:21], s[20:21]
; %bb.1491:
	v_pk_mov_b32 v[8:9], s[12:13], s[12:13] op_sel:[0,1]
; %bb.1492:
	s_or_b64 exec, exec, s[20:21]
.LBB6_1493:
	s_or_b64 exec, exec, s[18:19]
.LBB6_1494:
	s_or_b64 exec, exec, s[4:5]
	v_add_u32_e32 v2, s3, v12
	v_ashrrev_i32_e32 v3, 31, v2
	v_mov_b32_e32 v6, s11
	v_add_co_u32_e32 v2, vcc, s10, v2
	v_addc_co_u32_e32 v3, vcc, v6, v3, vcc
	s_and_b64 vcc, exec, s[0:1]
	s_cbranch_vccnz .LBB6_1501
; %bb.1495:
	v_cmp_lt_i16_e32 vcc, 25, v11
	s_mov_b64 s[4:5], 0
	s_cbranch_vccz .LBB6_1502
; %bb.1496:
	v_cmp_lt_i16_e32 vcc, 28, v11
	s_cbranch_vccz .LBB6_1503
; %bb.1497:
	v_cmp_lt_i16_e32 vcc, 43, v11
	;; [unrolled: 3-line block ×3, first 2 shown]
	s_cbranch_vccz .LBB6_1506
; %bb.1499:
	v_cmp_eq_u16_e32 vcc, 46, v11
	s_mov_b64 s[18:19], 0
	s_cbranch_vccz .LBB6_1507
; %bb.1500:
	global_load_dword v6, v[2:3], off
	s_mov_b64 s[0:1], 0
	s_mov_b64 s[10:11], -1
	s_waitcnt vmcnt(0)
	v_lshlrev_b32_e32 v6, 16, v6
	v_cvt_f64_f32_e32 v[6:7], v6
	s_branch .LBB6_1508
.LBB6_1501:
	s_mov_b64 s[0:1], -1
	s_mov_b64 s[10:11], 0
                                        ; implicit-def: $vgpr6_vgpr7
	s_branch .LBB6_1574
.LBB6_1502:
	s_mov_b64 s[18:19], -1
	s_mov_b64 s[10:11], 0
	s_mov_b64 s[0:1], 0
                                        ; implicit-def: $vgpr6_vgpr7
	s_branch .LBB6_1537
.LBB6_1503:
	s_mov_b64 s[18:19], -1
	s_mov_b64 s[10:11], 0
	s_mov_b64 s[0:1], 0
                                        ; implicit-def: $vgpr6_vgpr7
	s_branch .LBB6_1518
.LBB6_1504:
	s_mov_b64 s[18:19], -1
	s_mov_b64 s[10:11], 0
	s_mov_b64 s[0:1], 0
                                        ; implicit-def: $vgpr6_vgpr7
	s_branch .LBB6_1513
.LBB6_1505:
	s_trap 2
	s_or_b64 s[16:17], s[16:17], exec
                                        ; implicit-def: $vgpr6_vgpr7
	s_cbranch_execz .LBB6_1432
	s_branch .LBB6_1433
.LBB6_1506:
	s_mov_b64 s[18:19], -1
	s_mov_b64 s[10:11], 0
	s_mov_b64 s[0:1], 0
                                        ; implicit-def: $vgpr6_vgpr7
	s_branch .LBB6_1508
.LBB6_1507:
	s_mov_b64 s[0:1], -1
                                        ; implicit-def: $vgpr6_vgpr7
	s_mov_b64 s[10:11], 0
.LBB6_1508:
	s_and_b64 vcc, exec, s[18:19]
	s_cbranch_vccz .LBB6_1512
; %bb.1509:
	v_cmp_eq_u16_e32 vcc, 44, v11
	s_cbranch_vccz .LBB6_1511
; %bb.1510:
	global_load_ubyte v12, v[2:3], off
	s_movk_i32 s3, 0xff
	v_bfrev_b32_e32 v13, 4
	v_mov_b32_e32 v14, 0x7ff80000
	v_bfrev_b32_e32 v15, 28
	s_mov_b64 s[0:1], 0
	s_mov_b64 s[10:11], -1
	s_waitcnt vmcnt(0)
	v_lshlrev_b32_e32 v6, 23, v12
	v_cvt_f64_f32_e32 v[6:7], v6
	v_cmp_ne_u32_e32 vcc, s3, v12
	v_cndmask_b32_e32 v6, v13, v6, vcc
	v_cndmask_b32_e32 v7, v14, v7, vcc
	v_cmp_ne_u32_e32 vcc, 0, v12
	v_cndmask_b32_e32 v7, v15, v7, vcc
	v_cndmask_b32_e32 v6, 0, v6, vcc
	s_branch .LBB6_1512
.LBB6_1511:
	s_mov_b64 s[0:1], -1
                                        ; implicit-def: $vgpr6_vgpr7
.LBB6_1512:
	s_mov_b64 s[18:19], 0
.LBB6_1513:
	s_and_b64 vcc, exec, s[18:19]
	s_cbranch_vccz .LBB6_1517
; %bb.1514:
	v_cmp_eq_u16_e32 vcc, 29, v11
	s_cbranch_vccz .LBB6_1516
; %bb.1515:
	global_load_dwordx2 v[6:7], v[2:3], off
	s_mov_b64 s[0:1], 0
	s_mov_b64 s[10:11], -1
	s_mov_b64 s[18:19], 0
	s_waitcnt vmcnt(0)
	v_cvt_f64_u32_e32 v[12:13], v7
	v_cvt_f64_u32_e32 v[6:7], v6
	v_ldexp_f64 v[12:13], v[12:13], 32
	v_add_f64 v[6:7], v[12:13], v[6:7]
	s_branch .LBB6_1518
.LBB6_1516:
	s_mov_b64 s[0:1], -1
                                        ; implicit-def: $vgpr6_vgpr7
.LBB6_1517:
	s_mov_b64 s[18:19], 0
.LBB6_1518:
	s_and_b64 vcc, exec, s[18:19]
	s_cbranch_vccz .LBB6_1536
; %bb.1519:
	v_cmp_gt_i16_e32 vcc, 27, v11
	s_cbranch_vccnz .LBB6_1522
; %bb.1520:
	v_cmp_lt_i16_e32 vcc, 27, v11
	s_cbranch_vccz .LBB6_1523
; %bb.1521:
	global_load_dword v6, v[2:3], off
	s_mov_b64 s[10:11], 0
	s_waitcnt vmcnt(0)
	v_cvt_f64_u32_e32 v[6:7], v6
	s_branch .LBB6_1524
.LBB6_1522:
	s_mov_b64 s[10:11], -1
                                        ; implicit-def: $vgpr6_vgpr7
	s_branch .LBB6_1527
.LBB6_1523:
	s_mov_b64 s[10:11], -1
                                        ; implicit-def: $vgpr6_vgpr7
.LBB6_1524:
	s_andn2_b64 vcc, exec, s[10:11]
	s_cbranch_vccnz .LBB6_1526
; %bb.1525:
	global_load_ushort v6, v[2:3], off
	s_waitcnt vmcnt(0)
	v_cvt_f64_u32_e32 v[6:7], v6
.LBB6_1526:
	s_mov_b64 s[10:11], 0
.LBB6_1527:
	s_andn2_b64 vcc, exec, s[10:11]
	s_cbranch_vccnz .LBB6_1535
; %bb.1528:
	global_load_ubyte v12, v[2:3], off
	s_movk_i32 s3, 0x7f
	s_mov_b64 s[10:11], 0
                                        ; implicit-def: $sgpr18_sgpr19
	s_waitcnt vmcnt(0)
	v_cmp_lt_i16_e32 vcc, s3, v12
	s_and_saveexec_b64 s[20:21], vcc
	s_xor_b64 s[20:21], exec, s[20:21]
	s_cbranch_execz .LBB6_1549
; %bb.1529:
	s_movk_i32 s3, 0x80
	v_cmp_eq_u16_e32 vcc, s3, v12
	s_mov_b64 s[22:23], -1
                                        ; implicit-def: $sgpr18_sgpr19
	s_and_saveexec_b64 s[10:11], vcc
; %bb.1530:
	s_mov_b32 s19, 0x7ff80000
	s_brev_b32 s18, 4
	s_xor_b64 s[22:23], exec, -1
; %bb.1531:
	s_or_b64 exec, exec, s[10:11]
	s_and_b64 s[10:11], s[22:23], exec
	s_or_saveexec_b64 s[20:21], s[20:21]
	v_pk_mov_b32 v[6:7], s[18:19], s[18:19] op_sel:[0,1]
	s_xor_b64 exec, exec, s[20:21]
	s_cbranch_execnz .LBB6_1550
.LBB6_1532:
	s_or_b64 exec, exec, s[20:21]
	s_and_saveexec_b64 s[18:19], s[10:11]
	s_cbranch_execz .LBB6_1534
.LBB6_1533:
	v_and_b32_e32 v7, 0xffff, v12
	v_lshlrev_b32_e32 v6, 24, v12
	v_and_b32_e32 v12, 7, v7
	v_ffbh_u32_e32 v14, v12
	v_min_u32_e32 v14, 32, v14
	v_subrev_u32_e32 v15, 28, v14
	v_bfe_u32 v13, v7, 3, 4
	v_lshlrev_b32_e32 v7, v15, v7
	v_sub_u32_e32 v14, 29, v14
	v_and_b32_e32 v7, 7, v7
	v_cmp_eq_u32_e32 vcc, 0, v13
	v_cndmask_b32_e32 v13, v13, v14, vcc
	v_cndmask_b32_e32 v7, v12, v7, vcc
	v_mov_b32_e32 v12, 0x3b800000
	v_lshlrev_b32_e32 v7, 20, v7
	v_and_b32_e32 v6, 0x80000000, v6
	v_lshl_add_u32 v12, v13, 23, v12
	v_or3_b32 v6, v6, v12, v7
	v_cvt_f64_f32_e32 v[6:7], v6
.LBB6_1534:
	s_or_b64 exec, exec, s[18:19]
.LBB6_1535:
	s_mov_b64 s[10:11], -1
.LBB6_1536:
	s_mov_b64 s[18:19], 0
.LBB6_1537:
	s_and_b64 vcc, exec, s[18:19]
	s_cbranch_vccz .LBB6_1570
; %bb.1538:
	v_cmp_lt_i16_e32 vcc, 22, v11
	s_cbranch_vccz .LBB6_1548
; %bb.1539:
	v_cmp_gt_i16_e32 vcc, 24, v11
	s_cbranch_vccnz .LBB6_1551
; %bb.1540:
	v_cmp_lt_i16_e32 vcc, 24, v11
	s_cbranch_vccz .LBB6_1552
; %bb.1541:
	global_load_ubyte v12, v[2:3], off
	s_movk_i32 s3, 0x7f
                                        ; implicit-def: $sgpr10_sgpr11
	s_waitcnt vmcnt(0)
	v_cmp_lt_i16_e32 vcc, s3, v12
	s_and_saveexec_b64 s[18:19], vcc
	s_xor_b64 s[18:19], exec, s[18:19]
	s_cbranch_execz .LBB6_1564
; %bb.1542:
	s_movk_i32 s3, 0x80
	v_cmp_eq_u16_e32 vcc, s3, v12
	s_mov_b64 s[20:21], -1
                                        ; implicit-def: $sgpr10_sgpr11
	s_and_saveexec_b64 s[4:5], vcc
; %bb.1543:
	s_mov_b32 s11, 0x7ff80000
	s_brev_b32 s10, 4
	s_xor_b64 s[20:21], exec, -1
; %bb.1544:
	s_or_b64 exec, exec, s[4:5]
	s_and_b64 s[4:5], s[20:21], exec
	s_or_saveexec_b64 s[18:19], s[18:19]
	v_pk_mov_b32 v[6:7], s[10:11], s[10:11] op_sel:[0,1]
	s_xor_b64 exec, exec, s[18:19]
	s_cbranch_execnz .LBB6_1565
.LBB6_1545:
	s_or_b64 exec, exec, s[18:19]
	s_and_saveexec_b64 s[10:11], s[4:5]
	s_cbranch_execz .LBB6_1547
.LBB6_1546:
	v_and_b32_e32 v7, 0xffff, v12
	v_lshlrev_b32_e32 v6, 24, v12
	v_and_b32_e32 v12, 3, v7
	v_ffbh_u32_e32 v14, v12
	v_min_u32_e32 v14, 32, v14
	v_subrev_u32_e32 v15, 29, v14
	v_bfe_u32 v13, v7, 2, 5
	v_lshlrev_b32_e32 v7, v15, v7
	v_sub_u32_e32 v14, 30, v14
	v_and_b32_e32 v7, 3, v7
	v_cmp_eq_u32_e32 vcc, 0, v13
	v_cndmask_b32_e32 v13, v13, v14, vcc
	v_cndmask_b32_e32 v7, v12, v7, vcc
	v_mov_b32_e32 v12, 0x37800000
	v_lshlrev_b32_e32 v7, 21, v7
	v_and_b32_e32 v6, 0x80000000, v6
	v_lshl_add_u32 v12, v13, 23, v12
	v_or3_b32 v6, v6, v12, v7
	v_cvt_f64_f32_e32 v[6:7], v6
.LBB6_1547:
	s_or_b64 exec, exec, s[10:11]
	s_mov_b64 s[4:5], 0
	s_branch .LBB6_1553
.LBB6_1548:
	s_mov_b64 s[4:5], -1
                                        ; implicit-def: $vgpr6_vgpr7
	s_branch .LBB6_1559
.LBB6_1549:
	s_or_saveexec_b64 s[20:21], s[20:21]
	v_pk_mov_b32 v[6:7], s[18:19], s[18:19] op_sel:[0,1]
	s_xor_b64 exec, exec, s[20:21]
	s_cbranch_execz .LBB6_1532
.LBB6_1550:
	v_cmp_ne_u16_e32 vcc, 0, v12
	s_andn2_b64 s[10:11], s[10:11], exec
	s_and_b64 s[18:19], vcc, exec
	v_pk_mov_b32 v[6:7], 0, 0
	s_or_b64 s[10:11], s[10:11], s[18:19]
	s_or_b64 exec, exec, s[20:21]
	s_and_saveexec_b64 s[18:19], s[10:11]
	s_cbranch_execnz .LBB6_1533
	s_branch .LBB6_1534
.LBB6_1551:
	s_mov_b64 s[4:5], -1
                                        ; implicit-def: $vgpr6_vgpr7
	s_branch .LBB6_1556
.LBB6_1552:
	s_mov_b64 s[4:5], -1
                                        ; implicit-def: $vgpr6_vgpr7
.LBB6_1553:
	s_and_b64 vcc, exec, s[4:5]
	s_cbranch_vccz .LBB6_1555
; %bb.1554:
	global_load_ubyte v6, v[2:3], off
	s_mov_b32 s3, 0x7f800000
	s_waitcnt vmcnt(0)
	v_lshlrev_b32_e32 v6, 24, v6
	v_and_b32_e32 v7, 0x7f000000, v6
	v_ffbh_u32_e32 v12, v7
	v_min_u32_e32 v12, 32, v12
	v_sub_u32_e64 v12, v12, 4 clamp
	v_lshlrev_b32_e32 v14, v12, v7
	v_lshlrev_b32_e32 v12, 23, v12
	v_lshrrev_b32_e32 v14, 4, v14
	v_add_u32_e32 v13, 0x1000000, v7
	v_sub_u32_e32 v12, v14, v12
	v_ashrrev_i32_e32 v13, 8, v13
	v_add_u32_e32 v12, 0x3c000000, v12
	v_and_or_b32 v12, v13, s3, v12
	v_cmp_ne_u32_e32 vcc, 0, v7
	v_cndmask_b32_e32 v7, 0, v12, vcc
	s_brev_b32 s3, 1
	v_and_or_b32 v6, v6, s3, v7
	v_cvt_f64_f32_e32 v[6:7], v6
.LBB6_1555:
	s_mov_b64 s[4:5], 0
.LBB6_1556:
	s_andn2_b64 vcc, exec, s[4:5]
	s_cbranch_vccnz .LBB6_1558
; %bb.1557:
	global_load_ubyte v6, v[2:3], off
	s_movk_i32 s3, 0x7f00
	s_brev_b32 s4, 16
	s_waitcnt vmcnt(0)
	v_lshlrev_b16_e32 v7, 8, v6
	v_lshlrev_b32_e32 v6, 25, v6
	v_lshrrev_b32_e32 v12, 4, v6
	v_and_or_b32 v13, v7, s3, 0.5
	v_or_b32_e32 v12, 0x70000000, v12
	v_add_f32_e32 v13, -0.5, v13
	v_mul_f32_e32 v12, 0x7800000, v12
	v_cmp_gt_u32_e32 vcc, s4, v6
	v_bfe_i32 v7, v7, 0, 16
	v_cndmask_b32_e32 v6, v12, v13, vcc
	s_brev_b32 s3, 1
	v_and_or_b32 v6, v7, s3, v6
	v_cvt_f64_f32_e32 v[6:7], v6
.LBB6_1558:
	s_mov_b64 s[4:5], 0
	s_mov_b64 s[10:11], -1
.LBB6_1559:
	s_andn2_b64 vcc, exec, s[4:5]
	s_mov_b64 s[4:5], 0
	s_cbranch_vccnz .LBB6_1570
; %bb.1560:
	v_cmp_lt_i16_e32 vcc, 14, v11
	s_cbranch_vccz .LBB6_1563
; %bb.1561:
	v_cmp_eq_u16_e32 vcc, 15, v11
	s_cbranch_vccz .LBB6_1566
; %bb.1562:
	global_load_ushort v6, v[2:3], off
	s_mov_b64 s[0:1], 0
	s_mov_b64 s[10:11], -1
	s_waitcnt vmcnt(0)
	v_lshlrev_b32_e32 v6, 16, v6
	v_cvt_f64_f32_e32 v[6:7], v6
	s_branch .LBB6_1567
.LBB6_1563:
	s_mov_b64 s[18:19], -1
                                        ; implicit-def: $vgpr6_vgpr7
	s_branch .LBB6_1568
.LBB6_1564:
	s_or_saveexec_b64 s[18:19], s[18:19]
	v_pk_mov_b32 v[6:7], s[10:11], s[10:11] op_sel:[0,1]
	s_xor_b64 exec, exec, s[18:19]
	s_cbranch_execz .LBB6_1545
.LBB6_1565:
	v_cmp_ne_u16_e32 vcc, 0, v12
	s_andn2_b64 s[4:5], s[4:5], exec
	s_and_b64 s[10:11], vcc, exec
	v_pk_mov_b32 v[6:7], 0, 0
	s_or_b64 s[4:5], s[4:5], s[10:11]
	s_or_b64 exec, exec, s[18:19]
	s_and_saveexec_b64 s[10:11], s[4:5]
	s_cbranch_execnz .LBB6_1546
	s_branch .LBB6_1547
.LBB6_1566:
	s_mov_b64 s[0:1], -1
                                        ; implicit-def: $vgpr6_vgpr7
.LBB6_1567:
	s_mov_b64 s[18:19], 0
.LBB6_1568:
	s_and_b64 vcc, exec, s[18:19]
	s_cbranch_vccz .LBB6_1570
; %bb.1569:
	v_cmp_ne_u16_e64 s[0:1], 11, v11
	s_mov_b64 s[4:5], -1
                                        ; implicit-def: $vgpr6_vgpr7
.LBB6_1570:
	s_and_b64 vcc, exec, s[0:1]
	s_cbranch_vccnz .LBB6_1692
; %bb.1571:
	s_andn2_b64 vcc, exec, s[4:5]
	s_cbranch_vccnz .LBB6_1573
.LBB6_1572:
	global_load_ubyte v7, v[2:3], off
	v_mov_b32_e32 v12, 0x3ff00000
	v_mov_b32_e32 v6, 0
	s_mov_b64 s[10:11], -1
	s_waitcnt vmcnt(0)
	v_cmp_ne_u16_e32 vcc, 0, v7
	v_cndmask_b32_e32 v7, 0, v12, vcc
.LBB6_1573:
	s_mov_b64 s[0:1], 0
.LBB6_1574:
	s_and_b64 vcc, exec, s[0:1]
	s_cbranch_vccz .LBB6_1623
; %bb.1575:
	v_cmp_gt_i16_e32 vcc, 5, v11
	s_cbranch_vccnz .LBB6_1580
; %bb.1576:
	v_cmp_gt_i16_e32 vcc, 8, v11
	s_cbranch_vccnz .LBB6_1581
	;; [unrolled: 3-line block ×3, first 2 shown]
; %bb.1578:
	v_cmp_lt_i16_e32 vcc, 9, v11
	s_cbranch_vccz .LBB6_1583
; %bb.1579:
	global_load_dwordx2 v[6:7], v[2:3], off
	s_mov_b64 s[0:1], 0
	s_branch .LBB6_1584
.LBB6_1580:
	s_mov_b64 s[0:1], -1
                                        ; implicit-def: $vgpr6_vgpr7
	s_branch .LBB6_1602
.LBB6_1581:
	s_mov_b64 s[0:1], -1
                                        ; implicit-def: $vgpr6_vgpr7
	s_branch .LBB6_1590
.LBB6_1582:
	s_mov_b64 s[0:1], -1
                                        ; implicit-def: $vgpr6_vgpr7
	s_branch .LBB6_1587
.LBB6_1583:
	s_mov_b64 s[0:1], -1
                                        ; implicit-def: $vgpr6_vgpr7
.LBB6_1584:
	s_andn2_b64 vcc, exec, s[0:1]
	s_cbranch_vccnz .LBB6_1586
; %bb.1585:
	global_load_dword v6, v[2:3], off
	s_waitcnt vmcnt(0)
	v_cvt_f64_f32_e32 v[6:7], v6
.LBB6_1586:
	s_mov_b64 s[0:1], 0
.LBB6_1587:
	s_andn2_b64 vcc, exec, s[0:1]
	s_cbranch_vccnz .LBB6_1589
; %bb.1588:
	global_load_dword v6, v[2:3], off
	s_waitcnt vmcnt(0)
	v_cvt_f32_f16_e32 v6, v6
	v_cvt_f64_f32_e32 v[6:7], v6
.LBB6_1589:
	s_mov_b64 s[0:1], 0
.LBB6_1590:
	s_andn2_b64 vcc, exec, s[0:1]
	s_cbranch_vccnz .LBB6_1601
; %bb.1591:
	v_cmp_gt_i16_e32 vcc, 6, v11
	s_cbranch_vccnz .LBB6_1594
; %bb.1592:
	v_cmp_lt_i16_e32 vcc, 6, v11
	s_cbranch_vccz .LBB6_1595
; %bb.1593:
	global_load_dwordx2 v[6:7], v[2:3], off
	s_mov_b64 s[0:1], 0
	s_branch .LBB6_1596
.LBB6_1594:
	s_mov_b64 s[0:1], -1
                                        ; implicit-def: $vgpr6_vgpr7
	s_branch .LBB6_1599
.LBB6_1595:
	s_mov_b64 s[0:1], -1
                                        ; implicit-def: $vgpr6_vgpr7
.LBB6_1596:
	s_andn2_b64 vcc, exec, s[0:1]
	s_cbranch_vccnz .LBB6_1598
; %bb.1597:
	global_load_dword v6, v[2:3], off
	s_waitcnt vmcnt(0)
	v_cvt_f64_f32_e32 v[6:7], v6
.LBB6_1598:
	s_mov_b64 s[0:1], 0
.LBB6_1599:
	s_andn2_b64 vcc, exec, s[0:1]
	s_cbranch_vccnz .LBB6_1601
; %bb.1600:
	global_load_ushort v6, v[2:3], off
	s_waitcnt vmcnt(0)
	v_cvt_f32_f16_e32 v6, v6
	v_cvt_f64_f32_e32 v[6:7], v6
.LBB6_1601:
	s_mov_b64 s[0:1], 0
.LBB6_1602:
	s_andn2_b64 vcc, exec, s[0:1]
	s_cbranch_vccnz .LBB6_1622
; %bb.1603:
	v_cmp_gt_i16_e32 vcc, 2, v11
	s_cbranch_vccnz .LBB6_1607
; %bb.1604:
	v_cmp_gt_i16_e32 vcc, 3, v11
	s_cbranch_vccnz .LBB6_1608
; %bb.1605:
	v_cmp_lt_i16_e32 vcc, 3, v11
	s_cbranch_vccz .LBB6_1609
; %bb.1606:
	global_load_dwordx2 v[6:7], v[2:3], off
	s_mov_b64 s[0:1], 0
	s_waitcnt vmcnt(0)
	v_cvt_f64_i32_e32 v[12:13], v7
	v_cvt_f64_u32_e32 v[6:7], v6
	v_ldexp_f64 v[12:13], v[12:13], 32
	v_add_f64 v[6:7], v[12:13], v[6:7]
	s_branch .LBB6_1610
.LBB6_1607:
	s_mov_b64 s[0:1], -1
                                        ; implicit-def: $vgpr6_vgpr7
	s_branch .LBB6_1616
.LBB6_1608:
	s_mov_b64 s[0:1], -1
                                        ; implicit-def: $vgpr6_vgpr7
	s_branch .LBB6_1613
.LBB6_1609:
	s_mov_b64 s[0:1], -1
                                        ; implicit-def: $vgpr6_vgpr7
.LBB6_1610:
	s_andn2_b64 vcc, exec, s[0:1]
	s_cbranch_vccnz .LBB6_1612
; %bb.1611:
	global_load_dword v6, v[2:3], off
	s_waitcnt vmcnt(0)
	v_cvt_f64_i32_e32 v[6:7], v6
.LBB6_1612:
	s_mov_b64 s[0:1], 0
.LBB6_1613:
	s_andn2_b64 vcc, exec, s[0:1]
	s_cbranch_vccnz .LBB6_1615
; %bb.1614:
	global_load_sshort v6, v[2:3], off
	s_waitcnt vmcnt(0)
	v_cvt_f64_i32_e32 v[6:7], v6
.LBB6_1615:
	s_mov_b64 s[0:1], 0
.LBB6_1616:
	s_andn2_b64 vcc, exec, s[0:1]
	s_cbranch_vccnz .LBB6_1622
; %bb.1617:
	v_cmp_lt_i16_e32 vcc, 0, v11
	s_cbranch_vccz .LBB6_1619
; %bb.1618:
	global_load_sbyte v6, v[2:3], off
	s_mov_b64 s[0:1], 0
	s_waitcnt vmcnt(0)
	v_cvt_f64_i32_e32 v[6:7], v6
	s_branch .LBB6_1620
.LBB6_1619:
	s_mov_b64 s[0:1], -1
                                        ; implicit-def: $vgpr6_vgpr7
.LBB6_1620:
	s_andn2_b64 vcc, exec, s[0:1]
	s_cbranch_vccnz .LBB6_1622
; %bb.1621:
	global_load_ubyte v2, v[2:3], off
	s_waitcnt vmcnt(0)
	v_cvt_f64_u32_e32 v[6:7], v2
.LBB6_1622:
	s_mov_b64 s[10:11], -1
.LBB6_1623:
	s_andn2_b64 vcc, exec, s[10:11]
	s_cbranch_vccnz .LBB6_1643
; %bb.1624:
	s_waitcnt vmcnt(0)
	v_trunc_f64_e32 v[6:7], v[6:7]
	s_movk_i32 s0, 0xffe0
	v_ldexp_f64 v[2:3], v[6:7], s0
	v_floor_f64_e32 v[12:13], v[2:3]
	v_fmac_f64_e32 v[6:7], 0xc1f00000, v[12:13]
	v_cvt_i32_f64_e32 v3, v[12:13]
	v_cvt_u32_f64_e32 v2, v[6:7]
	v_cmp_lt_i64_e32 vcc, -1, v[2:3]
	v_pk_mov_b32 v[12:13], 0, 0
	s_and_saveexec_b64 s[0:1], vcc
	s_cbranch_execz .LBB6_1636
; %bb.1625:
	v_mov_b32_e32 v12, 0
	v_cmp_lt_i64_e32 vcc, 0, v[2:3]
	v_mov_b32_e32 v13, 0x3ff00000
	s_and_saveexec_b64 s[4:5], vcc
	s_cbranch_execz .LBB6_1635
; %bb.1626:
	v_cmp_ne_u64_e32 vcc, 1, v[2:3]
                                        ; implicit-def: $vgpr12_vgpr13
	s_and_saveexec_b64 s[10:11], vcc
	s_xor_b64 s[10:11], exec, s[10:11]
	s_cbranch_execz .LBB6_1632
; %bb.1627:
	s_mov_b64 s[18:19], 0x201
	v_mov_b32_e32 v12, 0
	v_cmp_gt_u64_e32 vcc, s[18:19], v[2:3]
	v_mov_b32_e32 v13, 0x7ff80000
	s_and_saveexec_b64 s[18:19], vcc
	s_cbranch_execz .LBB6_1631
; %bb.1628:
	v_mov_b32_e32 v6, 0
	s_mov_b64 s[22:23], 1
	s_mov_b64 s[20:21], 0
	v_pk_mov_b32 v[12:13], s[12:13], s[12:13] op_sel:[0,1]
	v_mov_b32_e32 v7, 0x3ff00000
.LBB6_1629:                             ; =>This Inner Loop Header: Depth=1
	v_cvt_f64_u32_e32 v[14:15], s23
	v_cvt_f64_u32_e32 v[16:17], s22
	s_add_u32 s22, s22, 1
	v_ldexp_f64 v[14:15], v[14:15], 32
	s_addc_u32 s23, s23, 0
	v_add_f64 v[14:15], v[14:15], v[16:17]
	v_cmp_eq_u64_e32 vcc, s[22:23], v[2:3]
	v_mul_f64 v[14:15], v[6:7], v[14:15]
	s_or_b64 s[20:21], vcc, s[20:21]
	v_pk_mov_b32 v[6:7], v[12:13], v[12:13] op_sel:[0,1]
	v_fma_f64 v[12:13], s[12:13], v[12:13], -v[14:15]
	s_andn2_b64 exec, exec, s[20:21]
	s_cbranch_execnz .LBB6_1629
; %bb.1630:
	s_or_b64 exec, exec, s[20:21]
.LBB6_1631:
	s_or_b64 exec, exec, s[18:19]
.LBB6_1632:
	s_andn2_saveexec_b64 s[10:11], s[10:11]
; %bb.1633:
	v_pk_mov_b32 v[12:13], s[12:13], s[12:13] op_sel:[0,1]
; %bb.1634:
	s_or_b64 exec, exec, s[10:11]
.LBB6_1635:
	s_or_b64 exec, exec, s[4:5]
.LBB6_1636:
	s_or_b64 exec, exec, s[0:1]
	v_mul_lo_u32 v10, s2, v10
	v_ashrrev_i32_e32 v2, 31, v10
	v_mov_b32_e32 v3, s9
	v_add_co_u32_e32 v6, vcc, s8, v10
	v_addc_co_u32_e32 v7, vcc, v3, v2, vcc
	v_mov_b32_e32 v2, 11
	v_cmp_lt_i16_sdwa s[0:1], s33, v2 src0_sel:BYTE_0 src1_sel:DWORD
	s_and_b64 vcc, exec, s[0:1]
	s_cbranch_vccnz .LBB6_1689
; %bb.1637:
	v_mov_b32_e32 v2, 25
	v_cmp_gt_i16_sdwa s[0:1], s33, v2 src0_sel:BYTE_0 src1_sel:DWORD
	s_mov_b64 s[12:13], -1
	s_mov_b64 s[4:5], 0
	s_and_b64 vcc, exec, s[0:1]
	s_mov_b64 s[10:11], 0
	s_mov_b64 s[0:1], 0
	s_cbranch_vccz .LBB6_1721
; %bb.1638:
	v_mov_b32_e32 v2, 28
	v_cmp_gt_i16_sdwa s[0:1], s33, v2 src0_sel:BYTE_0 src1_sel:DWORD
	s_and_b64 vcc, exec, s[0:1]
	s_cbranch_vccz .LBB6_1690
; %bb.1639:
	v_mov_b32_e32 v2, 43
	v_cmp_gt_i16_sdwa s[0:1], s33, v2 src0_sel:BYTE_0 src1_sel:DWORD
	s_and_b64 vcc, exec, s[0:1]
	;; [unrolled: 5-line block ×3, first 2 shown]
	s_cbranch_vccz .LBB6_1693
; %bb.1641:
	v_mov_b32_e32 v2, 46
	v_cmp_eq_u16_sdwa s[10:11], s33, v2 src0_sel:BYTE_0 src1_sel:DWORD
	s_mov_b64 s[0:1], -1
	s_mov_b64 s[12:13], 0
	s_and_b64 vcc, exec, s[10:11]
	s_mov_b64 s[10:11], 0
	s_cbranch_vccz .LBB6_1694
; %bb.1642:
	v_cvt_f32_f64_e32 v2, v[0:1]
	v_bfe_u32 v3, v2, 16, 1
	s_movk_i32 s0, 0x7fff
	v_add3_u32 v3, v2, v3, s0
	v_lshrrev_b32_e32 v3, 16, v3
	v_mov_b32_e32 v11, 0x7fc0
	v_cmp_o_f32_e32 vcc, v2, v2
	v_cndmask_b32_e32 v2, v11, v3, vcc
	global_store_dword v[6:7], v2, off
	s_mov_b64 s[0:1], 0
	s_mov_b64 s[10:11], -1
	s_branch .LBB6_1694
.LBB6_1643:
	s_mov_b64 s[0:1], 0
                                        ; implicit-def: $vgpr2
                                        ; implicit-def: $vgpr0_vgpr1
                                        ; implicit-def: $vgpr12_vgpr13
.LBB6_1644:
	s_mov_b64 s[2:3], 0
.LBB6_1645:
	s_and_b64 s[4:5], s[2:3], exec
	s_andn2_b64 s[2:3], s[14:15], exec
	s_and_b64 s[8:9], s[16:17], exec
	s_and_b64 s[0:1], s[0:1], exec
	s_or_b64 s[14:15], s[2:3], s[8:9]
.LBB6_1646:
	s_or_b64 exec, exec, s[6:7]
	s_and_saveexec_b64 s[2:3], s[14:15]
	s_cbranch_execz .LBB6_1649
; %bb.1647:
	; divergent unreachable
	s_or_b64 exec, exec, s[2:3]
	s_and_saveexec_b64 s[2:3], s[4:5]
	s_xor_b64 s[2:3], exec, s[2:3]
	s_cbranch_execnz .LBB6_1650
.LBB6_1648:
	s_or_b64 exec, exec, s[2:3]
	s_and_saveexec_b64 s[2:3], s[0:1]
	s_cbranch_execnz .LBB6_1651
	s_branch .LBB6_1688
.LBB6_1649:
	s_or_b64 exec, exec, s[2:3]
	s_and_saveexec_b64 s[2:3], s[4:5]
	s_xor_b64 s[2:3], exec, s[2:3]
	s_cbranch_execz .LBB6_1648
.LBB6_1650:
	v_cmp_neq_f64_e32 vcc, 0, v[12:13]
	s_waitcnt vmcnt(0)
	v_cndmask_b32_e64 v3, 0, 1, vcc
	global_store_byte v[0:1], v3, off
	s_or_b64 exec, exec, s[2:3]
	s_and_saveexec_b64 s[2:3], s[0:1]
	s_cbranch_execz .LBB6_1688
.LBB6_1651:
	s_waitcnt vmcnt(0)
	v_cmp_gt_i16_e32 vcc, 5, v2
	s_mov_b64 s[0:1], -1
	s_cbranch_vccnz .LBB6_1672
; %bb.1652:
	v_cmp_gt_i16_e32 vcc, 8, v2
	s_cbranch_vccnz .LBB6_1662
; %bb.1653:
	v_cmp_gt_i16_e32 vcc, 9, v2
	s_cbranch_vccnz .LBB6_1659
; %bb.1654:
	v_cmp_lt_i16_e32 vcc, 9, v2
	s_cbranch_vccz .LBB6_1656
; %bb.1655:
	v_mov_b32_e32 v14, 0
	v_mov_b32_e32 v15, v14
	global_store_dwordx4 v[0:1], v[12:15], off
	s_mov_b64 s[0:1], 0
.LBB6_1656:
	s_andn2_b64 vcc, exec, s[0:1]
	s_cbranch_vccnz .LBB6_1658
; %bb.1657:
	v_cvt_f32_f64_e32 v4, v[12:13]
	v_mov_b32_e32 v5, 0
	global_store_dwordx2 v[0:1], v[4:5], off
.LBB6_1658:
	s_mov_b64 s[0:1], 0
.LBB6_1659:
	s_andn2_b64 vcc, exec, s[0:1]
	s_cbranch_vccnz .LBB6_1661
; %bb.1660:
	v_cvt_f32_f64_e32 v3, v[12:13]
	v_cvt_f16_f32_e32 v3, v3
	global_store_dword v[0:1], v3, off
.LBB6_1661:
	s_mov_b64 s[0:1], 0
.LBB6_1662:
	s_andn2_b64 vcc, exec, s[0:1]
	s_cbranch_vccnz .LBB6_1671
; %bb.1663:
	v_cmp_gt_i16_e32 vcc, 6, v2
	s_mov_b64 s[0:1], -1
	s_cbranch_vccnz .LBB6_1669
; %bb.1664:
	v_cmp_lt_i16_e32 vcc, 6, v2
	s_cbranch_vccz .LBB6_1666
; %bb.1665:
	global_store_dwordx2 v[0:1], v[12:13], off
	s_mov_b64 s[0:1], 0
.LBB6_1666:
	s_andn2_b64 vcc, exec, s[0:1]
	s_cbranch_vccnz .LBB6_1668
; %bb.1667:
	v_cvt_f32_f64_e32 v3, v[12:13]
	global_store_dword v[0:1], v3, off
.LBB6_1668:
	s_mov_b64 s[0:1], 0
.LBB6_1669:
	s_andn2_b64 vcc, exec, s[0:1]
	s_cbranch_vccnz .LBB6_1671
; %bb.1670:
	v_cvt_f32_f64_e32 v3, v[12:13]
	v_cvt_f16_f32_e32 v3, v3
	global_store_short v[0:1], v3, off
.LBB6_1671:
	s_mov_b64 s[0:1], 0
.LBB6_1672:
	s_andn2_b64 vcc, exec, s[0:1]
	s_cbranch_vccnz .LBB6_1688
; %bb.1673:
	v_cmp_gt_i16_e32 vcc, 2, v2
	s_mov_b64 s[0:1], -1
	s_cbranch_vccnz .LBB6_1683
; %bb.1674:
	v_cmp_gt_i16_e32 vcc, 3, v2
	s_cbranch_vccnz .LBB6_1680
; %bb.1675:
	v_cmp_lt_i16_e32 vcc, 3, v2
	s_cbranch_vccz .LBB6_1677
; %bb.1676:
	v_trunc_f64_e32 v[4:5], v[12:13]
	s_movk_i32 s0, 0xffe0
	v_ldexp_f64 v[6:7], v[4:5], s0
	v_floor_f64_e32 v[6:7], v[6:7]
	v_fmac_f64_e32 v[4:5], 0xc1f00000, v[6:7]
	v_cvt_i32_f64_e32 v9, v[6:7]
	v_cvt_u32_f64_e32 v8, v[4:5]
	global_store_dwordx2 v[0:1], v[8:9], off
	s_mov_b64 s[0:1], 0
.LBB6_1677:
	s_andn2_b64 vcc, exec, s[0:1]
	s_cbranch_vccnz .LBB6_1679
; %bb.1678:
	v_cvt_i32_f64_e32 v3, v[12:13]
	global_store_dword v[0:1], v3, off
.LBB6_1679:
	s_mov_b64 s[0:1], 0
.LBB6_1680:
	s_andn2_b64 vcc, exec, s[0:1]
	s_cbranch_vccnz .LBB6_1682
; %bb.1681:
	v_cvt_i32_f64_e32 v3, v[12:13]
	global_store_short v[0:1], v3, off
.LBB6_1682:
	s_mov_b64 s[0:1], 0
.LBB6_1683:
	s_andn2_b64 vcc, exec, s[0:1]
	s_cbranch_vccnz .LBB6_1688
; %bb.1684:
	v_cmp_lt_i16_e32 vcc, 0, v2
	s_mov_b64 s[0:1], -1
	s_cbranch_vccz .LBB6_1686
; %bb.1685:
	v_cvt_i32_f64_e32 v2, v[12:13]
	global_store_byte v[0:1], v2, off
	s_mov_b64 s[0:1], 0
.LBB6_1686:
	s_andn2_b64 vcc, exec, s[0:1]
	s_cbranch_vccnz .LBB6_1688
; %bb.1687:
	v_trunc_f64_e32 v[2:3], v[12:13]
	s_movk_i32 s0, 0xffe0
	v_ldexp_f64 v[4:5], v[2:3], s0
	v_floor_f64_e32 v[4:5], v[4:5]
	v_fmac_f64_e32 v[2:3], 0xc1f00000, v[4:5]
	v_cvt_u32_f64_e32 v2, v[2:3]
	global_store_byte v[0:1], v2, off
	s_endpgm
.LBB6_1688:
	s_endpgm
.LBB6_1689:
	s_mov_b64 s[0:1], -1
	s_mov_b64 s[10:11], 0
	s_branch .LBB6_1765
.LBB6_1690:
	s_mov_b64 s[0:1], 0
	s_branch .LBB6_1704
.LBB6_1691:
	s_mov_b64 s[0:1], 0
	s_branch .LBB6_1700
.LBB6_1692:
	s_trap 2
	s_or_b64 s[16:17], s[16:17], exec
                                        ; implicit-def: $vgpr6_vgpr7
	s_cbranch_execz .LBB6_1572
	s_branch .LBB6_1573
.LBB6_1693:
	s_mov_b64 s[0:1], 0
.LBB6_1694:
	s_and_b64 vcc, exec, s[12:13]
	s_cbranch_vccz .LBB6_1699
; %bb.1695:
	v_mov_b32_e32 v2, 44
	v_cmp_eq_u16_sdwa s[12:13], s33, v2 src0_sel:BYTE_0 src1_sel:DWORD
	s_mov_b64 s[0:1], -1
	s_and_b64 vcc, exec, s[12:13]
	s_cbranch_vccz .LBB6_1699
; %bb.1696:
	v_cvt_f32_f64_e32 v2, v[0:1]
	v_bfe_u32 v3, v2, 23, 8
	s_movk_i32 s0, 0xff
	v_cmp_ne_u32_e32 vcc, s0, v3
	v_mov_b32_e32 v11, 0xff
	s_and_saveexec_b64 s[10:11], vcc
; %bb.1697:
	s_mov_b32 s0, 0x3fffff
	v_lshrrev_b32_e32 v11, 23, v2
	v_and_b32_e32 v14, 0x400000, v2
	v_and_or_b32 v2, v2, s0, v3
	v_cmp_ne_u32_e32 vcc, 0, v14
	v_cmp_ne_u32_e64 s[0:1], 0, v2
	s_and_b64 s[0:1], vcc, s[0:1]
	v_cndmask_b32_e64 v2, 0, 1, s[0:1]
	v_add_u32_e32 v11, v11, v2
; %bb.1698:
	s_or_b64 exec, exec, s[10:11]
	s_mov_b64 s[0:1], 0
	s_mov_b64 s[10:11], -1
	global_store_byte v[6:7], v11, off
.LBB6_1699:
	s_mov_b64 s[12:13], 0
.LBB6_1700:
	s_and_b64 vcc, exec, s[12:13]
	s_cbranch_vccz .LBB6_1703
; %bb.1701:
	v_mov_b32_e32 v2, 29
	v_cmp_eq_u16_sdwa s[12:13], s33, v2 src0_sel:BYTE_0 src1_sel:DWORD
	s_mov_b64 s[0:1], -1
	s_and_b64 vcc, exec, s[12:13]
	s_cbranch_vccz .LBB6_1703
; %bb.1702:
	v_trunc_f64_e32 v[2:3], v[0:1]
	s_movk_i32 s0, 0xffe0
	v_ldexp_f64 v[14:15], v[2:3], s0
	v_floor_f64_e32 v[14:15], v[14:15]
	v_fmac_f64_e32 v[2:3], 0xc1f00000, v[14:15]
	v_cvt_u32_f64_e32 v17, v[14:15]
	v_cvt_u32_f64_e32 v16, v[2:3]
	global_store_dwordx2 v[6:7], v[16:17], off
	s_mov_b64 s[0:1], 0
	s_mov_b64 s[10:11], -1
.LBB6_1703:
	s_mov_b64 s[12:13], 0
.LBB6_1704:
	s_and_b64 vcc, exec, s[12:13]
	s_cbranch_vccz .LBB6_1720
; %bb.1705:
	v_mov_b32_e32 v2, 27
	v_cmp_lt_i16_sdwa s[12:13], s33, v2 src0_sel:BYTE_0 src1_sel:DWORD
	s_mov_b64 s[10:11], -1
	s_and_b64 vcc, exec, s[12:13]
	s_cbranch_vccnz .LBB6_1711
; %bb.1706:
	v_cmp_gt_i16_sdwa s[12:13], s33, v2 src0_sel:BYTE_0 src1_sel:DWORD
	s_and_b64 vcc, exec, s[12:13]
	v_cvt_u32_f64_e32 v2, v[0:1]
	s_cbranch_vccz .LBB6_1708
; %bb.1707:
	s_mov_b64 s[10:11], 0
	global_store_dword v[6:7], v2, off
.LBB6_1708:
	s_andn2_b64 vcc, exec, s[10:11]
	s_cbranch_vccnz .LBB6_1710
; %bb.1709:
	global_store_short v[6:7], v2, off
.LBB6_1710:
	s_mov_b64 s[10:11], 0
.LBB6_1711:
	s_andn2_b64 vcc, exec, s[10:11]
	s_cbranch_vccnz .LBB6_1719
; %bb.1712:
	v_cvt_f32_f64_e32 v2, v[0:1]
	v_and_b32_e32 v3, 0x7fffffff, v2
	s_mov_b32 s3, 0x43800000
	v_cmp_gt_u32_e32 vcc, s3, v3
	v_mov_b32_e32 v11, 0x80
	s_and_saveexec_b64 s[10:11], vcc
	s_cbranch_execz .LBB6_1718
; %bb.1713:
	s_mov_b32 s3, 0x3bffffff
	v_cmp_lt_u32_e32 vcc, s3, v3
	s_mov_b64 s[12:13], 0
                                        ; implicit-def: $vgpr3
	s_and_saveexec_b64 s[18:19], vcc
	s_xor_b64 s[18:19], exec, s[18:19]
	s_cbranch_execz .LBB6_1814
; %bb.1714:
	v_bfe_u32 v3, v2, 20, 1
	s_mov_b32 s3, 0x487ffff
	v_add3_u32 v3, v2, v3, s3
	s_mov_b64 s[12:13], exec
	v_lshrrev_b32_e32 v3, 20, v3
	s_or_saveexec_b64 s[18:19], s[18:19]
                                        ; implicit-def: $sgpr3
	s_xor_b64 exec, exec, s[18:19]
	s_cbranch_execnz .LBB6_1815
.LBB6_1715:
	s_or_b64 exec, exec, s[18:19]
	v_mov_b32_e32 v11, s3
	s_and_saveexec_b64 s[18:19], s[12:13]
.LBB6_1716:
	v_lshrrev_b32_e32 v2, 24, v2
	s_movk_i32 s3, 0x80
	v_and_or_b32 v11, v2, s3, v3
.LBB6_1717:
	s_or_b64 exec, exec, s[18:19]
.LBB6_1718:
	s_or_b64 exec, exec, s[10:11]
	global_store_byte v[6:7], v11, off
.LBB6_1719:
	s_mov_b64 s[10:11], -1
.LBB6_1720:
	s_mov_b64 s[12:13], 0
.LBB6_1721:
	s_and_b64 vcc, exec, s[12:13]
	s_cbranch_vccz .LBB6_1761
; %bb.1722:
	v_mov_b32_e32 v2, 22
	v_cmp_gt_i16_sdwa s[12:13], s33, v2 src0_sel:BYTE_0 src1_sel:DWORD
	s_mov_b64 s[4:5], -1
	s_and_b64 vcc, exec, s[12:13]
	s_cbranch_vccz .LBB6_1754
; %bb.1723:
	v_mov_b32_e32 v2, 24
	v_cmp_lt_i16_sdwa s[10:11], s33, v2 src0_sel:BYTE_0 src1_sel:DWORD
	s_and_b64 vcc, exec, s[10:11]
	s_cbranch_vccnz .LBB6_1743
; %bb.1724:
	v_cmp_gt_i16_sdwa s[10:11], s33, v2 src0_sel:BYTE_0 src1_sel:DWORD
	s_and_b64 vcc, exec, s[10:11]
	s_cbranch_vccz .LBB6_1732
; %bb.1725:
	v_cvt_f32_f64_e32 v2, v[0:1]
	v_and_b32_e32 v3, 0x7fffffff, v2
	s_mov_b32 s3, 0x47800000
	v_cmp_gt_u32_e32 vcc, s3, v3
	v_mov_b32_e32 v11, 0x80
	s_and_saveexec_b64 s[4:5], vcc
	s_cbranch_execz .LBB6_1731
; %bb.1726:
	s_mov_b32 s3, 0x37ffffff
	v_cmp_lt_u32_e32 vcc, s3, v3
	s_mov_b64 s[10:11], 0
                                        ; implicit-def: $vgpr3
	s_and_saveexec_b64 s[12:13], vcc
	s_xor_b64 s[12:13], exec, s[12:13]
	s_cbranch_execz .LBB6_1818
; %bb.1727:
	v_bfe_u32 v3, v2, 21, 1
	s_mov_b32 s3, 0x88fffff
	v_add3_u32 v3, v2, v3, s3
	s_mov_b64 s[10:11], exec
	v_lshrrev_b32_e32 v3, 21, v3
	s_or_saveexec_b64 s[12:13], s[12:13]
                                        ; implicit-def: $sgpr3
	s_xor_b64 exec, exec, s[12:13]
	s_cbranch_execnz .LBB6_1819
.LBB6_1728:
	s_or_b64 exec, exec, s[12:13]
	v_mov_b32_e32 v11, s3
	s_and_saveexec_b64 s[12:13], s[10:11]
.LBB6_1729:
	v_lshrrev_b32_e32 v2, 24, v2
	s_movk_i32 s3, 0x80
	v_and_or_b32 v11, v2, s3, v3
.LBB6_1730:
	s_or_b64 exec, exec, s[12:13]
.LBB6_1731:
	s_or_b64 exec, exec, s[4:5]
	s_mov_b64 s[4:5], 0
	global_store_byte v[6:7], v11, off
.LBB6_1732:
	s_and_b64 vcc, exec, s[4:5]
	s_cbranch_vccz .LBB6_1742
; %bb.1733:
	v_cvt_f32_f64_e32 v2, v[0:1]
	v_and_b32_e32 v11, 0x7fffffff, v2
	s_mov_b32 s3, 0x43f00000
	v_cmp_gt_u32_e32 vcc, s3, v11
                                        ; implicit-def: $vgpr3
	s_and_saveexec_b64 s[4:5], vcc
	s_xor_b64 s[4:5], exec, s[4:5]
	s_cbranch_execz .LBB6_1739
; %bb.1734:
	s_mov_b32 s3, 0x3c7fffff
	v_cmp_lt_u32_e32 vcc, s3, v11
                                        ; implicit-def: $vgpr3
	s_and_saveexec_b64 s[10:11], vcc
	s_xor_b64 s[10:11], exec, s[10:11]
; %bb.1735:
	v_bfe_u32 v3, v2, 20, 1
	s_mov_b32 s3, 0x407ffff
	v_add3_u32 v3, v2, v3, s3
	v_lshrrev_b32_e32 v11, 20, v3
	v_and_b32_e32 v3, 0xff00000, v3
	s_mov_b32 s3, 0x7f00000
	v_mov_b32_e32 v14, 0x7e
	v_cmp_ne_u32_e32 vcc, s3, v3
	v_cndmask_b32_e32 v3, v14, v11, vcc
; %bb.1736:
	s_andn2_saveexec_b64 s[10:11], s[10:11]
; %bb.1737:
	s_mov_b32 s3, 0x46800000
	v_add_f32_e64 v3, |v2|, s3
; %bb.1738:
	s_or_b64 exec, exec, s[10:11]
                                        ; implicit-def: $vgpr11
.LBB6_1739:
	s_andn2_saveexec_b64 s[4:5], s[4:5]
; %bb.1740:
	s_mov_b32 s3, 0x7f800000
	v_mov_b32_e32 v3, 0x7e
	v_mov_b32_e32 v14, 0x7f
	v_cmp_lt_u32_e32 vcc, s3, v11
	v_cndmask_b32_e32 v3, v3, v14, vcc
; %bb.1741:
	s_or_b64 exec, exec, s[4:5]
	v_lshrrev_b32_e32 v2, 24, v2
	s_movk_i32 s3, 0x80
	v_and_or_b32 v2, v2, s3, v3
	global_store_byte v[6:7], v2, off
.LBB6_1742:
	s_mov_b64 s[4:5], 0
.LBB6_1743:
	s_andn2_b64 vcc, exec, s[4:5]
	s_cbranch_vccnz .LBB6_1753
; %bb.1744:
	v_cvt_f32_f64_e32 v2, v[0:1]
	v_and_b32_e32 v11, 0x7fffffff, v2
	s_mov_b32 s3, 0x47800000
	v_cmp_gt_u32_e32 vcc, s3, v11
                                        ; implicit-def: $vgpr3
	s_and_saveexec_b64 s[4:5], vcc
	s_xor_b64 s[4:5], exec, s[4:5]
	s_cbranch_execz .LBB6_1750
; %bb.1745:
	s_mov_b32 s3, 0x387fffff
	v_cmp_lt_u32_e32 vcc, s3, v11
                                        ; implicit-def: $vgpr3
	s_and_saveexec_b64 s[10:11], vcc
	s_xor_b64 s[10:11], exec, s[10:11]
; %bb.1746:
	v_bfe_u32 v3, v2, 21, 1
	s_mov_b32 s3, 0x80fffff
	v_add3_u32 v3, v2, v3, s3
	v_lshrrev_b32_e32 v3, 21, v3
; %bb.1747:
	s_andn2_saveexec_b64 s[10:11], s[10:11]
; %bb.1748:
	s_mov_b32 s3, 0x43000000
	v_add_f32_e64 v3, |v2|, s3
; %bb.1749:
	s_or_b64 exec, exec, s[10:11]
                                        ; implicit-def: $vgpr11
.LBB6_1750:
	s_andn2_saveexec_b64 s[4:5], s[4:5]
; %bb.1751:
	s_mov_b32 s3, 0x7f800000
	v_mov_b32_e32 v3, 0x7c
	v_mov_b32_e32 v14, 0x7f
	v_cmp_lt_u32_e32 vcc, s3, v11
	v_cndmask_b32_e32 v3, v3, v14, vcc
; %bb.1752:
	s_or_b64 exec, exec, s[4:5]
	v_lshrrev_b32_e32 v2, 24, v2
	s_movk_i32 s3, 0x80
	v_and_or_b32 v2, v2, s3, v3
	global_store_byte v[6:7], v2, off
.LBB6_1753:
	s_mov_b64 s[4:5], 0
	s_mov_b64 s[10:11], -1
.LBB6_1754:
	s_andn2_b64 vcc, exec, s[4:5]
	s_mov_b64 s[4:5], 0
	s_cbranch_vccnz .LBB6_1761
; %bb.1755:
	v_mov_b32_e32 v2, 14
	v_cmp_gt_i16_sdwa s[4:5], s33, v2 src0_sel:BYTE_0 src1_sel:DWORD
	s_mov_b64 s[12:13], -1
	s_and_b64 vcc, exec, s[4:5]
	s_cbranch_vccz .LBB6_1759
; %bb.1756:
	v_mov_b32_e32 v2, 15
	v_cmp_eq_u16_sdwa s[4:5], s33, v2 src0_sel:BYTE_0 src1_sel:DWORD
	s_mov_b64 s[0:1], -1
	s_and_b64 vcc, exec, s[4:5]
	s_cbranch_vccz .LBB6_1758
; %bb.1757:
	v_cvt_f32_f64_e32 v2, v[0:1]
	v_bfe_u32 v3, v2, 16, 1
	s_movk_i32 s0, 0x7fff
	v_add3_u32 v3, v2, v3, s0
	v_lshrrev_b32_e32 v3, 16, v3
	v_mov_b32_e32 v11, 0x7fc0
	v_cmp_o_f32_e32 vcc, v2, v2
	v_cndmask_b32_e32 v2, v11, v3, vcc
	global_store_short v[6:7], v2, off
	s_mov_b64 s[0:1], 0
	s_mov_b64 s[10:11], -1
.LBB6_1758:
	s_mov_b64 s[12:13], 0
.LBB6_1759:
	s_mov_b64 s[4:5], 0
	s_and_b64 vcc, exec, s[12:13]
	s_cbranch_vccz .LBB6_1761
; %bb.1760:
	v_mov_b32_e32 v2, 11
	v_cmp_ne_u16_sdwa s[0:1], s33, v2 src0_sel:BYTE_0 src1_sel:DWORD
	s_mov_b64 s[4:5], -1
.LBB6_1761:
	s_and_b64 vcc, exec, s[0:1]
	s_cbranch_vccnz .LBB6_1817
; %bb.1762:
	s_andn2_b64 vcc, exec, s[4:5]
	s_cbranch_vccnz .LBB6_1764
.LBB6_1763:
	v_cmp_neq_f64_e32 vcc, 0, v[0:1]
	v_cndmask_b32_e64 v2, 0, 1, vcc
	s_mov_b64 s[10:11], -1
	global_store_byte v[6:7], v2, off
.LBB6_1764:
	s_mov_b64 s[0:1], 0
.LBB6_1765:
	s_and_b64 vcc, exec, s[0:1]
	s_cbranch_vccz .LBB6_1804
; %bb.1766:
	v_mov_b32_e32 v2, 5
	v_cmp_lt_i16_sdwa s[4:5], s33, v2 src0_sel:BYTE_0 src1_sel:DWORD
	s_mov_b64 s[0:1], -1
	s_and_b64 vcc, exec, s[4:5]
	s_cbranch_vccnz .LBB6_1787
; %bb.1767:
	v_mov_b32_e32 v2, 8
	v_cmp_lt_i16_sdwa s[4:5], s33, v2 src0_sel:BYTE_0 src1_sel:DWORD
	s_and_b64 vcc, exec, s[4:5]
	s_cbranch_vccnz .LBB6_1777
; %bb.1768:
	v_mov_b32_e32 v2, 9
	v_cmp_lt_i16_sdwa s[4:5], s33, v2 src0_sel:BYTE_0 src1_sel:DWORD
	s_and_b64 vcc, exec, s[4:5]
	s_cbranch_vccnz .LBB6_1774
; %bb.1769:
	v_cmp_gt_i16_sdwa s[4:5], s33, v2 src0_sel:BYTE_0 src1_sel:DWORD
	s_and_b64 vcc, exec, s[4:5]
	s_cbranch_vccz .LBB6_1771
; %bb.1770:
	v_mov_b32_e32 v2, 0
	v_mov_b32_e32 v3, v2
	global_store_dwordx4 v[6:7], v[0:3], off
	s_mov_b64 s[0:1], 0
.LBB6_1771:
	s_andn2_b64 vcc, exec, s[0:1]
	s_cbranch_vccnz .LBB6_1773
; %bb.1772:
	v_cvt_f32_f64_e32 v2, v[0:1]
	v_mov_b32_e32 v3, 0
	global_store_dwordx2 v[6:7], v[2:3], off
.LBB6_1773:
	s_mov_b64 s[0:1], 0
.LBB6_1774:
	s_andn2_b64 vcc, exec, s[0:1]
	s_cbranch_vccnz .LBB6_1776
; %bb.1775:
	v_cvt_f32_f64_e32 v2, v[0:1]
	v_cvt_f16_f32_e32 v2, v2
	global_store_dword v[6:7], v2, off
.LBB6_1776:
	s_mov_b64 s[0:1], 0
.LBB6_1777:
	s_andn2_b64 vcc, exec, s[0:1]
	s_cbranch_vccnz .LBB6_1786
; %bb.1778:
	v_mov_b32_e32 v2, 6
	v_cmp_lt_i16_sdwa s[4:5], s33, v2 src0_sel:BYTE_0 src1_sel:DWORD
	s_mov_b64 s[0:1], -1
	s_and_b64 vcc, exec, s[4:5]
	s_cbranch_vccnz .LBB6_1784
; %bb.1779:
	v_cmp_gt_i16_sdwa s[4:5], s33, v2 src0_sel:BYTE_0 src1_sel:DWORD
	s_and_b64 vcc, exec, s[4:5]
	s_cbranch_vccz .LBB6_1781
; %bb.1780:
	global_store_dwordx2 v[6:7], v[0:1], off
	s_mov_b64 s[0:1], 0
.LBB6_1781:
	s_andn2_b64 vcc, exec, s[0:1]
	s_cbranch_vccnz .LBB6_1783
; %bb.1782:
	v_cvt_f32_f64_e32 v2, v[0:1]
	global_store_dword v[6:7], v2, off
.LBB6_1783:
	s_mov_b64 s[0:1], 0
.LBB6_1784:
	s_andn2_b64 vcc, exec, s[0:1]
	s_cbranch_vccnz .LBB6_1786
; %bb.1785:
	v_cvt_f32_f64_e32 v2, v[0:1]
	v_cvt_f16_f32_e32 v2, v2
	global_store_short v[6:7], v2, off
.LBB6_1786:
	s_mov_b64 s[0:1], 0
.LBB6_1787:
	s_andn2_b64 vcc, exec, s[0:1]
	s_cbranch_vccnz .LBB6_1803
; %bb.1788:
	v_mov_b32_e32 v2, 2
	v_cmp_lt_i16_sdwa s[4:5], s33, v2 src0_sel:BYTE_0 src1_sel:DWORD
	s_mov_b64 s[0:1], -1
	s_and_b64 vcc, exec, s[4:5]
	s_cbranch_vccnz .LBB6_1798
; %bb.1789:
	v_mov_b32_e32 v2, 3
	v_cmp_lt_i16_sdwa s[4:5], s33, v2 src0_sel:BYTE_0 src1_sel:DWORD
	s_and_b64 vcc, exec, s[4:5]
	s_cbranch_vccnz .LBB6_1795
; %bb.1790:
	v_cmp_gt_i16_sdwa s[4:5], s33, v2 src0_sel:BYTE_0 src1_sel:DWORD
	s_and_b64 vcc, exec, s[4:5]
	s_cbranch_vccz .LBB6_1792
; %bb.1791:
	v_trunc_f64_e32 v[2:3], v[0:1]
	s_movk_i32 s0, 0xffe0
	v_ldexp_f64 v[14:15], v[2:3], s0
	v_floor_f64_e32 v[14:15], v[14:15]
	v_fmac_f64_e32 v[2:3], 0xc1f00000, v[14:15]
	v_cvt_i32_f64_e32 v17, v[14:15]
	v_cvt_u32_f64_e32 v16, v[2:3]
	global_store_dwordx2 v[6:7], v[16:17], off
	s_mov_b64 s[0:1], 0
.LBB6_1792:
	s_andn2_b64 vcc, exec, s[0:1]
	s_cbranch_vccnz .LBB6_1794
; %bb.1793:
	v_cvt_i32_f64_e32 v2, v[0:1]
	global_store_dword v[6:7], v2, off
.LBB6_1794:
	s_mov_b64 s[0:1], 0
.LBB6_1795:
	s_andn2_b64 vcc, exec, s[0:1]
	s_cbranch_vccnz .LBB6_1797
; %bb.1796:
	v_cvt_i32_f64_e32 v2, v[0:1]
	global_store_short v[6:7], v2, off
.LBB6_1797:
	s_mov_b64 s[0:1], 0
.LBB6_1798:
	s_andn2_b64 vcc, exec, s[0:1]
	s_cbranch_vccnz .LBB6_1803
; %bb.1799:
	v_mov_b32_e32 v2, 0
	v_cmp_gt_i16_sdwa s[4:5], s33, v2 src0_sel:BYTE_0 src1_sel:DWORD
	s_mov_b64 s[0:1], -1
	s_and_b64 vcc, exec, s[4:5]
	s_cbranch_vccz .LBB6_1801
; %bb.1800:
	v_cvt_i32_f64_e32 v2, v[0:1]
	global_store_byte v[6:7], v2, off
	s_mov_b64 s[0:1], 0
.LBB6_1801:
	s_andn2_b64 vcc, exec, s[0:1]
	s_cbranch_vccnz .LBB6_1803
; %bb.1802:
	v_trunc_f64_e32 v[0:1], v[0:1]
	s_movk_i32 s0, 0xffe0
	v_ldexp_f64 v[2:3], v[0:1], s0
	v_floor_f64_e32 v[2:3], v[2:3]
	v_fmac_f64_e32 v[0:1], 0xc1f00000, v[2:3]
	v_cvt_u32_f64_e32 v0, v[0:1]
	global_store_byte v[6:7], v0, off
.LBB6_1803:
	s_mov_b64 s[10:11], -1
.LBB6_1804:
	s_andn2_b64 vcc, exec, s[10:11]
	s_cbranch_vccnz .LBB6_2135
; %bb.1805:
	s_lshl_b32 s18, s2, 7
	v_add_u32_e32 v2, s18, v10
	v_ashrrev_i32_e32 v1, 31, v2
	v_mov_b32_e32 v3, s9
	v_add_co_u32_e32 v0, vcc, s8, v2
	v_addc_co_u32_e32 v1, vcc, v3, v1, vcc
	v_mov_b32_e32 v3, 11
	v_cmp_lt_i16_sdwa s[0:1], s33, v3 src0_sel:BYTE_0 src1_sel:DWORD
	s_and_b64 vcc, exec, s[0:1]
	s_cbranch_vccnz .LBB6_1812
; %bb.1806:
	v_mov_b32_e32 v3, 25
	v_cmp_gt_i16_sdwa s[0:1], s33, v3 src0_sel:BYTE_0 src1_sel:DWORD
	s_mov_b64 s[10:11], -1
	s_mov_b64 s[2:3], 0
	s_and_b64 vcc, exec, s[0:1]
	s_mov_b64 s[4:5], 0
	s_mov_b64 s[0:1], 0
	s_cbranch_vccz .LBB6_1848
; %bb.1807:
	v_mov_b32_e32 v3, 28
	v_cmp_gt_i16_sdwa s[0:1], s33, v3 src0_sel:BYTE_0 src1_sel:DWORD
	s_and_b64 vcc, exec, s[0:1]
	s_cbranch_vccz .LBB6_1813
; %bb.1808:
	v_mov_b32_e32 v3, 43
	v_cmp_gt_i16_sdwa s[0:1], s33, v3 src0_sel:BYTE_0 src1_sel:DWORD
	s_and_b64 vcc, exec, s[0:1]
	;; [unrolled: 5-line block ×3, first 2 shown]
	s_cbranch_vccz .LBB6_1820
; %bb.1810:
	v_mov_b32_e32 v3, 46
	v_cmp_eq_u16_sdwa s[4:5], s33, v3 src0_sel:BYTE_0 src1_sel:DWORD
	s_mov_b64 s[0:1], -1
	s_mov_b64 s[10:11], 0
	s_and_b64 vcc, exec, s[4:5]
	s_mov_b64 s[4:5], 0
	s_cbranch_vccz .LBB6_1821
; %bb.1811:
	v_cvt_f32_f64_e32 v3, v[4:5]
	v_bfe_u32 v6, v3, 16, 1
	s_movk_i32 s0, 0x7fff
	v_add3_u32 v6, v3, v6, s0
	v_lshrrev_b32_e32 v6, 16, v6
	v_mov_b32_e32 v7, 0x7fc0
	v_cmp_o_f32_e32 vcc, v3, v3
	v_cndmask_b32_e32 v3, v7, v6, vcc
	global_store_dword v[0:1], v3, off
	s_mov_b64 s[0:1], 0
	s_mov_b64 s[4:5], -1
	s_branch .LBB6_1821
.LBB6_1812:
	s_mov_b64 s[0:1], -1
	s_mov_b64 s[4:5], 0
	s_branch .LBB6_1892
.LBB6_1813:
	s_mov_b64 s[0:1], 0
	s_branch .LBB6_1831
.LBB6_1814:
	s_or_saveexec_b64 s[18:19], s[18:19]
                                        ; implicit-def: $sgpr3
	s_xor_b64 exec, exec, s[18:19]
	s_cbranch_execz .LBB6_1715
.LBB6_1815:
	s_mov_b32 s3, 0x46000000
	v_add_f32_e64 v3, |v2|, s3
	v_and_b32_e32 v3, 0xff, v3
	v_cmp_ne_u32_e32 vcc, 0, v3
	s_andn2_b64 s[12:13], s[12:13], exec
	s_and_b64 s[20:21], vcc, exec
	s_mov_b32 s3, 0
	s_or_b64 s[12:13], s[12:13], s[20:21]
	s_or_b64 exec, exec, s[18:19]
	v_mov_b32_e32 v11, s3
	s_and_saveexec_b64 s[18:19], s[12:13]
	s_cbranch_execnz .LBB6_1716
	s_branch .LBB6_1717
.LBB6_1816:
	s_mov_b64 s[0:1], 0
	s_branch .LBB6_1827
.LBB6_1817:
	s_trap 2
	s_or_b64 s[16:17], s[16:17], exec
	s_cbranch_execz .LBB6_1763
	s_branch .LBB6_1764
.LBB6_1818:
	s_or_saveexec_b64 s[12:13], s[12:13]
                                        ; implicit-def: $sgpr3
	s_xor_b64 exec, exec, s[12:13]
	s_cbranch_execz .LBB6_1728
.LBB6_1819:
	s_mov_b32 s3, 0x42800000
	v_add_f32_e64 v3, |v2|, s3
	v_and_b32_e32 v3, 0xff, v3
	v_cmp_ne_u32_e32 vcc, 0, v3
	s_andn2_b64 s[10:11], s[10:11], exec
	s_and_b64 s[18:19], vcc, exec
	s_mov_b32 s3, 0
	s_or_b64 s[10:11], s[10:11], s[18:19]
	s_or_b64 exec, exec, s[12:13]
	v_mov_b32_e32 v11, s3
	s_and_saveexec_b64 s[12:13], s[10:11]
	s_cbranch_execnz .LBB6_1729
	s_branch .LBB6_1730
.LBB6_1820:
	s_mov_b64 s[0:1], 0
.LBB6_1821:
	s_and_b64 vcc, exec, s[10:11]
	s_cbranch_vccz .LBB6_1826
; %bb.1822:
	v_mov_b32_e32 v3, 44
	v_cmp_eq_u16_sdwa s[10:11], s33, v3 src0_sel:BYTE_0 src1_sel:DWORD
	s_mov_b64 s[0:1], -1
	s_and_b64 vcc, exec, s[10:11]
	s_cbranch_vccz .LBB6_1826
; %bb.1823:
	v_cvt_f32_f64_e32 v3, v[4:5]
	v_bfe_u32 v6, v3, 23, 8
	s_movk_i32 s0, 0xff
	v_cmp_ne_u32_e32 vcc, s0, v6
	v_mov_b32_e32 v7, 0xff
	s_and_saveexec_b64 s[4:5], vcc
; %bb.1824:
	s_mov_b32 s0, 0x3fffff
	v_lshrrev_b32_e32 v7, 23, v3
	v_and_b32_e32 v10, 0x400000, v3
	v_and_or_b32 v3, v3, s0, v6
	v_cmp_ne_u32_e32 vcc, 0, v10
	v_cmp_ne_u32_e64 s[0:1], 0, v3
	s_and_b64 s[0:1], vcc, s[0:1]
	v_cndmask_b32_e64 v3, 0, 1, s[0:1]
	v_add_u32_e32 v7, v7, v3
; %bb.1825:
	s_or_b64 exec, exec, s[4:5]
	s_mov_b64 s[0:1], 0
	s_mov_b64 s[4:5], -1
	global_store_byte v[0:1], v7, off
.LBB6_1826:
	s_mov_b64 s[10:11], 0
.LBB6_1827:
	s_and_b64 vcc, exec, s[10:11]
	s_cbranch_vccz .LBB6_1830
; %bb.1828:
	v_mov_b32_e32 v3, 29
	v_cmp_eq_u16_sdwa s[10:11], s33, v3 src0_sel:BYTE_0 src1_sel:DWORD
	s_mov_b64 s[0:1], -1
	s_and_b64 vcc, exec, s[10:11]
	s_cbranch_vccz .LBB6_1830
; %bb.1829:
	v_trunc_f64_e32 v[6:7], v[4:5]
	s_movk_i32 s0, 0xffe0
	v_ldexp_f64 v[10:11], v[6:7], s0
	v_floor_f64_e32 v[10:11], v[10:11]
	v_fmac_f64_e32 v[6:7], 0xc1f00000, v[10:11]
	v_cvt_u32_f64_e32 v15, v[10:11]
	v_cvt_u32_f64_e32 v14, v[6:7]
	global_store_dwordx2 v[0:1], v[14:15], off
	s_mov_b64 s[0:1], 0
	s_mov_b64 s[4:5], -1
.LBB6_1830:
	s_mov_b64 s[10:11], 0
.LBB6_1831:
	s_and_b64 vcc, exec, s[10:11]
	s_cbranch_vccz .LBB6_1847
; %bb.1832:
	v_mov_b32_e32 v3, 27
	v_cmp_lt_i16_sdwa s[10:11], s33, v3 src0_sel:BYTE_0 src1_sel:DWORD
	s_mov_b64 s[4:5], -1
	s_and_b64 vcc, exec, s[10:11]
	s_cbranch_vccnz .LBB6_1838
; %bb.1833:
	v_cmp_gt_i16_sdwa s[10:11], s33, v3 src0_sel:BYTE_0 src1_sel:DWORD
	s_and_b64 vcc, exec, s[10:11]
	v_cvt_u32_f64_e32 v3, v[4:5]
	s_cbranch_vccz .LBB6_1835
; %bb.1834:
	s_mov_b64 s[4:5], 0
	global_store_dword v[0:1], v3, off
.LBB6_1835:
	s_andn2_b64 vcc, exec, s[4:5]
	s_cbranch_vccnz .LBB6_1837
; %bb.1836:
	global_store_short v[0:1], v3, off
.LBB6_1837:
	s_mov_b64 s[4:5], 0
.LBB6_1838:
	s_andn2_b64 vcc, exec, s[4:5]
	s_cbranch_vccnz .LBB6_1846
; %bb.1839:
	v_cvt_f32_f64_e32 v3, v[4:5]
	v_and_b32_e32 v6, 0x7fffffff, v3
	s_mov_b32 s4, 0x43800000
	v_cmp_gt_u32_e32 vcc, s4, v6
	v_mov_b32_e32 v7, 0x80
	s_and_saveexec_b64 s[4:5], vcc
	s_cbranch_execz .LBB6_1845
; %bb.1840:
	s_mov_b32 s10, 0x3bffffff
	v_cmp_lt_u32_e32 vcc, s10, v6
	s_mov_b64 s[10:11], 0
                                        ; implicit-def: $vgpr6
	s_and_saveexec_b64 s[12:13], vcc
	s_xor_b64 s[12:13], exec, s[12:13]
	s_cbranch_execz .LBB6_1941
; %bb.1841:
	v_bfe_u32 v6, v3, 20, 1
	s_mov_b32 s19, 0x487ffff
	v_add3_u32 v6, v3, v6, s19
	s_mov_b64 s[10:11], exec
	v_lshrrev_b32_e32 v6, 20, v6
	s_or_saveexec_b64 s[12:13], s[12:13]
                                        ; implicit-def: $sgpr19
	s_xor_b64 exec, exec, s[12:13]
	s_cbranch_execnz .LBB6_1942
.LBB6_1842:
	s_or_b64 exec, exec, s[12:13]
	v_mov_b32_e32 v7, s19
	s_and_saveexec_b64 s[12:13], s[10:11]
.LBB6_1843:
	v_lshrrev_b32_e32 v3, 24, v3
	s_movk_i32 s10, 0x80
	v_and_or_b32 v7, v3, s10, v6
.LBB6_1844:
	s_or_b64 exec, exec, s[12:13]
.LBB6_1845:
	s_or_b64 exec, exec, s[4:5]
	global_store_byte v[0:1], v7, off
.LBB6_1846:
	s_mov_b64 s[4:5], -1
.LBB6_1847:
	s_mov_b64 s[10:11], 0
.LBB6_1848:
	s_and_b64 vcc, exec, s[10:11]
	s_cbranch_vccz .LBB6_1888
; %bb.1849:
	v_mov_b32_e32 v3, 22
	v_cmp_gt_i16_sdwa s[10:11], s33, v3 src0_sel:BYTE_0 src1_sel:DWORD
	s_mov_b64 s[2:3], -1
	s_and_b64 vcc, exec, s[10:11]
	s_cbranch_vccz .LBB6_1881
; %bb.1850:
	v_mov_b32_e32 v3, 24
	v_cmp_lt_i16_sdwa s[4:5], s33, v3 src0_sel:BYTE_0 src1_sel:DWORD
	s_and_b64 vcc, exec, s[4:5]
	s_cbranch_vccnz .LBB6_1870
; %bb.1851:
	v_cmp_gt_i16_sdwa s[4:5], s33, v3 src0_sel:BYTE_0 src1_sel:DWORD
	s_and_b64 vcc, exec, s[4:5]
	s_cbranch_vccz .LBB6_1859
; %bb.1852:
	v_cvt_f32_f64_e32 v3, v[4:5]
	v_and_b32_e32 v6, 0x7fffffff, v3
	s_mov_b32 s2, 0x47800000
	v_cmp_gt_u32_e32 vcc, s2, v6
	v_mov_b32_e32 v7, 0x80
	s_and_saveexec_b64 s[2:3], vcc
	s_cbranch_execz .LBB6_1858
; %bb.1853:
	s_mov_b32 s4, 0x37ffffff
	v_cmp_lt_u32_e32 vcc, s4, v6
	s_mov_b64 s[4:5], 0
                                        ; implicit-def: $vgpr6
	s_and_saveexec_b64 s[10:11], vcc
	s_xor_b64 s[10:11], exec, s[10:11]
	s_cbranch_execz .LBB6_1945
; %bb.1854:
	v_bfe_u32 v6, v3, 21, 1
	s_mov_b32 s12, 0x88fffff
	v_add3_u32 v6, v3, v6, s12
	s_mov_b64 s[4:5], exec
	v_lshrrev_b32_e32 v6, 21, v6
	s_or_saveexec_b64 s[10:11], s[10:11]
                                        ; implicit-def: $sgpr12
	s_xor_b64 exec, exec, s[10:11]
	s_cbranch_execnz .LBB6_1946
.LBB6_1855:
	s_or_b64 exec, exec, s[10:11]
	v_mov_b32_e32 v7, s12
	s_and_saveexec_b64 s[10:11], s[4:5]
.LBB6_1856:
	v_lshrrev_b32_e32 v3, 24, v3
	s_movk_i32 s4, 0x80
	v_and_or_b32 v7, v3, s4, v6
.LBB6_1857:
	s_or_b64 exec, exec, s[10:11]
.LBB6_1858:
	s_or_b64 exec, exec, s[2:3]
	s_mov_b64 s[2:3], 0
	global_store_byte v[0:1], v7, off
.LBB6_1859:
	s_and_b64 vcc, exec, s[2:3]
	s_cbranch_vccz .LBB6_1869
; %bb.1860:
	v_cvt_f32_f64_e32 v3, v[4:5]
	v_and_b32_e32 v7, 0x7fffffff, v3
	s_mov_b32 s2, 0x43f00000
	v_cmp_gt_u32_e32 vcc, s2, v7
                                        ; implicit-def: $vgpr6
	s_and_saveexec_b64 s[2:3], vcc
	s_xor_b64 s[2:3], exec, s[2:3]
	s_cbranch_execz .LBB6_1866
; %bb.1861:
	s_mov_b32 s4, 0x3c7fffff
	v_cmp_lt_u32_e32 vcc, s4, v7
                                        ; implicit-def: $vgpr6
	s_and_saveexec_b64 s[4:5], vcc
	s_xor_b64 s[4:5], exec, s[4:5]
; %bb.1862:
	v_bfe_u32 v6, v3, 20, 1
	s_mov_b32 s10, 0x407ffff
	v_add3_u32 v6, v3, v6, s10
	v_lshrrev_b32_e32 v7, 20, v6
	v_and_b32_e32 v6, 0xff00000, v6
	s_mov_b32 s10, 0x7f00000
	v_mov_b32_e32 v10, 0x7e
	v_cmp_ne_u32_e32 vcc, s10, v6
	v_cndmask_b32_e32 v6, v10, v7, vcc
; %bb.1863:
	s_andn2_saveexec_b64 s[4:5], s[4:5]
; %bb.1864:
	s_mov_b32 s10, 0x46800000
	v_add_f32_e64 v6, |v3|, s10
; %bb.1865:
	s_or_b64 exec, exec, s[4:5]
                                        ; implicit-def: $vgpr7
.LBB6_1866:
	s_andn2_saveexec_b64 s[2:3], s[2:3]
; %bb.1867:
	s_mov_b32 s4, 0x7f800000
	v_mov_b32_e32 v6, 0x7e
	v_mov_b32_e32 v10, 0x7f
	v_cmp_lt_u32_e32 vcc, s4, v7
	v_cndmask_b32_e32 v6, v6, v10, vcc
; %bb.1868:
	s_or_b64 exec, exec, s[2:3]
	v_lshrrev_b32_e32 v3, 24, v3
	s_movk_i32 s2, 0x80
	v_and_or_b32 v3, v3, s2, v6
	global_store_byte v[0:1], v3, off
.LBB6_1869:
	s_mov_b64 s[2:3], 0
.LBB6_1870:
	s_andn2_b64 vcc, exec, s[2:3]
	s_cbranch_vccnz .LBB6_1880
; %bb.1871:
	v_cvt_f32_f64_e32 v3, v[4:5]
	v_and_b32_e32 v7, 0x7fffffff, v3
	s_mov_b32 s2, 0x47800000
	v_cmp_gt_u32_e32 vcc, s2, v7
                                        ; implicit-def: $vgpr6
	s_and_saveexec_b64 s[2:3], vcc
	s_xor_b64 s[2:3], exec, s[2:3]
	s_cbranch_execz .LBB6_1877
; %bb.1872:
	s_mov_b32 s4, 0x387fffff
	v_cmp_lt_u32_e32 vcc, s4, v7
                                        ; implicit-def: $vgpr6
	s_and_saveexec_b64 s[4:5], vcc
	s_xor_b64 s[4:5], exec, s[4:5]
; %bb.1873:
	v_bfe_u32 v6, v3, 21, 1
	s_mov_b32 s10, 0x80fffff
	v_add3_u32 v6, v3, v6, s10
	v_lshrrev_b32_e32 v6, 21, v6
; %bb.1874:
	s_andn2_saveexec_b64 s[4:5], s[4:5]
; %bb.1875:
	s_mov_b32 s10, 0x43000000
	v_add_f32_e64 v6, |v3|, s10
; %bb.1876:
	s_or_b64 exec, exec, s[4:5]
                                        ; implicit-def: $vgpr7
.LBB6_1877:
	s_andn2_saveexec_b64 s[2:3], s[2:3]
; %bb.1878:
	s_mov_b32 s4, 0x7f800000
	v_mov_b32_e32 v6, 0x7c
	v_mov_b32_e32 v10, 0x7f
	v_cmp_lt_u32_e32 vcc, s4, v7
	v_cndmask_b32_e32 v6, v6, v10, vcc
; %bb.1879:
	s_or_b64 exec, exec, s[2:3]
	v_lshrrev_b32_e32 v3, 24, v3
	s_movk_i32 s2, 0x80
	v_and_or_b32 v3, v3, s2, v6
	global_store_byte v[0:1], v3, off
.LBB6_1880:
	s_mov_b64 s[2:3], 0
	s_mov_b64 s[4:5], -1
.LBB6_1881:
	s_andn2_b64 vcc, exec, s[2:3]
	s_mov_b64 s[2:3], 0
	s_cbranch_vccnz .LBB6_1888
; %bb.1882:
	v_mov_b32_e32 v3, 14
	v_cmp_gt_i16_sdwa s[2:3], s33, v3 src0_sel:BYTE_0 src1_sel:DWORD
	s_mov_b64 s[10:11], -1
	s_and_b64 vcc, exec, s[2:3]
	s_cbranch_vccz .LBB6_1886
; %bb.1883:
	v_mov_b32_e32 v3, 15
	v_cmp_eq_u16_sdwa s[2:3], s33, v3 src0_sel:BYTE_0 src1_sel:DWORD
	s_mov_b64 s[0:1], -1
	s_and_b64 vcc, exec, s[2:3]
	s_cbranch_vccz .LBB6_1885
; %bb.1884:
	v_cvt_f32_f64_e32 v3, v[4:5]
	v_bfe_u32 v6, v3, 16, 1
	s_movk_i32 s0, 0x7fff
	v_add3_u32 v6, v3, v6, s0
	v_lshrrev_b32_e32 v6, 16, v6
	v_mov_b32_e32 v7, 0x7fc0
	v_cmp_o_f32_e32 vcc, v3, v3
	v_cndmask_b32_e32 v3, v7, v6, vcc
	global_store_short v[0:1], v3, off
	s_mov_b64 s[0:1], 0
	s_mov_b64 s[4:5], -1
.LBB6_1885:
	s_mov_b64 s[10:11], 0
.LBB6_1886:
	s_mov_b64 s[2:3], 0
	s_and_b64 vcc, exec, s[10:11]
	s_cbranch_vccz .LBB6_1888
; %bb.1887:
	v_mov_b32_e32 v3, 11
	v_cmp_ne_u16_sdwa s[0:1], s33, v3 src0_sel:BYTE_0 src1_sel:DWORD
	s_mov_b64 s[2:3], -1
.LBB6_1888:
	s_and_b64 vcc, exec, s[0:1]
	s_cbranch_vccnz .LBB6_1944
; %bb.1889:
	s_andn2_b64 vcc, exec, s[2:3]
	s_cbranch_vccnz .LBB6_1891
.LBB6_1890:
	v_cmp_neq_f64_e32 vcc, 0, v[4:5]
	v_cndmask_b32_e64 v3, 0, 1, vcc
	s_mov_b64 s[4:5], -1
	global_store_byte v[0:1], v3, off
.LBB6_1891:
	s_mov_b64 s[0:1], 0
.LBB6_1892:
	s_and_b64 vcc, exec, s[0:1]
	s_cbranch_vccz .LBB6_1931
; %bb.1893:
	v_mov_b32_e32 v3, 5
	v_cmp_lt_i16_sdwa s[2:3], s33, v3 src0_sel:BYTE_0 src1_sel:DWORD
	s_mov_b64 s[0:1], -1
	s_and_b64 vcc, exec, s[2:3]
	s_cbranch_vccnz .LBB6_1914
; %bb.1894:
	v_mov_b32_e32 v3, 8
	v_cmp_lt_i16_sdwa s[2:3], s33, v3 src0_sel:BYTE_0 src1_sel:DWORD
	s_and_b64 vcc, exec, s[2:3]
	s_cbranch_vccnz .LBB6_1904
; %bb.1895:
	v_mov_b32_e32 v3, 9
	v_cmp_lt_i16_sdwa s[2:3], s33, v3 src0_sel:BYTE_0 src1_sel:DWORD
	s_and_b64 vcc, exec, s[2:3]
	s_cbranch_vccnz .LBB6_1901
; %bb.1896:
	v_cmp_gt_i16_sdwa s[2:3], s33, v3 src0_sel:BYTE_0 src1_sel:DWORD
	s_and_b64 vcc, exec, s[2:3]
	s_cbranch_vccz .LBB6_1898
; %bb.1897:
	v_mov_b32_e32 v6, 0
	v_mov_b32_e32 v7, v6
	global_store_dwordx4 v[0:1], v[4:7], off
	s_mov_b64 s[0:1], 0
.LBB6_1898:
	s_andn2_b64 vcc, exec, s[0:1]
	s_cbranch_vccnz .LBB6_1900
; %bb.1899:
	v_cvt_f32_f64_e32 v6, v[4:5]
	v_mov_b32_e32 v7, 0
	global_store_dwordx2 v[0:1], v[6:7], off
.LBB6_1900:
	s_mov_b64 s[0:1], 0
.LBB6_1901:
	s_andn2_b64 vcc, exec, s[0:1]
	s_cbranch_vccnz .LBB6_1903
; %bb.1902:
	v_cvt_f32_f64_e32 v3, v[4:5]
	v_cvt_f16_f32_e32 v3, v3
	global_store_dword v[0:1], v3, off
.LBB6_1903:
	s_mov_b64 s[0:1], 0
.LBB6_1904:
	s_andn2_b64 vcc, exec, s[0:1]
	s_cbranch_vccnz .LBB6_1913
; %bb.1905:
	v_mov_b32_e32 v3, 6
	v_cmp_lt_i16_sdwa s[2:3], s33, v3 src0_sel:BYTE_0 src1_sel:DWORD
	s_mov_b64 s[0:1], -1
	s_and_b64 vcc, exec, s[2:3]
	s_cbranch_vccnz .LBB6_1911
; %bb.1906:
	v_cmp_gt_i16_sdwa s[2:3], s33, v3 src0_sel:BYTE_0 src1_sel:DWORD
	s_and_b64 vcc, exec, s[2:3]
	s_cbranch_vccz .LBB6_1908
; %bb.1907:
	global_store_dwordx2 v[0:1], v[4:5], off
	s_mov_b64 s[0:1], 0
.LBB6_1908:
	s_andn2_b64 vcc, exec, s[0:1]
	s_cbranch_vccnz .LBB6_1910
; %bb.1909:
	v_cvt_f32_f64_e32 v3, v[4:5]
	global_store_dword v[0:1], v3, off
.LBB6_1910:
	s_mov_b64 s[0:1], 0
.LBB6_1911:
	s_andn2_b64 vcc, exec, s[0:1]
	s_cbranch_vccnz .LBB6_1913
; %bb.1912:
	v_cvt_f32_f64_e32 v3, v[4:5]
	v_cvt_f16_f32_e32 v3, v3
	global_store_short v[0:1], v3, off
.LBB6_1913:
	s_mov_b64 s[0:1], 0
.LBB6_1914:
	s_andn2_b64 vcc, exec, s[0:1]
	s_cbranch_vccnz .LBB6_1930
; %bb.1915:
	v_mov_b32_e32 v3, 2
	v_cmp_lt_i16_sdwa s[2:3], s33, v3 src0_sel:BYTE_0 src1_sel:DWORD
	s_mov_b64 s[0:1], -1
	s_and_b64 vcc, exec, s[2:3]
	s_cbranch_vccnz .LBB6_1925
; %bb.1916:
	v_mov_b32_e32 v3, 3
	v_cmp_lt_i16_sdwa s[2:3], s33, v3 src0_sel:BYTE_0 src1_sel:DWORD
	s_and_b64 vcc, exec, s[2:3]
	s_cbranch_vccnz .LBB6_1922
; %bb.1917:
	v_cmp_gt_i16_sdwa s[2:3], s33, v3 src0_sel:BYTE_0 src1_sel:DWORD
	s_and_b64 vcc, exec, s[2:3]
	s_cbranch_vccz .LBB6_1919
; %bb.1918:
	v_trunc_f64_e32 v[6:7], v[4:5]
	s_movk_i32 s0, 0xffe0
	v_ldexp_f64 v[10:11], v[6:7], s0
	v_floor_f64_e32 v[10:11], v[10:11]
	v_fmac_f64_e32 v[6:7], 0xc1f00000, v[10:11]
	v_cvt_i32_f64_e32 v15, v[10:11]
	v_cvt_u32_f64_e32 v14, v[6:7]
	global_store_dwordx2 v[0:1], v[14:15], off
	s_mov_b64 s[0:1], 0
.LBB6_1919:
	s_andn2_b64 vcc, exec, s[0:1]
	s_cbranch_vccnz .LBB6_1921
; %bb.1920:
	v_cvt_i32_f64_e32 v3, v[4:5]
	global_store_dword v[0:1], v3, off
.LBB6_1921:
	s_mov_b64 s[0:1], 0
.LBB6_1922:
	s_andn2_b64 vcc, exec, s[0:1]
	s_cbranch_vccnz .LBB6_1924
; %bb.1923:
	v_cvt_i32_f64_e32 v3, v[4:5]
	global_store_short v[0:1], v3, off
.LBB6_1924:
	s_mov_b64 s[0:1], 0
.LBB6_1925:
	s_andn2_b64 vcc, exec, s[0:1]
	s_cbranch_vccnz .LBB6_1930
; %bb.1926:
	v_mov_b32_e32 v3, 0
	v_cmp_gt_i16_sdwa s[2:3], s33, v3 src0_sel:BYTE_0 src1_sel:DWORD
	s_mov_b64 s[0:1], -1
	s_and_b64 vcc, exec, s[2:3]
	s_cbranch_vccz .LBB6_1928
; %bb.1927:
	v_cvt_i32_f64_e32 v3, v[4:5]
	global_store_byte v[0:1], v3, off
	s_mov_b64 s[0:1], 0
.LBB6_1928:
	s_andn2_b64 vcc, exec, s[0:1]
	s_cbranch_vccnz .LBB6_1930
; %bb.1929:
	v_trunc_f64_e32 v[4:5], v[4:5]
	s_movk_i32 s0, 0xffe0
	v_ldexp_f64 v[6:7], v[4:5], s0
	v_floor_f64_e32 v[6:7], v[6:7]
	v_fmac_f64_e32 v[4:5], 0xc1f00000, v[6:7]
	v_cvt_u32_f64_e32 v3, v[4:5]
	global_store_byte v[0:1], v3, off
.LBB6_1930:
	s_mov_b64 s[4:5], -1
.LBB6_1931:
	s_andn2_b64 vcc, exec, s[4:5]
	s_cbranch_vccnz .LBB6_2135
; %bb.1932:
	v_add_u32_e32 v2, s18, v2
	v_ashrrev_i32_e32 v1, 31, v2
	v_mov_b32_e32 v3, s9
	v_add_co_u32_e32 v0, vcc, s8, v2
	v_addc_co_u32_e32 v1, vcc, v3, v1, vcc
	v_mov_b32_e32 v3, 11
	v_cmp_lt_i16_sdwa s[0:1], s33, v3 src0_sel:BYTE_0 src1_sel:DWORD
	s_and_b64 vcc, exec, s[0:1]
	s_cbranch_vccnz .LBB6_1939
; %bb.1933:
	v_mov_b32_e32 v3, 25
	v_cmp_gt_i16_sdwa s[0:1], s33, v3 src0_sel:BYTE_0 src1_sel:DWORD
	s_mov_b64 s[10:11], -1
	s_mov_b64 s[2:3], 0
	s_and_b64 vcc, exec, s[0:1]
	s_mov_b64 s[4:5], 0
	s_mov_b64 s[0:1], 0
	s_cbranch_vccz .LBB6_1975
; %bb.1934:
	v_mov_b32_e32 v3, 28
	v_cmp_gt_i16_sdwa s[0:1], s33, v3 src0_sel:BYTE_0 src1_sel:DWORD
	s_and_b64 vcc, exec, s[0:1]
	s_cbranch_vccz .LBB6_1940
; %bb.1935:
	v_mov_b32_e32 v3, 43
	v_cmp_gt_i16_sdwa s[0:1], s33, v3 src0_sel:BYTE_0 src1_sel:DWORD
	s_and_b64 vcc, exec, s[0:1]
	s_cbranch_vccz .LBB6_1943
; %bb.1936:
	v_mov_b32_e32 v3, 45
	v_cmp_gt_i16_sdwa s[0:1], s33, v3 src0_sel:BYTE_0 src1_sel:DWORD
	s_and_b64 vcc, exec, s[0:1]
	s_cbranch_vccz .LBB6_1947
; %bb.1937:
	v_mov_b32_e32 v3, 46
	v_cmp_eq_u16_sdwa s[4:5], s33, v3 src0_sel:BYTE_0 src1_sel:DWORD
	s_mov_b64 s[0:1], -1
	s_mov_b64 s[10:11], 0
	s_and_b64 vcc, exec, s[4:5]
	s_mov_b64 s[4:5], 0
	s_cbranch_vccz .LBB6_1948
; %bb.1938:
	v_cvt_f32_f64_e32 v3, v[8:9]
	v_bfe_u32 v4, v3, 16, 1
	s_movk_i32 s0, 0x7fff
	v_add3_u32 v4, v3, v4, s0
	v_lshrrev_b32_e32 v4, 16, v4
	v_mov_b32_e32 v5, 0x7fc0
	v_cmp_o_f32_e32 vcc, v3, v3
	v_cndmask_b32_e32 v3, v5, v4, vcc
	global_store_dword v[0:1], v3, off
	s_mov_b64 s[0:1], 0
	s_mov_b64 s[4:5], -1
	s_branch .LBB6_1948
.LBB6_1939:
	s_mov_b64 s[0:1], -1
	s_mov_b64 s[4:5], 0
	s_branch .LBB6_2019
.LBB6_1940:
	s_mov_b64 s[0:1], 0
	s_branch .LBB6_1958
.LBB6_1941:
	s_or_saveexec_b64 s[12:13], s[12:13]
                                        ; implicit-def: $sgpr19
	s_xor_b64 exec, exec, s[12:13]
	s_cbranch_execz .LBB6_1842
.LBB6_1942:
	s_mov_b32 s19, 0x46000000
	v_add_f32_e64 v6, |v3|, s19
	v_and_b32_e32 v6, 0xff, v6
	v_cmp_ne_u32_e32 vcc, 0, v6
	s_andn2_b64 s[10:11], s[10:11], exec
	s_and_b64 s[20:21], vcc, exec
	s_mov_b32 s19, 0
	s_or_b64 s[10:11], s[10:11], s[20:21]
	s_or_b64 exec, exec, s[12:13]
	v_mov_b32_e32 v7, s19
	s_and_saveexec_b64 s[12:13], s[10:11]
	s_cbranch_execnz .LBB6_1843
	s_branch .LBB6_1844
.LBB6_1943:
	s_mov_b64 s[0:1], 0
	s_branch .LBB6_1954
.LBB6_1944:
	s_trap 2
	s_or_b64 s[16:17], s[16:17], exec
	s_cbranch_execz .LBB6_1890
	s_branch .LBB6_1891
.LBB6_1945:
	s_or_saveexec_b64 s[10:11], s[10:11]
                                        ; implicit-def: $sgpr12
	s_xor_b64 exec, exec, s[10:11]
	s_cbranch_execz .LBB6_1855
.LBB6_1946:
	s_mov_b32 s12, 0x42800000
	v_add_f32_e64 v6, |v3|, s12
	v_and_b32_e32 v6, 0xff, v6
	v_cmp_ne_u32_e32 vcc, 0, v6
	s_andn2_b64 s[4:5], s[4:5], exec
	s_and_b64 s[20:21], vcc, exec
	s_mov_b32 s12, 0
	s_or_b64 s[4:5], s[4:5], s[20:21]
	s_or_b64 exec, exec, s[10:11]
	v_mov_b32_e32 v7, s12
	s_and_saveexec_b64 s[10:11], s[4:5]
	s_cbranch_execnz .LBB6_1856
	s_branch .LBB6_1857
.LBB6_1947:
	s_mov_b64 s[0:1], 0
.LBB6_1948:
	s_and_b64 vcc, exec, s[10:11]
	s_cbranch_vccz .LBB6_1953
; %bb.1949:
	v_mov_b32_e32 v3, 44
	v_cmp_eq_u16_sdwa s[10:11], s33, v3 src0_sel:BYTE_0 src1_sel:DWORD
	s_mov_b64 s[0:1], -1
	s_and_b64 vcc, exec, s[10:11]
	s_cbranch_vccz .LBB6_1953
; %bb.1950:
	v_cvt_f32_f64_e32 v3, v[8:9]
	v_bfe_u32 v4, v3, 23, 8
	s_movk_i32 s0, 0xff
	v_cmp_ne_u32_e32 vcc, s0, v4
	v_mov_b32_e32 v5, 0xff
	s_and_saveexec_b64 s[4:5], vcc
; %bb.1951:
	s_mov_b32 s0, 0x3fffff
	v_lshrrev_b32_e32 v5, 23, v3
	v_and_b32_e32 v6, 0x400000, v3
	v_and_or_b32 v3, v3, s0, v4
	v_cmp_ne_u32_e32 vcc, 0, v6
	v_cmp_ne_u32_e64 s[0:1], 0, v3
	s_and_b64 s[0:1], vcc, s[0:1]
	v_cndmask_b32_e64 v3, 0, 1, s[0:1]
	v_add_u32_e32 v5, v5, v3
; %bb.1952:
	s_or_b64 exec, exec, s[4:5]
	s_mov_b64 s[0:1], 0
	s_mov_b64 s[4:5], -1
	global_store_byte v[0:1], v5, off
.LBB6_1953:
	s_mov_b64 s[10:11], 0
.LBB6_1954:
	s_and_b64 vcc, exec, s[10:11]
	s_cbranch_vccz .LBB6_1957
; %bb.1955:
	v_mov_b32_e32 v3, 29
	v_cmp_eq_u16_sdwa s[10:11], s33, v3 src0_sel:BYTE_0 src1_sel:DWORD
	s_mov_b64 s[0:1], -1
	s_and_b64 vcc, exec, s[10:11]
	s_cbranch_vccz .LBB6_1957
; %bb.1956:
	v_trunc_f64_e32 v[4:5], v[8:9]
	s_movk_i32 s0, 0xffe0
	v_ldexp_f64 v[6:7], v[4:5], s0
	v_floor_f64_e32 v[6:7], v[6:7]
	v_fmac_f64_e32 v[4:5], 0xc1f00000, v[6:7]
	v_cvt_u32_f64_e32 v11, v[6:7]
	v_cvt_u32_f64_e32 v10, v[4:5]
	global_store_dwordx2 v[0:1], v[10:11], off
	s_mov_b64 s[0:1], 0
	s_mov_b64 s[4:5], -1
.LBB6_1957:
	s_mov_b64 s[10:11], 0
.LBB6_1958:
	s_and_b64 vcc, exec, s[10:11]
	s_cbranch_vccz .LBB6_1974
; %bb.1959:
	v_mov_b32_e32 v3, 27
	v_cmp_lt_i16_sdwa s[10:11], s33, v3 src0_sel:BYTE_0 src1_sel:DWORD
	s_mov_b64 s[4:5], -1
	s_and_b64 vcc, exec, s[10:11]
	s_cbranch_vccnz .LBB6_1965
; %bb.1960:
	v_cmp_gt_i16_sdwa s[10:11], s33, v3 src0_sel:BYTE_0 src1_sel:DWORD
	s_and_b64 vcc, exec, s[10:11]
	v_cvt_u32_f64_e32 v3, v[8:9]
	s_cbranch_vccz .LBB6_1962
; %bb.1961:
	s_mov_b64 s[4:5], 0
	global_store_dword v[0:1], v3, off
.LBB6_1962:
	s_andn2_b64 vcc, exec, s[4:5]
	s_cbranch_vccnz .LBB6_1964
; %bb.1963:
	global_store_short v[0:1], v3, off
.LBB6_1964:
	s_mov_b64 s[4:5], 0
.LBB6_1965:
	s_andn2_b64 vcc, exec, s[4:5]
	s_cbranch_vccnz .LBB6_1973
; %bb.1966:
	v_cvt_f32_f64_e32 v3, v[8:9]
	v_and_b32_e32 v4, 0x7fffffff, v3
	s_mov_b32 s4, 0x43800000
	v_cmp_gt_u32_e32 vcc, s4, v4
	v_mov_b32_e32 v5, 0x80
	s_and_saveexec_b64 s[4:5], vcc
	s_cbranch_execz .LBB6_1972
; %bb.1967:
	s_mov_b32 s10, 0x3bffffff
	v_cmp_lt_u32_e32 vcc, s10, v4
	s_mov_b64 s[10:11], 0
                                        ; implicit-def: $vgpr4
	s_and_saveexec_b64 s[12:13], vcc
	s_xor_b64 s[12:13], exec, s[12:13]
	s_cbranch_execz .LBB6_2137
; %bb.1968:
	v_bfe_u32 v4, v3, 20, 1
	s_mov_b32 s19, 0x487ffff
	v_add3_u32 v4, v3, v4, s19
	s_mov_b64 s[10:11], exec
	v_lshrrev_b32_e32 v4, 20, v4
	s_or_saveexec_b64 s[12:13], s[12:13]
                                        ; implicit-def: $sgpr19
	s_xor_b64 exec, exec, s[12:13]
	s_cbranch_execnz .LBB6_2138
.LBB6_1969:
	s_or_b64 exec, exec, s[12:13]
	v_mov_b32_e32 v5, s19
	s_and_saveexec_b64 s[12:13], s[10:11]
.LBB6_1970:
	v_lshrrev_b32_e32 v3, 24, v3
	s_movk_i32 s10, 0x80
	v_and_or_b32 v5, v3, s10, v4
.LBB6_1971:
	s_or_b64 exec, exec, s[12:13]
.LBB6_1972:
	s_or_b64 exec, exec, s[4:5]
	global_store_byte v[0:1], v5, off
.LBB6_1973:
	s_mov_b64 s[4:5], -1
.LBB6_1974:
	s_mov_b64 s[10:11], 0
.LBB6_1975:
	s_and_b64 vcc, exec, s[10:11]
	s_cbranch_vccz .LBB6_2015
; %bb.1976:
	v_mov_b32_e32 v3, 22
	v_cmp_gt_i16_sdwa s[10:11], s33, v3 src0_sel:BYTE_0 src1_sel:DWORD
	s_mov_b64 s[2:3], -1
	s_and_b64 vcc, exec, s[10:11]
	s_cbranch_vccz .LBB6_2008
; %bb.1977:
	v_mov_b32_e32 v3, 24
	v_cmp_lt_i16_sdwa s[4:5], s33, v3 src0_sel:BYTE_0 src1_sel:DWORD
	s_and_b64 vcc, exec, s[4:5]
	s_cbranch_vccnz .LBB6_1997
; %bb.1978:
	v_cmp_gt_i16_sdwa s[4:5], s33, v3 src0_sel:BYTE_0 src1_sel:DWORD
	s_and_b64 vcc, exec, s[4:5]
	s_cbranch_vccz .LBB6_1986
; %bb.1979:
	v_cvt_f32_f64_e32 v3, v[8:9]
	v_and_b32_e32 v4, 0x7fffffff, v3
	s_mov_b32 s2, 0x47800000
	v_cmp_gt_u32_e32 vcc, s2, v4
	v_mov_b32_e32 v5, 0x80
	s_and_saveexec_b64 s[2:3], vcc
	s_cbranch_execz .LBB6_1985
; %bb.1980:
	s_mov_b32 s4, 0x37ffffff
	v_cmp_lt_u32_e32 vcc, s4, v4
	s_mov_b64 s[4:5], 0
                                        ; implicit-def: $vgpr4
	s_and_saveexec_b64 s[10:11], vcc
	s_xor_b64 s[10:11], exec, s[10:11]
	s_cbranch_execz .LBB6_2140
; %bb.1981:
	v_bfe_u32 v4, v3, 21, 1
	s_mov_b32 s12, 0x88fffff
	v_add3_u32 v4, v3, v4, s12
	s_mov_b64 s[4:5], exec
	v_lshrrev_b32_e32 v4, 21, v4
	s_or_saveexec_b64 s[10:11], s[10:11]
                                        ; implicit-def: $sgpr12
	s_xor_b64 exec, exec, s[10:11]
	s_cbranch_execnz .LBB6_2141
.LBB6_1982:
	s_or_b64 exec, exec, s[10:11]
	v_mov_b32_e32 v5, s12
	s_and_saveexec_b64 s[10:11], s[4:5]
.LBB6_1983:
	v_lshrrev_b32_e32 v3, 24, v3
	s_movk_i32 s4, 0x80
	v_and_or_b32 v5, v3, s4, v4
.LBB6_1984:
	s_or_b64 exec, exec, s[10:11]
.LBB6_1985:
	s_or_b64 exec, exec, s[2:3]
	s_mov_b64 s[2:3], 0
	global_store_byte v[0:1], v5, off
.LBB6_1986:
	s_and_b64 vcc, exec, s[2:3]
	s_cbranch_vccz .LBB6_1996
; %bb.1987:
	v_cvt_f32_f64_e32 v3, v[8:9]
	v_and_b32_e32 v5, 0x7fffffff, v3
	s_mov_b32 s2, 0x43f00000
	v_cmp_gt_u32_e32 vcc, s2, v5
                                        ; implicit-def: $vgpr4
	s_and_saveexec_b64 s[2:3], vcc
	s_xor_b64 s[2:3], exec, s[2:3]
	s_cbranch_execz .LBB6_1993
; %bb.1988:
	s_mov_b32 s4, 0x3c7fffff
	v_cmp_lt_u32_e32 vcc, s4, v5
                                        ; implicit-def: $vgpr4
	s_and_saveexec_b64 s[4:5], vcc
	s_xor_b64 s[4:5], exec, s[4:5]
; %bb.1989:
	v_bfe_u32 v4, v3, 20, 1
	s_mov_b32 s10, 0x407ffff
	v_add3_u32 v4, v3, v4, s10
	v_lshrrev_b32_e32 v5, 20, v4
	v_and_b32_e32 v4, 0xff00000, v4
	s_mov_b32 s10, 0x7f00000
	v_mov_b32_e32 v6, 0x7e
	v_cmp_ne_u32_e32 vcc, s10, v4
	v_cndmask_b32_e32 v4, v6, v5, vcc
; %bb.1990:
	s_andn2_saveexec_b64 s[4:5], s[4:5]
; %bb.1991:
	s_mov_b32 s10, 0x46800000
	v_add_f32_e64 v4, |v3|, s10
; %bb.1992:
	s_or_b64 exec, exec, s[4:5]
                                        ; implicit-def: $vgpr5
.LBB6_1993:
	s_andn2_saveexec_b64 s[2:3], s[2:3]
; %bb.1994:
	s_mov_b32 s4, 0x7f800000
	v_mov_b32_e32 v4, 0x7e
	v_mov_b32_e32 v6, 0x7f
	v_cmp_lt_u32_e32 vcc, s4, v5
	v_cndmask_b32_e32 v4, v4, v6, vcc
; %bb.1995:
	s_or_b64 exec, exec, s[2:3]
	v_lshrrev_b32_e32 v3, 24, v3
	s_movk_i32 s2, 0x80
	v_and_or_b32 v3, v3, s2, v4
	global_store_byte v[0:1], v3, off
.LBB6_1996:
	s_mov_b64 s[2:3], 0
.LBB6_1997:
	s_andn2_b64 vcc, exec, s[2:3]
	s_cbranch_vccnz .LBB6_2007
; %bb.1998:
	v_cvt_f32_f64_e32 v3, v[8:9]
	v_and_b32_e32 v5, 0x7fffffff, v3
	s_mov_b32 s2, 0x47800000
	v_cmp_gt_u32_e32 vcc, s2, v5
                                        ; implicit-def: $vgpr4
	s_and_saveexec_b64 s[2:3], vcc
	s_xor_b64 s[2:3], exec, s[2:3]
	s_cbranch_execz .LBB6_2004
; %bb.1999:
	s_mov_b32 s4, 0x387fffff
	v_cmp_lt_u32_e32 vcc, s4, v5
                                        ; implicit-def: $vgpr4
	s_and_saveexec_b64 s[4:5], vcc
	s_xor_b64 s[4:5], exec, s[4:5]
; %bb.2000:
	v_bfe_u32 v4, v3, 21, 1
	s_mov_b32 s10, 0x80fffff
	v_add3_u32 v4, v3, v4, s10
	v_lshrrev_b32_e32 v4, 21, v4
; %bb.2001:
	s_andn2_saveexec_b64 s[4:5], s[4:5]
; %bb.2002:
	s_mov_b32 s10, 0x43000000
	v_add_f32_e64 v4, |v3|, s10
; %bb.2003:
	s_or_b64 exec, exec, s[4:5]
                                        ; implicit-def: $vgpr5
.LBB6_2004:
	s_andn2_saveexec_b64 s[2:3], s[2:3]
; %bb.2005:
	s_mov_b32 s4, 0x7f800000
	v_mov_b32_e32 v4, 0x7c
	v_mov_b32_e32 v6, 0x7f
	v_cmp_lt_u32_e32 vcc, s4, v5
	v_cndmask_b32_e32 v4, v4, v6, vcc
; %bb.2006:
	s_or_b64 exec, exec, s[2:3]
	v_lshrrev_b32_e32 v3, 24, v3
	s_movk_i32 s2, 0x80
	v_and_or_b32 v3, v3, s2, v4
	global_store_byte v[0:1], v3, off
.LBB6_2007:
	s_mov_b64 s[2:3], 0
	s_mov_b64 s[4:5], -1
.LBB6_2008:
	s_andn2_b64 vcc, exec, s[2:3]
	s_mov_b64 s[2:3], 0
	s_cbranch_vccnz .LBB6_2015
; %bb.2009:
	v_mov_b32_e32 v3, 14
	v_cmp_gt_i16_sdwa s[2:3], s33, v3 src0_sel:BYTE_0 src1_sel:DWORD
	s_mov_b64 s[10:11], -1
	s_and_b64 vcc, exec, s[2:3]
	s_cbranch_vccz .LBB6_2013
; %bb.2010:
	v_mov_b32_e32 v3, 15
	v_cmp_eq_u16_sdwa s[2:3], s33, v3 src0_sel:BYTE_0 src1_sel:DWORD
	s_mov_b64 s[0:1], -1
	s_and_b64 vcc, exec, s[2:3]
	s_cbranch_vccz .LBB6_2012
; %bb.2011:
	v_cvt_f32_f64_e32 v3, v[8:9]
	v_bfe_u32 v4, v3, 16, 1
	s_movk_i32 s0, 0x7fff
	v_add3_u32 v4, v3, v4, s0
	v_lshrrev_b32_e32 v4, 16, v4
	v_mov_b32_e32 v5, 0x7fc0
	v_cmp_o_f32_e32 vcc, v3, v3
	v_cndmask_b32_e32 v3, v5, v4, vcc
	global_store_short v[0:1], v3, off
	s_mov_b64 s[0:1], 0
	s_mov_b64 s[4:5], -1
.LBB6_2012:
	s_mov_b64 s[10:11], 0
.LBB6_2013:
	s_mov_b64 s[2:3], 0
	s_and_b64 vcc, exec, s[10:11]
	s_cbranch_vccz .LBB6_2015
; %bb.2014:
	v_mov_b32_e32 v3, 11
	v_cmp_ne_u16_sdwa s[0:1], s33, v3 src0_sel:BYTE_0 src1_sel:DWORD
	s_mov_b64 s[2:3], -1
.LBB6_2015:
	s_and_b64 vcc, exec, s[0:1]
	s_cbranch_vccnz .LBB6_2139
; %bb.2016:
	s_andn2_b64 vcc, exec, s[2:3]
	s_cbranch_vccnz .LBB6_2018
.LBB6_2017:
	v_cmp_neq_f64_e32 vcc, 0, v[8:9]
	v_cndmask_b32_e64 v3, 0, 1, vcc
	s_mov_b64 s[4:5], -1
	global_store_byte v[0:1], v3, off
.LBB6_2018:
	s_mov_b64 s[0:1], 0
.LBB6_2019:
	s_and_b64 vcc, exec, s[0:1]
	s_cbranch_vccz .LBB6_2058
; %bb.2020:
	v_mov_b32_e32 v3, 5
	v_cmp_lt_i16_sdwa s[2:3], s33, v3 src0_sel:BYTE_0 src1_sel:DWORD
	s_mov_b64 s[0:1], -1
	s_and_b64 vcc, exec, s[2:3]
	s_cbranch_vccnz .LBB6_2041
; %bb.2021:
	v_mov_b32_e32 v3, 8
	v_cmp_lt_i16_sdwa s[2:3], s33, v3 src0_sel:BYTE_0 src1_sel:DWORD
	s_and_b64 vcc, exec, s[2:3]
	s_cbranch_vccnz .LBB6_2031
; %bb.2022:
	v_mov_b32_e32 v3, 9
	v_cmp_lt_i16_sdwa s[2:3], s33, v3 src0_sel:BYTE_0 src1_sel:DWORD
	s_and_b64 vcc, exec, s[2:3]
	s_cbranch_vccnz .LBB6_2028
; %bb.2023:
	v_cmp_gt_i16_sdwa s[2:3], s33, v3 src0_sel:BYTE_0 src1_sel:DWORD
	s_and_b64 vcc, exec, s[2:3]
	s_cbranch_vccz .LBB6_2025
; %bb.2024:
	v_mov_b32_e32 v10, 0
	v_mov_b32_e32 v11, v10
	global_store_dwordx4 v[0:1], v[8:11], off
	s_mov_b64 s[0:1], 0
.LBB6_2025:
	s_andn2_b64 vcc, exec, s[0:1]
	s_cbranch_vccnz .LBB6_2027
; %bb.2026:
	v_cvt_f32_f64_e32 v4, v[8:9]
	v_mov_b32_e32 v5, 0
	global_store_dwordx2 v[0:1], v[4:5], off
.LBB6_2027:
	s_mov_b64 s[0:1], 0
.LBB6_2028:
	s_andn2_b64 vcc, exec, s[0:1]
	s_cbranch_vccnz .LBB6_2030
; %bb.2029:
	v_cvt_f32_f64_e32 v3, v[8:9]
	v_cvt_f16_f32_e32 v3, v3
	global_store_dword v[0:1], v3, off
.LBB6_2030:
	s_mov_b64 s[0:1], 0
.LBB6_2031:
	s_andn2_b64 vcc, exec, s[0:1]
	s_cbranch_vccnz .LBB6_2040
; %bb.2032:
	v_mov_b32_e32 v3, 6
	v_cmp_lt_i16_sdwa s[2:3], s33, v3 src0_sel:BYTE_0 src1_sel:DWORD
	s_mov_b64 s[0:1], -1
	s_and_b64 vcc, exec, s[2:3]
	s_cbranch_vccnz .LBB6_2038
; %bb.2033:
	v_cmp_gt_i16_sdwa s[2:3], s33, v3 src0_sel:BYTE_0 src1_sel:DWORD
	s_and_b64 vcc, exec, s[2:3]
	s_cbranch_vccz .LBB6_2035
; %bb.2034:
	global_store_dwordx2 v[0:1], v[8:9], off
	s_mov_b64 s[0:1], 0
.LBB6_2035:
	s_andn2_b64 vcc, exec, s[0:1]
	s_cbranch_vccnz .LBB6_2037
; %bb.2036:
	v_cvt_f32_f64_e32 v3, v[8:9]
	global_store_dword v[0:1], v3, off
.LBB6_2037:
	s_mov_b64 s[0:1], 0
.LBB6_2038:
	s_andn2_b64 vcc, exec, s[0:1]
	s_cbranch_vccnz .LBB6_2040
; %bb.2039:
	v_cvt_f32_f64_e32 v3, v[8:9]
	v_cvt_f16_f32_e32 v3, v3
	global_store_short v[0:1], v3, off
.LBB6_2040:
	s_mov_b64 s[0:1], 0
.LBB6_2041:
	s_andn2_b64 vcc, exec, s[0:1]
	s_cbranch_vccnz .LBB6_2057
; %bb.2042:
	v_mov_b32_e32 v3, 2
	v_cmp_lt_i16_sdwa s[2:3], s33, v3 src0_sel:BYTE_0 src1_sel:DWORD
	s_mov_b64 s[0:1], -1
	s_and_b64 vcc, exec, s[2:3]
	s_cbranch_vccnz .LBB6_2052
; %bb.2043:
	v_mov_b32_e32 v3, 3
	v_cmp_lt_i16_sdwa s[2:3], s33, v3 src0_sel:BYTE_0 src1_sel:DWORD
	s_and_b64 vcc, exec, s[2:3]
	s_cbranch_vccnz .LBB6_2049
; %bb.2044:
	v_cmp_gt_i16_sdwa s[2:3], s33, v3 src0_sel:BYTE_0 src1_sel:DWORD
	s_and_b64 vcc, exec, s[2:3]
	s_cbranch_vccz .LBB6_2046
; %bb.2045:
	v_trunc_f64_e32 v[4:5], v[8:9]
	s_movk_i32 s0, 0xffe0
	v_ldexp_f64 v[6:7], v[4:5], s0
	v_floor_f64_e32 v[6:7], v[6:7]
	v_fmac_f64_e32 v[4:5], 0xc1f00000, v[6:7]
	v_cvt_i32_f64_e32 v11, v[6:7]
	v_cvt_u32_f64_e32 v10, v[4:5]
	global_store_dwordx2 v[0:1], v[10:11], off
	s_mov_b64 s[0:1], 0
.LBB6_2046:
	s_andn2_b64 vcc, exec, s[0:1]
	s_cbranch_vccnz .LBB6_2048
; %bb.2047:
	v_cvt_i32_f64_e32 v3, v[8:9]
	global_store_dword v[0:1], v3, off
.LBB6_2048:
	s_mov_b64 s[0:1], 0
.LBB6_2049:
	s_andn2_b64 vcc, exec, s[0:1]
	s_cbranch_vccnz .LBB6_2051
; %bb.2050:
	v_cvt_i32_f64_e32 v3, v[8:9]
	global_store_short v[0:1], v3, off
.LBB6_2051:
	s_mov_b64 s[0:1], 0
.LBB6_2052:
	s_andn2_b64 vcc, exec, s[0:1]
	s_cbranch_vccnz .LBB6_2057
; %bb.2053:
	v_mov_b32_e32 v3, 0
	v_cmp_gt_i16_sdwa s[2:3], s33, v3 src0_sel:BYTE_0 src1_sel:DWORD
	s_mov_b64 s[0:1], -1
	s_and_b64 vcc, exec, s[2:3]
	s_cbranch_vccz .LBB6_2055
; %bb.2054:
	v_cvt_i32_f64_e32 v3, v[8:9]
	global_store_byte v[0:1], v3, off
	s_mov_b64 s[0:1], 0
.LBB6_2055:
	s_andn2_b64 vcc, exec, s[0:1]
	s_cbranch_vccnz .LBB6_2057
; %bb.2056:
	v_trunc_f64_e32 v[4:5], v[8:9]
	s_movk_i32 s0, 0xffe0
	v_ldexp_f64 v[6:7], v[4:5], s0
	v_floor_f64_e32 v[6:7], v[6:7]
	v_fmac_f64_e32 v[4:5], 0xc1f00000, v[6:7]
	v_cvt_u32_f64_e32 v3, v[4:5]
	global_store_byte v[0:1], v3, off
.LBB6_2057:
	s_mov_b64 s[4:5], -1
.LBB6_2058:
	s_andn2_b64 vcc, exec, s[4:5]
	s_cbranch_vccnz .LBB6_2135
; %bb.2059:
	v_add_u32_e32 v0, s18, v2
	v_ashrrev_i32_e32 v1, 31, v0
	v_mov_b32_e32 v2, s9
	v_add_co_u32_e32 v0, vcc, s8, v0
	v_addc_co_u32_e32 v1, vcc, v2, v1, vcc
	v_mov_b32_e32 v2, 0xff
	v_and_b32_e32 v2, s33, v2
	v_cmp_gt_i16_e32 vcc, 11, v2
	s_cbranch_vccnz .LBB6_2136
; %bb.2060:
	v_cmp_lt_i16_e32 vcc, 25, v2
	s_mov_b64 s[4:5], -1
	s_mov_b64 s[2:3], 0
	s_mov_b64 s[0:1], 0
	s_cbranch_vccz .LBB6_2093
; %bb.2061:
	v_cmp_lt_i16_e32 vcc, 28, v2
	s_cbranch_vccz .LBB6_2077
; %bb.2062:
	v_cmp_lt_i16_e32 vcc, 43, v2
	;; [unrolled: 3-line block ×3, first 2 shown]
	s_cbranch_vccz .LBB6_2067
; %bb.2064:
	v_cmp_eq_u16_e32 vcc, 46, v2
	s_mov_b64 s[0:1], -1
	s_cbranch_vccz .LBB6_2066
; %bb.2065:
	v_cvt_f32_f64_e32 v3, v[12:13]
	v_bfe_u32 v4, v3, 16, 1
	s_movk_i32 s0, 0x7fff
	v_add3_u32 v4, v3, v4, s0
	v_lshrrev_b32_e32 v4, 16, v4
	v_mov_b32_e32 v5, 0x7fc0
	v_cmp_o_f32_e32 vcc, v3, v3
	v_cndmask_b32_e32 v3, v5, v4, vcc
	global_store_dword v[0:1], v3, off
	s_mov_b64 s[0:1], 0
.LBB6_2066:
	s_mov_b64 s[4:5], 0
.LBB6_2067:
	s_and_b64 vcc, exec, s[4:5]
	s_cbranch_vccz .LBB6_2072
; %bb.2068:
	v_cmp_eq_u16_e32 vcc, 44, v2
	s_mov_b64 s[0:1], -1
	s_cbranch_vccz .LBB6_2072
; %bb.2069:
	v_cvt_f32_f64_e32 v3, v[12:13]
	v_bfe_u32 v4, v3, 23, 8
	s_movk_i32 s0, 0xff
	v_cmp_ne_u32_e32 vcc, s0, v4
	v_mov_b32_e32 v5, 0xff
	s_and_saveexec_b64 s[4:5], vcc
; %bb.2070:
	s_mov_b32 s0, 0x3fffff
	v_lshrrev_b32_e32 v5, 23, v3
	v_and_b32_e32 v6, 0x400000, v3
	v_and_or_b32 v3, v3, s0, v4
	v_cmp_ne_u32_e32 vcc, 0, v6
	v_cmp_ne_u32_e64 s[0:1], 0, v3
	s_and_b64 s[0:1], vcc, s[0:1]
	v_cndmask_b32_e64 v3, 0, 1, s[0:1]
	v_add_u32_e32 v5, v5, v3
; %bb.2071:
	s_or_b64 exec, exec, s[4:5]
	s_mov_b64 s[0:1], 0
	global_store_byte v[0:1], v5, off
.LBB6_2072:
	s_mov_b64 s[4:5], 0
.LBB6_2073:
	s_and_b64 vcc, exec, s[4:5]
	s_cbranch_vccz .LBB6_2076
; %bb.2074:
	v_cmp_eq_u16_e32 vcc, 29, v2
	s_mov_b64 s[0:1], -1
	s_cbranch_vccz .LBB6_2076
; %bb.2075:
	v_trunc_f64_e32 v[4:5], v[12:13]
	s_movk_i32 s0, 0xffe0
	v_ldexp_f64 v[6:7], v[4:5], s0
	v_floor_f64_e32 v[6:7], v[6:7]
	v_fmac_f64_e32 v[4:5], 0xc1f00000, v[6:7]
	v_cvt_u32_f64_e32 v9, v[6:7]
	v_cvt_u32_f64_e32 v8, v[4:5]
	global_store_dwordx2 v[0:1], v[8:9], off
	s_mov_b64 s[0:1], 0
.LBB6_2076:
	s_mov_b64 s[4:5], 0
.LBB6_2077:
	s_and_b64 vcc, exec, s[4:5]
	s_cbranch_vccz .LBB6_2092
; %bb.2078:
	v_cmp_gt_i16_e32 vcc, 27, v2
	s_mov_b64 s[4:5], -1
	s_cbranch_vccnz .LBB6_2084
; %bb.2079:
	v_cmp_lt_i16_e32 vcc, 27, v2
	v_cvt_u32_f64_e32 v3, v[12:13]
	s_cbranch_vccz .LBB6_2081
; %bb.2080:
	global_store_dword v[0:1], v3, off
	s_mov_b64 s[4:5], 0
.LBB6_2081:
	s_andn2_b64 vcc, exec, s[4:5]
	s_cbranch_vccnz .LBB6_2083
; %bb.2082:
	global_store_short v[0:1], v3, off
.LBB6_2083:
	s_mov_b64 s[4:5], 0
.LBB6_2084:
	s_andn2_b64 vcc, exec, s[4:5]
	s_cbranch_vccnz .LBB6_2092
; %bb.2085:
	v_cvt_f32_f64_e32 v3, v[12:13]
	v_and_b32_e32 v4, 0x7fffffff, v3
	s_mov_b32 s4, 0x43800000
	v_cmp_gt_u32_e32 vcc, s4, v4
	v_mov_b32_e32 v5, 0x80
	s_and_saveexec_b64 s[4:5], vcc
	s_cbranch_execz .LBB6_2091
; %bb.2086:
	s_mov_b32 s8, 0x3bffffff
	v_cmp_lt_u32_e32 vcc, s8, v4
	s_mov_b64 s[8:9], 0
                                        ; implicit-def: $vgpr4
	s_and_saveexec_b64 s[10:11], vcc
	s_xor_b64 s[10:11], exec, s[10:11]
	s_cbranch_execz .LBB6_2142
; %bb.2087:
	v_bfe_u32 v4, v3, 20, 1
	s_mov_b32 s12, 0x487ffff
	v_add3_u32 v4, v3, v4, s12
	s_mov_b64 s[8:9], exec
	v_lshrrev_b32_e32 v4, 20, v4
	s_or_saveexec_b64 s[10:11], s[10:11]
                                        ; implicit-def: $sgpr12
	s_xor_b64 exec, exec, s[10:11]
	s_cbranch_execnz .LBB6_2143
.LBB6_2088:
	s_or_b64 exec, exec, s[10:11]
	v_mov_b32_e32 v5, s12
	s_and_saveexec_b64 s[10:11], s[8:9]
.LBB6_2089:
	v_lshrrev_b32_e32 v3, 24, v3
	s_movk_i32 s8, 0x80
	v_and_or_b32 v5, v3, s8, v4
.LBB6_2090:
	s_or_b64 exec, exec, s[10:11]
.LBB6_2091:
	s_or_b64 exec, exec, s[4:5]
	global_store_byte v[0:1], v5, off
.LBB6_2092:
	s_mov_b64 s[4:5], 0
.LBB6_2093:
	s_and_b64 vcc, exec, s[4:5]
	s_cbranch_vccz .LBB6_2133
; %bb.2094:
	v_cmp_lt_i16_e32 vcc, 22, v2
	s_mov_b64 s[2:3], -1
	s_cbranch_vccz .LBB6_2126
; %bb.2095:
	v_cmp_gt_i16_e32 vcc, 24, v2
	s_cbranch_vccnz .LBB6_2115
; %bb.2096:
	v_cmp_lt_i16_e32 vcc, 24, v2
	s_cbranch_vccz .LBB6_2104
; %bb.2097:
	v_cvt_f32_f64_e32 v3, v[12:13]
	v_and_b32_e32 v4, 0x7fffffff, v3
	s_mov_b32 s2, 0x47800000
	v_cmp_gt_u32_e32 vcc, s2, v4
	v_mov_b32_e32 v5, 0x80
	s_and_saveexec_b64 s[2:3], vcc
	s_cbranch_execz .LBB6_2103
; %bb.2098:
	s_mov_b32 s4, 0x37ffffff
	v_cmp_lt_u32_e32 vcc, s4, v4
	s_mov_b64 s[4:5], 0
                                        ; implicit-def: $vgpr4
	s_and_saveexec_b64 s[8:9], vcc
	s_xor_b64 s[8:9], exec, s[8:9]
	s_cbranch_execz .LBB6_2145
; %bb.2099:
	v_bfe_u32 v4, v3, 21, 1
	s_mov_b32 s10, 0x88fffff
	v_add3_u32 v4, v3, v4, s10
	s_mov_b64 s[4:5], exec
	v_lshrrev_b32_e32 v4, 21, v4
	s_or_saveexec_b64 s[8:9], s[8:9]
                                        ; implicit-def: $sgpr10
	s_xor_b64 exec, exec, s[8:9]
	s_cbranch_execnz .LBB6_2146
.LBB6_2100:
	s_or_b64 exec, exec, s[8:9]
	v_mov_b32_e32 v5, s10
	s_and_saveexec_b64 s[8:9], s[4:5]
.LBB6_2101:
	v_lshrrev_b32_e32 v3, 24, v3
	s_movk_i32 s4, 0x80
	v_and_or_b32 v5, v3, s4, v4
.LBB6_2102:
	s_or_b64 exec, exec, s[8:9]
.LBB6_2103:
	s_or_b64 exec, exec, s[2:3]
	s_mov_b64 s[2:3], 0
	global_store_byte v[0:1], v5, off
.LBB6_2104:
	s_and_b64 vcc, exec, s[2:3]
	s_cbranch_vccz .LBB6_2114
; %bb.2105:
	v_cvt_f32_f64_e32 v3, v[12:13]
	v_and_b32_e32 v5, 0x7fffffff, v3
	s_mov_b32 s2, 0x43f00000
	v_cmp_gt_u32_e32 vcc, s2, v5
                                        ; implicit-def: $vgpr4
	s_and_saveexec_b64 s[2:3], vcc
	s_xor_b64 s[2:3], exec, s[2:3]
	s_cbranch_execz .LBB6_2111
; %bb.2106:
	s_mov_b32 s4, 0x3c7fffff
	v_cmp_lt_u32_e32 vcc, s4, v5
                                        ; implicit-def: $vgpr4
	s_and_saveexec_b64 s[4:5], vcc
	s_xor_b64 s[4:5], exec, s[4:5]
; %bb.2107:
	v_bfe_u32 v4, v3, 20, 1
	s_mov_b32 s8, 0x407ffff
	v_add3_u32 v4, v3, v4, s8
	v_lshrrev_b32_e32 v5, 20, v4
	v_and_b32_e32 v4, 0xff00000, v4
	s_mov_b32 s8, 0x7f00000
	v_mov_b32_e32 v6, 0x7e
	v_cmp_ne_u32_e32 vcc, s8, v4
	v_cndmask_b32_e32 v4, v6, v5, vcc
; %bb.2108:
	s_andn2_saveexec_b64 s[4:5], s[4:5]
; %bb.2109:
	s_mov_b32 s8, 0x46800000
	v_add_f32_e64 v4, |v3|, s8
; %bb.2110:
	s_or_b64 exec, exec, s[4:5]
                                        ; implicit-def: $vgpr5
.LBB6_2111:
	s_andn2_saveexec_b64 s[2:3], s[2:3]
; %bb.2112:
	s_mov_b32 s4, 0x7f800000
	v_mov_b32_e32 v4, 0x7e
	v_mov_b32_e32 v6, 0x7f
	v_cmp_lt_u32_e32 vcc, s4, v5
	v_cndmask_b32_e32 v4, v4, v6, vcc
; %bb.2113:
	s_or_b64 exec, exec, s[2:3]
	v_lshrrev_b32_e32 v3, 24, v3
	s_movk_i32 s2, 0x80
	v_and_or_b32 v3, v3, s2, v4
	global_store_byte v[0:1], v3, off
.LBB6_2114:
	s_mov_b64 s[2:3], 0
.LBB6_2115:
	s_andn2_b64 vcc, exec, s[2:3]
	s_cbranch_vccnz .LBB6_2125
; %bb.2116:
	v_cvt_f32_f64_e32 v3, v[12:13]
	v_and_b32_e32 v5, 0x7fffffff, v3
	s_mov_b32 s2, 0x47800000
	v_cmp_gt_u32_e32 vcc, s2, v5
                                        ; implicit-def: $vgpr4
	s_and_saveexec_b64 s[2:3], vcc
	s_xor_b64 s[2:3], exec, s[2:3]
	s_cbranch_execz .LBB6_2122
; %bb.2117:
	s_mov_b32 s4, 0x387fffff
	v_cmp_lt_u32_e32 vcc, s4, v5
                                        ; implicit-def: $vgpr4
	s_and_saveexec_b64 s[4:5], vcc
	s_xor_b64 s[4:5], exec, s[4:5]
; %bb.2118:
	v_bfe_u32 v4, v3, 21, 1
	s_mov_b32 s8, 0x80fffff
	v_add3_u32 v4, v3, v4, s8
	v_lshrrev_b32_e32 v4, 21, v4
; %bb.2119:
	s_andn2_saveexec_b64 s[4:5], s[4:5]
; %bb.2120:
	s_mov_b32 s8, 0x43000000
	v_add_f32_e64 v4, |v3|, s8
; %bb.2121:
	s_or_b64 exec, exec, s[4:5]
                                        ; implicit-def: $vgpr5
.LBB6_2122:
	s_andn2_saveexec_b64 s[2:3], s[2:3]
; %bb.2123:
	s_mov_b32 s4, 0x7f800000
	v_mov_b32_e32 v4, 0x7c
	v_mov_b32_e32 v6, 0x7f
	v_cmp_lt_u32_e32 vcc, s4, v5
	v_cndmask_b32_e32 v4, v4, v6, vcc
; %bb.2124:
	s_or_b64 exec, exec, s[2:3]
	v_lshrrev_b32_e32 v3, 24, v3
	s_movk_i32 s2, 0x80
	v_and_or_b32 v3, v3, s2, v4
	global_store_byte v[0:1], v3, off
.LBB6_2125:
	s_mov_b64 s[2:3], 0
.LBB6_2126:
	s_andn2_b64 vcc, exec, s[2:3]
	s_mov_b64 s[2:3], 0
	s_cbranch_vccnz .LBB6_2133
; %bb.2127:
	v_cmp_lt_i16_e32 vcc, 14, v2
	s_mov_b64 s[4:5], -1
	s_cbranch_vccz .LBB6_2131
; %bb.2128:
	v_cmp_eq_u16_e32 vcc, 15, v2
	s_mov_b64 s[0:1], -1
	s_cbranch_vccz .LBB6_2130
; %bb.2129:
	v_cvt_f32_f64_e32 v3, v[12:13]
	v_bfe_u32 v4, v3, 16, 1
	s_movk_i32 s0, 0x7fff
	v_add3_u32 v4, v3, v4, s0
	v_lshrrev_b32_e32 v4, 16, v4
	v_mov_b32_e32 v5, 0x7fc0
	v_cmp_o_f32_e32 vcc, v3, v3
	v_cndmask_b32_e32 v3, v5, v4, vcc
	global_store_short v[0:1], v3, off
	s_mov_b64 s[0:1], 0
.LBB6_2130:
	s_mov_b64 s[4:5], 0
.LBB6_2131:
	s_and_b64 vcc, exec, s[4:5]
	s_cbranch_vccz .LBB6_2133
; %bb.2132:
	v_cmp_ne_u16_e64 s[0:1], 11, v2
	s_mov_b64 s[2:3], -1
.LBB6_2133:
	s_and_b64 vcc, exec, s[0:1]
	s_cbranch_vccnz .LBB6_2144
.LBB6_2134:
	s_mov_b64 s[0:1], 0
	s_branch .LBB6_1645
.LBB6_2135:
	s_mov_b64 s[0:1], 0
                                        ; implicit-def: $vgpr2
                                        ; implicit-def: $vgpr0_vgpr1
	s_branch .LBB6_1644
.LBB6_2136:
	s_mov_b64 s[2:3], 0
	s_mov_b64 s[0:1], -1
	s_branch .LBB6_1645
.LBB6_2137:
	s_or_saveexec_b64 s[12:13], s[12:13]
                                        ; implicit-def: $sgpr19
	s_xor_b64 exec, exec, s[12:13]
	s_cbranch_execz .LBB6_1969
.LBB6_2138:
	s_mov_b32 s19, 0x46000000
	v_add_f32_e64 v4, |v3|, s19
	v_and_b32_e32 v4, 0xff, v4
	v_cmp_ne_u32_e32 vcc, 0, v4
	s_andn2_b64 s[10:11], s[10:11], exec
	s_and_b64 s[20:21], vcc, exec
	s_mov_b32 s19, 0
	s_or_b64 s[10:11], s[10:11], s[20:21]
	s_or_b64 exec, exec, s[12:13]
	v_mov_b32_e32 v5, s19
	s_and_saveexec_b64 s[12:13], s[10:11]
	s_cbranch_execnz .LBB6_1970
	s_branch .LBB6_1971
.LBB6_2139:
	s_trap 2
	s_or_b64 s[16:17], s[16:17], exec
	s_cbranch_execz .LBB6_2017
	s_branch .LBB6_2018
.LBB6_2140:
	s_or_saveexec_b64 s[10:11], s[10:11]
                                        ; implicit-def: $sgpr12
	s_xor_b64 exec, exec, s[10:11]
	s_cbranch_execz .LBB6_1982
.LBB6_2141:
	s_mov_b32 s12, 0x42800000
	v_add_f32_e64 v4, |v3|, s12
	v_and_b32_e32 v4, 0xff, v4
	v_cmp_ne_u32_e32 vcc, 0, v4
	s_andn2_b64 s[4:5], s[4:5], exec
	s_and_b64 s[20:21], vcc, exec
	s_mov_b32 s12, 0
	s_or_b64 s[4:5], s[4:5], s[20:21]
	s_or_b64 exec, exec, s[10:11]
	v_mov_b32_e32 v5, s12
	s_and_saveexec_b64 s[10:11], s[4:5]
	s_cbranch_execnz .LBB6_1983
	s_branch .LBB6_1984
.LBB6_2142:
	s_or_saveexec_b64 s[10:11], s[10:11]
                                        ; implicit-def: $sgpr12
	s_xor_b64 exec, exec, s[10:11]
	s_cbranch_execz .LBB6_2088
.LBB6_2143:
	s_mov_b32 s12, 0x46000000
	v_add_f32_e64 v4, |v3|, s12
	v_and_b32_e32 v4, 0xff, v4
	v_cmp_ne_u32_e32 vcc, 0, v4
	s_andn2_b64 s[8:9], s[8:9], exec
	s_and_b64 s[18:19], vcc, exec
	s_mov_b32 s12, 0
	s_or_b64 s[8:9], s[8:9], s[18:19]
	s_or_b64 exec, exec, s[10:11]
	v_mov_b32_e32 v5, s12
	s_and_saveexec_b64 s[10:11], s[8:9]
	s_cbranch_execnz .LBB6_2089
	s_branch .LBB6_2090
.LBB6_2144:
	s_mov_b64 s[2:3], 0
	s_or_b64 s[16:17], s[16:17], exec
	s_trap 2
	s_branch .LBB6_2134
.LBB6_2145:
	s_or_saveexec_b64 s[8:9], s[8:9]
                                        ; implicit-def: $sgpr10
	s_xor_b64 exec, exec, s[8:9]
	s_cbranch_execz .LBB6_2100
.LBB6_2146:
	s_mov_b32 s10, 0x42800000
	v_add_f32_e64 v4, |v3|, s10
	v_and_b32_e32 v4, 0xff, v4
	v_cmp_ne_u32_e32 vcc, 0, v4
	s_andn2_b64 s[4:5], s[4:5], exec
	s_and_b64 s[12:13], vcc, exec
	s_mov_b32 s10, 0
	s_or_b64 s[4:5], s[4:5], s[12:13]
	s_or_b64 exec, exec, s[8:9]
	v_mov_b32_e32 v5, s10
	s_and_saveexec_b64 s[8:9], s[4:5]
	s_cbranch_execnz .LBB6_2101
	s_branch .LBB6_2102
	.section	.rodata,"a",@progbits
	.p2align	6, 0x0
	.amdhsa_kernel _ZN2at6native32elementwise_kernel_manual_unrollILi128ELi4EZNS0_15gpu_kernel_implINS0_13AUnaryFunctorIdddZZZNS0_12_GLOBAL__N_133hermite_polynomial_he_kernel_cudaERNS_18TensorIteratorBaseEENKUlvE_clEvENKUlvE_clEvEUlddE_EEEEvS6_RKT_EUlibE_EEviT1_
		.amdhsa_group_segment_fixed_size 0
		.amdhsa_private_segment_fixed_size 0
		.amdhsa_kernarg_size 56
		.amdhsa_user_sgpr_count 6
		.amdhsa_user_sgpr_private_segment_buffer 1
		.amdhsa_user_sgpr_dispatch_ptr 0
		.amdhsa_user_sgpr_queue_ptr 0
		.amdhsa_user_sgpr_kernarg_segment_ptr 1
		.amdhsa_user_sgpr_dispatch_id 0
		.amdhsa_user_sgpr_flat_scratch_init 0
		.amdhsa_user_sgpr_kernarg_preload_length 0
		.amdhsa_user_sgpr_kernarg_preload_offset 0
		.amdhsa_user_sgpr_private_segment_size 0
		.amdhsa_uses_dynamic_stack 0
		.amdhsa_system_sgpr_private_segment_wavefront_offset 0
		.amdhsa_system_sgpr_workgroup_id_x 1
		.amdhsa_system_sgpr_workgroup_id_y 0
		.amdhsa_system_sgpr_workgroup_id_z 0
		.amdhsa_system_sgpr_workgroup_info 0
		.amdhsa_system_vgpr_workitem_id 0
		.amdhsa_next_free_vgpr 18
		.amdhsa_next_free_sgpr 46
		.amdhsa_accum_offset 20
		.amdhsa_reserve_vcc 1
		.amdhsa_reserve_flat_scratch 0
		.amdhsa_float_round_mode_32 0
		.amdhsa_float_round_mode_16_64 0
		.amdhsa_float_denorm_mode_32 3
		.amdhsa_float_denorm_mode_16_64 3
		.amdhsa_dx10_clamp 1
		.amdhsa_ieee_mode 1
		.amdhsa_fp16_overflow 0
		.amdhsa_tg_split 0
		.amdhsa_exception_fp_ieee_invalid_op 0
		.amdhsa_exception_fp_denorm_src 0
		.amdhsa_exception_fp_ieee_div_zero 0
		.amdhsa_exception_fp_ieee_overflow 0
		.amdhsa_exception_fp_ieee_underflow 0
		.amdhsa_exception_fp_ieee_inexact 0
		.amdhsa_exception_int_div_zero 0
	.end_amdhsa_kernel
	.section	.text._ZN2at6native32elementwise_kernel_manual_unrollILi128ELi4EZNS0_15gpu_kernel_implINS0_13AUnaryFunctorIdddZZZNS0_12_GLOBAL__N_133hermite_polynomial_he_kernel_cudaERNS_18TensorIteratorBaseEENKUlvE_clEvENKUlvE_clEvEUlddE_EEEEvS6_RKT_EUlibE_EEviT1_,"axG",@progbits,_ZN2at6native32elementwise_kernel_manual_unrollILi128ELi4EZNS0_15gpu_kernel_implINS0_13AUnaryFunctorIdddZZZNS0_12_GLOBAL__N_133hermite_polynomial_he_kernel_cudaERNS_18TensorIteratorBaseEENKUlvE_clEvENKUlvE_clEvEUlddE_EEEEvS6_RKT_EUlibE_EEviT1_,comdat
.Lfunc_end6:
	.size	_ZN2at6native32elementwise_kernel_manual_unrollILi128ELi4EZNS0_15gpu_kernel_implINS0_13AUnaryFunctorIdddZZZNS0_12_GLOBAL__N_133hermite_polynomial_he_kernel_cudaERNS_18TensorIteratorBaseEENKUlvE_clEvENKUlvE_clEvEUlddE_EEEEvS6_RKT_EUlibE_EEviT1_, .Lfunc_end6-_ZN2at6native32elementwise_kernel_manual_unrollILi128ELi4EZNS0_15gpu_kernel_implINS0_13AUnaryFunctorIdddZZZNS0_12_GLOBAL__N_133hermite_polynomial_he_kernel_cudaERNS_18TensorIteratorBaseEENKUlvE_clEvENKUlvE_clEvEUlddE_EEEEvS6_RKT_EUlibE_EEviT1_
                                        ; -- End function
	.section	.AMDGPU.csdata,"",@progbits
; Kernel info:
; codeLenInByte = 36188
; NumSgprs: 50
; NumVgprs: 18
; NumAgprs: 0
; TotalNumVgprs: 18
; ScratchSize: 0
; MemoryBound: 1
; FloatMode: 240
; IeeeMode: 1
; LDSByteSize: 0 bytes/workgroup (compile time only)
; SGPRBlocks: 6
; VGPRBlocks: 2
; NumSGPRsForWavesPerEU: 50
; NumVGPRsForWavesPerEU: 18
; AccumOffset: 20
; Occupancy: 8
; WaveLimiterHint : 0
; COMPUTE_PGM_RSRC2:SCRATCH_EN: 0
; COMPUTE_PGM_RSRC2:USER_SGPR: 6
; COMPUTE_PGM_RSRC2:TRAP_HANDLER: 0
; COMPUTE_PGM_RSRC2:TGID_X_EN: 1
; COMPUTE_PGM_RSRC2:TGID_Y_EN: 0
; COMPUTE_PGM_RSRC2:TGID_Z_EN: 0
; COMPUTE_PGM_RSRC2:TIDIG_COMP_CNT: 0
; COMPUTE_PGM_RSRC3_GFX90A:ACCUM_OFFSET: 4
; COMPUTE_PGM_RSRC3_GFX90A:TG_SPLIT: 0
	.section	.text._ZN2at6native32elementwise_kernel_manual_unrollILi128ELi4EZNS0_15gpu_kernel_implINS0_13AUnaryFunctorIdddZZZNS0_12_GLOBAL__N_133hermite_polynomial_he_kernel_cudaERNS_18TensorIteratorBaseEENKUlvE_clEvENKUlvE_clEvEUlddE_EEEEvS6_RKT_EUlibE0_EEviT1_,"axG",@progbits,_ZN2at6native32elementwise_kernel_manual_unrollILi128ELi4EZNS0_15gpu_kernel_implINS0_13AUnaryFunctorIdddZZZNS0_12_GLOBAL__N_133hermite_polynomial_he_kernel_cudaERNS_18TensorIteratorBaseEENKUlvE_clEvENKUlvE_clEvEUlddE_EEEEvS6_RKT_EUlibE0_EEviT1_,comdat
	.globl	_ZN2at6native32elementwise_kernel_manual_unrollILi128ELi4EZNS0_15gpu_kernel_implINS0_13AUnaryFunctorIdddZZZNS0_12_GLOBAL__N_133hermite_polynomial_he_kernel_cudaERNS_18TensorIteratorBaseEENKUlvE_clEvENKUlvE_clEvEUlddE_EEEEvS6_RKT_EUlibE0_EEviT1_ ; -- Begin function _ZN2at6native32elementwise_kernel_manual_unrollILi128ELi4EZNS0_15gpu_kernel_implINS0_13AUnaryFunctorIdddZZZNS0_12_GLOBAL__N_133hermite_polynomial_he_kernel_cudaERNS_18TensorIteratorBaseEENKUlvE_clEvENKUlvE_clEvEUlddE_EEEEvS6_RKT_EUlibE0_EEviT1_
	.p2align	8
	.type	_ZN2at6native32elementwise_kernel_manual_unrollILi128ELi4EZNS0_15gpu_kernel_implINS0_13AUnaryFunctorIdddZZZNS0_12_GLOBAL__N_133hermite_polynomial_he_kernel_cudaERNS_18TensorIteratorBaseEENKUlvE_clEvENKUlvE_clEvEUlddE_EEEEvS6_RKT_EUlibE0_EEviT1_,@function
_ZN2at6native32elementwise_kernel_manual_unrollILi128ELi4EZNS0_15gpu_kernel_implINS0_13AUnaryFunctorIdddZZZNS0_12_GLOBAL__N_133hermite_polynomial_he_kernel_cudaERNS_18TensorIteratorBaseEENKUlvE_clEvENKUlvE_clEvEUlddE_EEEEvS6_RKT_EUlibE0_EEviT1_: ; @_ZN2at6native32elementwise_kernel_manual_unrollILi128ELi4EZNS0_15gpu_kernel_implINS0_13AUnaryFunctorIdddZZZNS0_12_GLOBAL__N_133hermite_polynomial_he_kernel_cudaERNS_18TensorIteratorBaseEENKUlvE_clEvENKUlvE_clEvEUlddE_EEEEvS6_RKT_EUlibE0_EEviT1_
; %bb.0:
	s_load_dword s74, s[4:5], 0x0
	s_load_dword s33, s[4:5], 0x8
	s_or_b32 s34, s4, 8
	v_lshl_or_b32 v9, s6, 9, v0
	v_or_b32_e32 v16, 0x180, v9
	s_mov_b32 s35, s5
	s_waitcnt lgkmcnt(0)
	s_add_i32 s76, s33, -1
	s_cmp_gt_u32 s76, 1
	v_cmp_le_i32_e32 vcc, s74, v16
	s_cselect_b64 s[40:41], -1, 0
	s_mov_b64 s[6:7], 0
	s_mov_b64 s[28:29], 0
	s_and_saveexec_b64 s[0:1], vcc
	s_xor_b64 s[42:43], exec, s[0:1]
	s_cbranch_execz .LBB7_1138
; %bb.1:
	s_load_dwordx4 s[28:31], s[34:35], 0x4
	s_load_dwordx2 s[46:47], s[34:35], 0x14
	s_load_dwordx2 s[44:45], s[34:35], 0x160
	s_load_dword s77, s[34:35], 0x168
	s_cmp_lg_u32 s33, 0
	s_load_dwordx4 s[36:39], s[34:35], 0xc4
	s_load_dwordx4 s[24:27], s[34:35], 0x148
	s_cselect_b64 s[52:53], -1, 0
	s_add_u32 s50, s34, 0xc4
	s_addc_u32 s51, s35, 0
	s_min_u32 s75, s76, 15
	s_cmp_gt_u32 s33, 1
	s_cselect_b64 s[48:49], -1, 0
	s_waitcnt lgkmcnt(0)
	v_lshrrev_b16_e64 v8, 8, s77
	v_cmp_gt_i32_e32 vcc, s74, v9
	s_mov_b64 s[2:3], -1
	s_mov_b64 s[62:63], 0
	s_mov_b64 s[56:57], 0
	;; [unrolled: 1-line block ×3, first 2 shown]
	s_and_saveexec_b64 s[58:59], vcc
	s_cbranch_execz .LBB7_279
; %bb.2:
	s_andn2_b64 vcc, exec, s[40:41]
	s_cbranch_vccnz .LBB7_8
; %bb.3:
	s_mov_b32 s54, 0
	s_andn2_b64 vcc, exec, s[52:53]
	v_mov_b32_e32 v0, 0
	v_mov_b32_e32 v2, 0
	s_cbranch_vccnz .LBB7_14
; %bb.4:
	s_add_i32 s64, s75, 1
	s_cmp_eq_u32 s76, 2
	s_cbranch_scc1 .LBB7_9
; %bb.5:
	s_and_b32 s54, s64, 28
	s_mov_b32 s55, 0
	v_mov_b32_e32 v2, 0
	s_mov_b64 s[56:57], s[34:35]
	s_mov_b64 s[60:61], s[50:51]
	v_mov_b32_e32 v1, v9
	v_mov_b32_e32 v0, 0
.LBB7_6:                                ; =>This Inner Loop Header: Depth=1
	s_load_dwordx8 s[16:23], s[56:57], 0x4
	s_load_dwordx4 s[0:3], s[56:57], 0x24
	s_load_dwordx8 s[8:15], s[60:61], 0x0
	s_add_u32 s56, s56, 48
	s_addc_u32 s57, s57, 0
	s_waitcnt lgkmcnt(0)
	v_mul_hi_u32 v3, s17, v1
	v_add_u32_e32 v3, v1, v3
	v_lshrrev_b32_e32 v3, s18, v3
	v_mul_lo_u32 v4, v3, s16
	v_mul_hi_u32 v5, s20, v3
	v_sub_u32_e32 v1, v1, v4
	v_add_u32_e32 v4, v3, v5
	v_lshrrev_b32_e32 v4, s21, v4
	v_mul_lo_u32 v6, v4, s19
	v_mul_hi_u32 v7, s23, v4
	v_sub_u32_e32 v3, v3, v6
	v_add_u32_e32 v6, v4, v7
	v_mul_lo_u32 v5, v1, s9
	v_mul_lo_u32 v1, v1, s8
	;; [unrolled: 1-line block ×4, first 2 shown]
	v_lshrrev_b32_e32 v6, s0, v6
	v_add3_u32 v2, v1, v2, v3
	v_mul_lo_u32 v1, v6, s22
	v_mul_hi_u32 v3, s2, v6
	v_sub_u32_e32 v1, v4, v1
	v_add_u32_e32 v3, v6, v3
	v_add3_u32 v0, v5, v0, v7
	v_mul_lo_u32 v4, v1, s12
	v_mul_lo_u32 v5, v1, s13
	v_lshrrev_b32_e32 v1, s3, v3
	s_add_i32 s55, s55, 4
	v_mul_lo_u32 v3, v1, s1
	s_add_u32 s60, s60, 32
	v_sub_u32_e32 v3, v6, v3
	s_addc_u32 s61, s61, 0
	v_mul_lo_u32 v6, v3, s14
	v_mul_lo_u32 v3, v3, s15
	s_cmp_lg_u32 s54, s55
	v_add3_u32 v0, v5, v0, v3
	v_add3_u32 v2, v4, v2, v6
	s_cbranch_scc1 .LBB7_6
; %bb.7:
	v_mov_b32_e32 v3, v0
	s_branch .LBB7_10
.LBB7_8:
                                        ; implicit-def: $vgpr0
                                        ; implicit-def: $vgpr2
	s_branch .LBB7_15
.LBB7_9:
	s_mov_b32 s55, s54
	v_pk_mov_b32 v[2:3], s[54:55], s[54:55] op_sel:[0,1]
                                        ; implicit-def: $vgpr0
	v_mov_b32_e32 v1, v9
.LBB7_10:
	s_and_b32 s8, s64, 3
	s_cmp_eq_u32 s8, 0
	s_cbranch_scc1 .LBB7_14
; %bb.11:
	s_lshl_b32 s0, s54, 3
	s_add_u32 s0, s0, s34
	s_addc_u32 s1, s35, 0
	s_add_u32 s0, s0, 0xc4
	s_addc_u32 s1, s1, 0
	s_mul_i32 s2, s54, 12
	s_add_u32 s2, s34, s2
	s_addc_u32 s3, s35, 0
.LBB7_12:                               ; =>This Inner Loop Header: Depth=1
	s_load_dwordx2 s[10:11], s[2:3], 0x4
	s_load_dword s9, s[2:3], 0xc
	s_load_dwordx2 s[12:13], s[0:1], 0x0
	v_mov_b32_e32 v0, v3
	s_add_u32 s2, s2, 12
	s_waitcnt lgkmcnt(0)
	v_mul_hi_u32 v3, s11, v1
	v_add_u32_e32 v3, v1, v3
	v_lshrrev_b32_e32 v3, s9, v3
	s_addc_u32 s3, s3, 0
	v_mul_lo_u32 v4, v3, s10
	s_add_u32 s0, s0, 8
	v_sub_u32_e32 v6, v1, v4
	v_mov_b32_e32 v1, v3
	s_addc_u32 s1, s1, 0
	s_add_i32 s8, s8, -1
	v_mad_u64_u32 v[4:5], s[10:11], v6, s13, v[0:1]
	v_mad_u64_u32 v[2:3], s[10:11], v6, s12, v[2:3]
	s_cmp_lg_u32 s8, 0
	v_mov_b32_e32 v3, v4
	s_cbranch_scc1 .LBB7_12
; %bb.13:
	v_mov_b32_e32 v0, v3
.LBB7_14:
	s_cbranch_execnz .LBB7_17
.LBB7_15:
	v_mul_hi_u32 v0, s29, v9
	v_add_u32_e32 v0, v9, v0
	v_lshrrev_b32_e32 v1, s30, v0
	v_mul_lo_u32 v0, v1, s28
	v_sub_u32_e32 v2, v9, v0
	v_mul_lo_u32 v0, v2, s37
	s_andn2_b64 vcc, exec, s[48:49]
	v_mul_lo_u32 v2, v2, s36
	s_cbranch_vccnz .LBB7_17
; %bb.16:
	v_mul_hi_u32 v3, s46, v1
	v_add_u32_e32 v3, v1, v3
	v_lshrrev_b32_e32 v3, s47, v3
	v_mul_lo_u32 v3, v3, s31
	v_sub_u32_e32 v1, v1, v3
	v_mad_u64_u32 v[2:3], s[0:1], v1, s38, v[2:3]
	v_mad_u64_u32 v[0:1], s[0:1], v1, s39, v[0:1]
.LBB7_17:
	v_mov_b32_e32 v1, s27
	v_add_co_u32_e32 v0, vcc, s26, v0
	v_addc_co_u32_e32 v1, vcc, 0, v1, vcc
	v_cmp_gt_i16_e32 vcc, 11, v8
	s_cbranch_vccnz .LBB7_24
; %bb.18:
	v_cmp_lt_i16_e32 vcc, 25, v8
	s_cbranch_vccz .LBB7_45
; %bb.19:
	v_cmp_lt_i16_e32 vcc, 28, v8
	s_cbranch_vccz .LBB7_48
	;; [unrolled: 3-line block ×4, first 2 shown]
; %bb.22:
	v_cmp_eq_u16_e32 vcc, 46, v8
	s_mov_b64 s[8:9], 0
	s_cbranch_vccz .LBB7_54
; %bb.23:
	global_load_dword v3, v[0:1], off
	s_mov_b64 s[0:1], -1
	s_mov_b64 s[2:3], 0
	s_waitcnt vmcnt(0)
	v_lshlrev_b32_e32 v3, 16, v3
	v_cvt_f64_f32_e32 v[4:5], v3
	s_branch .LBB7_56
.LBB7_24:
	s_mov_b64 s[2:3], 0
                                        ; implicit-def: $vgpr4_vgpr5
	s_mov_b64 s[0:1], 0
	s_cbranch_execnz .LBB7_229
.LBB7_25:
	s_andn2_b64 vcc, exec, s[0:1]
	s_cbranch_vccnz .LBB7_276
.LBB7_26:
	s_waitcnt vmcnt(0)
	v_trunc_f64_e32 v[0:1], v[4:5]
	s_movk_i32 s0, 0xffe0
	v_ldexp_f64 v[4:5], v[0:1], s0
	v_floor_f64_e32 v[6:7], v[4:5]
	v_fmac_f64_e32 v[0:1], 0xc1f00000, v[6:7]
	v_cvt_i32_f64_e32 v5, v[6:7]
	v_cvt_u32_f64_e32 v4, v[0:1]
	v_cmp_lt_i64_e32 vcc, -1, v[4:5]
	v_pk_mov_b32 v[0:1], 0, 0
	s_and_saveexec_b64 s[0:1], vcc
	s_cbranch_execz .LBB7_38
; %bb.27:
	v_mov_b32_e32 v0, 0
	v_cmp_lt_i64_e32 vcc, 0, v[4:5]
	v_mov_b32_e32 v1, 0x3ff00000
	s_and_saveexec_b64 s[8:9], vcc
	s_cbranch_execz .LBB7_37
; %bb.28:
	v_cmp_ne_u64_e32 vcc, 1, v[4:5]
                                        ; implicit-def: $vgpr0_vgpr1
	s_and_saveexec_b64 s[10:11], vcc
	s_xor_b64 s[10:11], exec, s[10:11]
	s_cbranch_execz .LBB7_34
; %bb.29:
	s_mov_b64 s[12:13], 0x201
	v_mov_b32_e32 v0, 0
	v_cmp_gt_u64_e32 vcc, s[12:13], v[4:5]
	v_mov_b32_e32 v1, 0x7ff80000
	s_and_saveexec_b64 s[12:13], vcc
	s_cbranch_execz .LBB7_33
; %bb.30:
	v_mov_b32_e32 v6, 0
	s_mov_b64 s[16:17], 1
	s_mov_b64 s[14:15], 0
	v_pk_mov_b32 v[0:1], s[44:45], s[44:45] op_sel:[0,1]
	v_mov_b32_e32 v7, 0x3ff00000
.LBB7_31:                               ; =>This Inner Loop Header: Depth=1
	v_cvt_f64_u32_e32 v[10:11], s17
	v_cvt_f64_u32_e32 v[12:13], s16
	s_add_u32 s16, s16, 1
	v_ldexp_f64 v[10:11], v[10:11], 32
	s_addc_u32 s17, s17, 0
	v_add_f64 v[10:11], v[10:11], v[12:13]
	v_cmp_eq_u64_e32 vcc, s[16:17], v[4:5]
	v_mul_f64 v[10:11], v[6:7], v[10:11]
	s_or_b64 s[14:15], vcc, s[14:15]
	v_pk_mov_b32 v[6:7], v[0:1], v[0:1] op_sel:[0,1]
	v_fma_f64 v[0:1], s[44:45], v[0:1], -v[10:11]
	s_andn2_b64 exec, exec, s[14:15]
	s_cbranch_execnz .LBB7_31
; %bb.32:
	s_or_b64 exec, exec, s[14:15]
.LBB7_33:
	s_or_b64 exec, exec, s[12:13]
.LBB7_34:
	s_andn2_saveexec_b64 s[10:11], s[10:11]
; %bb.35:
	v_pk_mov_b32 v[0:1], s[44:45], s[44:45] op_sel:[0,1]
; %bb.36:
	s_or_b64 exec, exec, s[10:11]
.LBB7_37:
	s_or_b64 exec, exec, s[8:9]
.LBB7_38:
	s_or_b64 exec, exec, s[0:1]
	v_mov_b32_e32 v3, s25
	v_add_co_u32_e32 v4, vcc, s24, v2
	v_mov_b32_e32 v2, 11
	v_addc_co_u32_e32 v5, vcc, 0, v3, vcc
	v_cmp_lt_i16_sdwa s[0:1], s77, v2 src0_sel:BYTE_0 src1_sel:DWORD
	s_and_b64 vcc, exec, s[0:1]
	s_cbranch_vccnz .LBB7_46
; %bb.39:
	v_mov_b32_e32 v2, 25
	v_cmp_gt_i16_sdwa s[0:1], s77, v2 src0_sel:BYTE_0 src1_sel:DWORD
	s_and_b64 vcc, exec, s[0:1]
	s_cbranch_vccz .LBB7_49
; %bb.40:
	v_mov_b32_e32 v2, 28
	v_cmp_gt_i16_sdwa s[0:1], s77, v2 src0_sel:BYTE_0 src1_sel:DWORD
	s_and_b64 vcc, exec, s[0:1]
	s_cbranch_vccz .LBB7_51
	;; [unrolled: 5-line block ×4, first 2 shown]
; %bb.43:
	v_mov_b32_e32 v2, 46
	v_cmp_eq_u16_sdwa s[8:9], s77, v2 src0_sel:BYTE_0 src1_sel:DWORD
	s_mov_b64 s[10:11], 0
	s_mov_b64 s[0:1], -1
	s_and_b64 vcc, exec, s[8:9]
	s_mov_b64 s[8:9], 0
	s_cbranch_vccz .LBB7_60
; %bb.44:
	v_cvt_f32_f64_e32 v2, v[0:1]
	v_bfe_u32 v3, v2, 16, 1
	s_movk_i32 s0, 0x7fff
	v_add3_u32 v3, v2, v3, s0
	v_lshrrev_b32_e32 v3, 16, v3
	v_mov_b32_e32 v6, 0x7fc0
	v_cmp_o_f32_e32 vcc, v2, v2
	v_cndmask_b32_e32 v2, v6, v3, vcc
	global_store_dword v[4:5], v2, off
	s_mov_b64 s[8:9], -1
	s_mov_b64 s[0:1], 0
	s_branch .LBB7_60
.LBB7_45:
	s_mov_b64 s[2:3], 0
	s_mov_b64 s[0:1], 0
                                        ; implicit-def: $vgpr4_vgpr5
	s_cbranch_execnz .LBB7_194
	s_branch .LBB7_228
.LBB7_46:
	s_mov_b64 s[0:1], 0
	s_mov_b64 s[8:9], 0
	s_cbranch_execnz .LBB7_129
.LBB7_47:
	s_andn2_b64 vcc, exec, s[8:9]
	s_cbranch_vccnz .LBB7_277
	s_branch .LBB7_167
.LBB7_48:
	s_mov_b64 s[8:9], -1
	s_mov_b64 s[2:3], 0
	s_mov_b64 s[0:1], 0
                                        ; implicit-def: $vgpr4_vgpr5
	s_branch .LBB7_175
.LBB7_49:
	s_mov_b64 s[10:11], -1
	s_mov_b64 s[0:1], 0
	s_mov_b64 s[8:9], 0
	s_branch .LBB7_87
.LBB7_50:
	s_mov_b64 s[8:9], -1
	s_mov_b64 s[2:3], 0
	s_mov_b64 s[0:1], 0
                                        ; implicit-def: $vgpr4_vgpr5
	s_branch .LBB7_170
.LBB7_51:
	s_mov_b64 s[10:11], -1
	s_mov_b64 s[0:1], 0
	s_mov_b64 s[8:9], 0
	s_branch .LBB7_70
.LBB7_52:
	s_mov_b64 s[8:9], -1
	s_mov_b64 s[2:3], 0
	s_branch .LBB7_55
.LBB7_53:
	s_mov_b64 s[10:11], -1
	s_mov_b64 s[0:1], 0
	s_mov_b64 s[8:9], 0
	s_branch .LBB7_66
.LBB7_54:
	s_mov_b64 s[2:3], -1
.LBB7_55:
	s_mov_b64 s[0:1], 0
                                        ; implicit-def: $vgpr4_vgpr5
.LBB7_56:
	s_and_b64 vcc, exec, s[8:9]
	s_cbranch_vccz .LBB7_169
; %bb.57:
	v_cmp_eq_u16_e32 vcc, 44, v8
	s_cbranch_vccz .LBB7_168
; %bb.58:
	global_load_ubyte v3, v[0:1], off
	s_movk_i32 s2, 0xff
	v_bfrev_b32_e32 v6, 4
	v_mov_b32_e32 v7, 0x7ff80000
	v_bfrev_b32_e32 v10, 28
	s_mov_b64 s[0:1], -1
	s_waitcnt vmcnt(0)
	v_lshlrev_b32_e32 v4, 23, v3
	v_cvt_f64_f32_e32 v[4:5], v4
	v_cmp_ne_u32_e32 vcc, s2, v3
	v_cndmask_b32_e32 v4, v6, v4, vcc
	v_cndmask_b32_e32 v5, v7, v5, vcc
	v_cmp_ne_u32_e32 vcc, 0, v3
	v_cndmask_b32_e32 v5, v10, v5, vcc
	v_cndmask_b32_e32 v4, 0, v4, vcc
	s_mov_b64 s[2:3], 0
	s_branch .LBB7_169
.LBB7_59:
	s_mov_b64 s[10:11], -1
	s_mov_b64 s[0:1], 0
	s_mov_b64 s[8:9], 0
.LBB7_60:
	s_and_b64 vcc, exec, s[10:11]
	s_cbranch_vccz .LBB7_65
; %bb.61:
	v_mov_b32_e32 v2, 44
	v_cmp_eq_u16_sdwa s[10:11], s77, v2 src0_sel:BYTE_0 src1_sel:DWORD
	s_mov_b64 s[0:1], -1
	s_and_b64 vcc, exec, s[10:11]
	s_cbranch_vccz .LBB7_65
; %bb.62:
	v_cvt_f32_f64_e32 v2, v[0:1]
	v_bfe_u32 v3, v2, 23, 8
	s_movk_i32 s0, 0xff
	v_cmp_ne_u32_e32 vcc, s0, v3
	v_mov_b32_e32 v6, 0xff
	s_and_saveexec_b64 s[8:9], vcc
; %bb.63:
	s_mov_b32 s0, 0x3fffff
	v_lshrrev_b32_e32 v6, 23, v2
	v_and_b32_e32 v7, 0x400000, v2
	v_and_or_b32 v2, v2, s0, v3
	v_cmp_ne_u32_e32 vcc, 0, v7
	v_cmp_ne_u32_e64 s[0:1], 0, v2
	s_and_b64 s[0:1], vcc, s[0:1]
	v_cndmask_b32_e64 v2, 0, 1, s[0:1]
	v_add_u32_e32 v6, v6, v2
; %bb.64:
	s_or_b64 exec, exec, s[8:9]
	s_mov_b64 s[8:9], -1
	s_mov_b64 s[0:1], 0
	global_store_byte v[4:5], v6, off
.LBB7_65:
	s_mov_b64 s[10:11], 0
.LBB7_66:
	s_and_b64 vcc, exec, s[10:11]
	s_cbranch_vccz .LBB7_69
; %bb.67:
	v_mov_b32_e32 v2, 29
	v_cmp_eq_u16_sdwa s[10:11], s77, v2 src0_sel:BYTE_0 src1_sel:DWORD
	s_mov_b64 s[0:1], -1
	s_and_b64 vcc, exec, s[10:11]
	s_cbranch_vccz .LBB7_69
; %bb.68:
	v_trunc_f64_e32 v[2:3], v[0:1]
	s_movk_i32 s0, 0xffe0
	v_ldexp_f64 v[6:7], v[2:3], s0
	v_floor_f64_e32 v[6:7], v[6:7]
	v_fmac_f64_e32 v[2:3], 0xc1f00000, v[6:7]
	v_cvt_u32_f64_e32 v11, v[6:7]
	v_cvt_u32_f64_e32 v10, v[2:3]
	global_store_dwordx2 v[4:5], v[10:11], off
	s_mov_b64 s[8:9], -1
	s_mov_b64 s[0:1], 0
.LBB7_69:
	s_mov_b64 s[10:11], 0
.LBB7_70:
	s_and_b64 vcc, exec, s[10:11]
	s_cbranch_vccz .LBB7_86
; %bb.71:
	v_mov_b32_e32 v2, 27
	v_cmp_lt_i16_sdwa s[10:11], s77, v2 src0_sel:BYTE_0 src1_sel:DWORD
	s_mov_b64 s[8:9], -1
	s_and_b64 vcc, exec, s[10:11]
	s_cbranch_vccnz .LBB7_77
; %bb.72:
	v_cmp_gt_i16_sdwa s[10:11], s77, v2 src0_sel:BYTE_0 src1_sel:DWORD
	s_and_b64 vcc, exec, s[10:11]
	v_cvt_u32_f64_e32 v2, v[0:1]
	s_cbranch_vccz .LBB7_74
; %bb.73:
	s_mov_b64 s[8:9], 0
	global_store_dword v[4:5], v2, off
.LBB7_74:
	s_andn2_b64 vcc, exec, s[8:9]
	s_cbranch_vccnz .LBB7_76
; %bb.75:
	global_store_short v[4:5], v2, off
.LBB7_76:
	s_mov_b64 s[8:9], 0
.LBB7_77:
	s_andn2_b64 vcc, exec, s[8:9]
	s_cbranch_vccnz .LBB7_85
; %bb.78:
	v_cvt_f32_f64_e32 v2, v[0:1]
	v_and_b32_e32 v3, 0x7fffffff, v2
	s_mov_b32 s8, 0x43800000
	v_cmp_gt_u32_e32 vcc, s8, v3
	v_mov_b32_e32 v6, 0x80
	s_and_saveexec_b64 s[8:9], vcc
	s_cbranch_execz .LBB7_84
; %bb.79:
	s_mov_b32 s10, 0x3bffffff
	v_cmp_lt_u32_e32 vcc, s10, v3
	s_mov_b64 s[10:11], 0
                                        ; implicit-def: $vgpr3
	s_and_saveexec_b64 s[12:13], vcc
	s_xor_b64 s[12:13], exec, s[12:13]
	s_cbranch_execz .LBB7_333
; %bb.80:
	v_bfe_u32 v3, v2, 20, 1
	s_mov_b32 s14, 0x487ffff
	v_add3_u32 v3, v2, v3, s14
	s_mov_b64 s[10:11], exec
	v_lshrrev_b32_e32 v3, 20, v3
	s_or_saveexec_b64 s[12:13], s[12:13]
                                        ; implicit-def: $sgpr14
	s_xor_b64 exec, exec, s[12:13]
	s_cbranch_execnz .LBB7_334
.LBB7_81:
	s_or_b64 exec, exec, s[12:13]
	v_mov_b32_e32 v6, s14
	s_and_saveexec_b64 s[12:13], s[10:11]
.LBB7_82:
	v_lshrrev_b32_e32 v2, 24, v2
	s_movk_i32 s10, 0x80
	v_and_or_b32 v6, v2, s10, v3
.LBB7_83:
	s_or_b64 exec, exec, s[12:13]
.LBB7_84:
	s_or_b64 exec, exec, s[8:9]
	global_store_byte v[4:5], v6, off
.LBB7_85:
	s_mov_b64 s[8:9], -1
.LBB7_86:
	s_mov_b64 s[10:11], 0
.LBB7_87:
	s_and_b64 vcc, exec, s[10:11]
	s_cbranch_vccz .LBB7_128
; %bb.88:
	v_mov_b32_e32 v2, 22
	v_cmp_gt_i16_sdwa s[12:13], s77, v2 src0_sel:BYTE_0 src1_sel:DWORD
	s_mov_b64 s[10:11], -1
	s_and_b64 vcc, exec, s[12:13]
	s_cbranch_vccz .LBB7_120
; %bb.89:
	v_mov_b32_e32 v2, 24
	v_cmp_lt_i16_sdwa s[10:11], s77, v2 src0_sel:BYTE_0 src1_sel:DWORD
	s_mov_b64 s[8:9], -1
	s_and_b64 vcc, exec, s[10:11]
	s_cbranch_vccnz .LBB7_109
; %bb.90:
	v_cmp_gt_i16_sdwa s[10:11], s77, v2 src0_sel:BYTE_0 src1_sel:DWORD
	s_and_b64 vcc, exec, s[10:11]
	s_cbranch_vccz .LBB7_98
; %bb.91:
	v_cvt_f32_f64_e32 v2, v[0:1]
	v_and_b32_e32 v3, 0x7fffffff, v2
	s_mov_b32 s8, 0x47800000
	v_cmp_gt_u32_e32 vcc, s8, v3
	v_mov_b32_e32 v6, 0x80
	s_and_saveexec_b64 s[8:9], vcc
	s_cbranch_execz .LBB7_97
; %bb.92:
	s_mov_b32 s10, 0x37ffffff
	v_cmp_lt_u32_e32 vcc, s10, v3
	s_mov_b64 s[10:11], 0
                                        ; implicit-def: $vgpr3
	s_and_saveexec_b64 s[12:13], vcc
	s_xor_b64 s[12:13], exec, s[12:13]
	s_cbranch_execz .LBB7_337
; %bb.93:
	v_bfe_u32 v3, v2, 21, 1
	s_mov_b32 s14, 0x88fffff
	v_add3_u32 v3, v2, v3, s14
	s_mov_b64 s[10:11], exec
	v_lshrrev_b32_e32 v3, 21, v3
	s_or_saveexec_b64 s[12:13], s[12:13]
                                        ; implicit-def: $sgpr14
	s_xor_b64 exec, exec, s[12:13]
	s_cbranch_execnz .LBB7_338
.LBB7_94:
	s_or_b64 exec, exec, s[12:13]
	v_mov_b32_e32 v6, s14
	s_and_saveexec_b64 s[12:13], s[10:11]
.LBB7_95:
	v_lshrrev_b32_e32 v2, 24, v2
	s_movk_i32 s10, 0x80
	v_and_or_b32 v6, v2, s10, v3
.LBB7_96:
	s_or_b64 exec, exec, s[12:13]
.LBB7_97:
	s_or_b64 exec, exec, s[8:9]
	s_mov_b64 s[8:9], 0
	global_store_byte v[4:5], v6, off
.LBB7_98:
	s_and_b64 vcc, exec, s[8:9]
	s_cbranch_vccz .LBB7_108
; %bb.99:
	v_cvt_f32_f64_e32 v2, v[0:1]
	v_and_b32_e32 v6, 0x7fffffff, v2
	s_mov_b32 s8, 0x43f00000
	v_cmp_gt_u32_e32 vcc, s8, v6
                                        ; implicit-def: $vgpr3
	s_and_saveexec_b64 s[8:9], vcc
	s_xor_b64 s[8:9], exec, s[8:9]
	s_cbranch_execz .LBB7_105
; %bb.100:
	s_mov_b32 s10, 0x3c7fffff
	v_cmp_lt_u32_e32 vcc, s10, v6
                                        ; implicit-def: $vgpr3
	s_and_saveexec_b64 s[10:11], vcc
	s_xor_b64 s[10:11], exec, s[10:11]
; %bb.101:
	v_bfe_u32 v3, v2, 20, 1
	s_mov_b32 s12, 0x407ffff
	v_add3_u32 v3, v2, v3, s12
	v_lshrrev_b32_e32 v6, 20, v3
	v_and_b32_e32 v3, 0xff00000, v3
	s_mov_b32 s12, 0x7f00000
	v_mov_b32_e32 v7, 0x7e
	v_cmp_ne_u32_e32 vcc, s12, v3
	v_cndmask_b32_e32 v3, v7, v6, vcc
; %bb.102:
	s_andn2_saveexec_b64 s[10:11], s[10:11]
; %bb.103:
	s_mov_b32 s12, 0x46800000
	v_add_f32_e64 v3, |v2|, s12
; %bb.104:
	s_or_b64 exec, exec, s[10:11]
                                        ; implicit-def: $vgpr6
.LBB7_105:
	s_andn2_saveexec_b64 s[8:9], s[8:9]
; %bb.106:
	s_mov_b32 s10, 0x7f800000
	v_mov_b32_e32 v3, 0x7e
	v_mov_b32_e32 v7, 0x7f
	v_cmp_lt_u32_e32 vcc, s10, v6
	v_cndmask_b32_e32 v3, v3, v7, vcc
; %bb.107:
	s_or_b64 exec, exec, s[8:9]
	v_lshrrev_b32_e32 v2, 24, v2
	s_movk_i32 s8, 0x80
	v_and_or_b32 v2, v2, s8, v3
	global_store_byte v[4:5], v2, off
.LBB7_108:
	s_mov_b64 s[8:9], 0
.LBB7_109:
	s_andn2_b64 vcc, exec, s[8:9]
	s_cbranch_vccnz .LBB7_119
; %bb.110:
	v_cvt_f32_f64_e32 v2, v[0:1]
	v_and_b32_e32 v6, 0x7fffffff, v2
	s_mov_b32 s8, 0x47800000
	v_cmp_gt_u32_e32 vcc, s8, v6
                                        ; implicit-def: $vgpr3
	s_and_saveexec_b64 s[8:9], vcc
	s_xor_b64 s[8:9], exec, s[8:9]
	s_cbranch_execz .LBB7_116
; %bb.111:
	s_mov_b32 s10, 0x387fffff
	v_cmp_lt_u32_e32 vcc, s10, v6
                                        ; implicit-def: $vgpr3
	s_and_saveexec_b64 s[10:11], vcc
	s_xor_b64 s[10:11], exec, s[10:11]
; %bb.112:
	v_bfe_u32 v3, v2, 21, 1
	s_mov_b32 s12, 0x80fffff
	v_add3_u32 v3, v2, v3, s12
	v_lshrrev_b32_e32 v3, 21, v3
; %bb.113:
	s_andn2_saveexec_b64 s[10:11], s[10:11]
; %bb.114:
	s_mov_b32 s12, 0x43000000
	v_add_f32_e64 v3, |v2|, s12
; %bb.115:
	s_or_b64 exec, exec, s[10:11]
                                        ; implicit-def: $vgpr6
.LBB7_116:
	s_andn2_saveexec_b64 s[8:9], s[8:9]
; %bb.117:
	s_mov_b32 s10, 0x7f800000
	v_mov_b32_e32 v3, 0x7c
	v_mov_b32_e32 v7, 0x7f
	v_cmp_lt_u32_e32 vcc, s10, v6
	v_cndmask_b32_e32 v3, v3, v7, vcc
; %bb.118:
	s_or_b64 exec, exec, s[8:9]
	v_lshrrev_b32_e32 v2, 24, v2
	s_movk_i32 s8, 0x80
	v_and_or_b32 v2, v2, s8, v3
	global_store_byte v[4:5], v2, off
.LBB7_119:
	s_mov_b64 s[10:11], 0
	s_mov_b64 s[8:9], -1
.LBB7_120:
	s_andn2_b64 vcc, exec, s[10:11]
	s_cbranch_vccnz .LBB7_128
; %bb.121:
	v_mov_b32_e32 v2, 14
	v_cmp_gt_i16_sdwa s[12:13], s77, v2 src0_sel:BYTE_0 src1_sel:DWORD
	s_mov_b64 s[10:11], -1
	s_and_b64 vcc, exec, s[12:13]
	s_cbranch_vccz .LBB7_125
; %bb.122:
	v_mov_b32_e32 v2, 15
	v_cmp_eq_u16_sdwa s[10:11], s77, v2 src0_sel:BYTE_0 src1_sel:DWORD
	s_mov_b64 s[0:1], -1
	s_and_b64 vcc, exec, s[10:11]
	s_cbranch_vccz .LBB7_124
; %bb.123:
	v_cvt_f32_f64_e32 v2, v[0:1]
	v_bfe_u32 v3, v2, 16, 1
	s_movk_i32 s0, 0x7fff
	v_add3_u32 v3, v2, v3, s0
	v_lshrrev_b32_e32 v3, 16, v3
	v_mov_b32_e32 v6, 0x7fc0
	v_cmp_o_f32_e32 vcc, v2, v2
	v_cndmask_b32_e32 v2, v6, v3, vcc
	global_store_short v[4:5], v2, off
	s_mov_b64 s[8:9], -1
	s_mov_b64 s[0:1], 0
.LBB7_124:
	s_mov_b64 s[10:11], 0
.LBB7_125:
	s_and_b64 vcc, exec, s[10:11]
	s_cbranch_vccz .LBB7_128
; %bb.126:
	v_mov_b32_e32 v2, 11
	v_cmp_eq_u16_sdwa s[10:11], s77, v2 src0_sel:BYTE_0 src1_sel:DWORD
	s_mov_b64 s[0:1], -1
	s_and_b64 vcc, exec, s[10:11]
	s_cbranch_vccz .LBB7_128
; %bb.127:
	v_cmp_neq_f64_e32 vcc, 0, v[0:1]
	s_mov_b64 s[0:1], 0
	v_cndmask_b32_e64 v2, 0, 1, vcc
	s_mov_b64 s[8:9], -1
	global_store_byte v[4:5], v2, off
.LBB7_128:
	s_branch .LBB7_47
.LBB7_129:
	v_mov_b32_e32 v2, 5
	v_cmp_lt_i16_sdwa s[10:11], s77, v2 src0_sel:BYTE_0 src1_sel:DWORD
	s_mov_b64 s[8:9], -1
	s_and_b64 vcc, exec, s[10:11]
	s_cbranch_vccnz .LBB7_150
; %bb.130:
	v_mov_b32_e32 v2, 8
	v_cmp_lt_i16_sdwa s[10:11], s77, v2 src0_sel:BYTE_0 src1_sel:DWORD
	s_and_b64 vcc, exec, s[10:11]
	s_cbranch_vccnz .LBB7_140
; %bb.131:
	v_mov_b32_e32 v2, 9
	v_cmp_lt_i16_sdwa s[10:11], s77, v2 src0_sel:BYTE_0 src1_sel:DWORD
	s_and_b64 vcc, exec, s[10:11]
	s_cbranch_vccnz .LBB7_137
; %bb.132:
	v_cmp_gt_i16_sdwa s[10:11], s77, v2 src0_sel:BYTE_0 src1_sel:DWORD
	s_and_b64 vcc, exec, s[10:11]
	s_cbranch_vccz .LBB7_134
; %bb.133:
	v_mov_b32_e32 v2, 0
	v_mov_b32_e32 v3, v2
	global_store_dwordx4 v[4:5], v[0:3], off
	s_mov_b64 s[8:9], 0
.LBB7_134:
	s_andn2_b64 vcc, exec, s[8:9]
	s_cbranch_vccnz .LBB7_136
; %bb.135:
	v_cvt_f32_f64_e32 v2, v[0:1]
	v_mov_b32_e32 v3, 0
	global_store_dwordx2 v[4:5], v[2:3], off
.LBB7_136:
	s_mov_b64 s[8:9], 0
.LBB7_137:
	s_andn2_b64 vcc, exec, s[8:9]
	s_cbranch_vccnz .LBB7_139
; %bb.138:
	v_cvt_f32_f64_e32 v2, v[0:1]
	v_cvt_f16_f32_e32 v2, v2
	global_store_dword v[4:5], v2, off
.LBB7_139:
	s_mov_b64 s[8:9], 0
.LBB7_140:
	s_andn2_b64 vcc, exec, s[8:9]
	s_cbranch_vccnz .LBB7_149
; %bb.141:
	v_mov_b32_e32 v2, 6
	v_cmp_lt_i16_sdwa s[10:11], s77, v2 src0_sel:BYTE_0 src1_sel:DWORD
	s_mov_b64 s[8:9], -1
	s_and_b64 vcc, exec, s[10:11]
	s_cbranch_vccnz .LBB7_147
; %bb.142:
	v_cmp_gt_i16_sdwa s[10:11], s77, v2 src0_sel:BYTE_0 src1_sel:DWORD
	s_and_b64 vcc, exec, s[10:11]
	s_cbranch_vccz .LBB7_144
; %bb.143:
	global_store_dwordx2 v[4:5], v[0:1], off
	s_mov_b64 s[8:9], 0
.LBB7_144:
	s_andn2_b64 vcc, exec, s[8:9]
	s_cbranch_vccnz .LBB7_146
; %bb.145:
	v_cvt_f32_f64_e32 v2, v[0:1]
	global_store_dword v[4:5], v2, off
.LBB7_146:
	s_mov_b64 s[8:9], 0
.LBB7_147:
	s_andn2_b64 vcc, exec, s[8:9]
	s_cbranch_vccnz .LBB7_149
; %bb.148:
	v_cvt_f32_f64_e32 v2, v[0:1]
	v_cvt_f16_f32_e32 v2, v2
	global_store_short v[4:5], v2, off
.LBB7_149:
	s_mov_b64 s[8:9], 0
.LBB7_150:
	s_andn2_b64 vcc, exec, s[8:9]
	s_cbranch_vccnz .LBB7_166
; %bb.151:
	v_mov_b32_e32 v2, 2
	v_cmp_lt_i16_sdwa s[10:11], s77, v2 src0_sel:BYTE_0 src1_sel:DWORD
	s_mov_b64 s[8:9], -1
	s_and_b64 vcc, exec, s[10:11]
	s_cbranch_vccnz .LBB7_161
; %bb.152:
	v_mov_b32_e32 v2, 3
	v_cmp_lt_i16_sdwa s[10:11], s77, v2 src0_sel:BYTE_0 src1_sel:DWORD
	s_and_b64 vcc, exec, s[10:11]
	s_cbranch_vccnz .LBB7_158
; %bb.153:
	v_cmp_gt_i16_sdwa s[10:11], s77, v2 src0_sel:BYTE_0 src1_sel:DWORD
	s_and_b64 vcc, exec, s[10:11]
	s_cbranch_vccz .LBB7_155
; %bb.154:
	v_trunc_f64_e32 v[2:3], v[0:1]
	s_movk_i32 s8, 0xffe0
	v_ldexp_f64 v[6:7], v[2:3], s8
	v_floor_f64_e32 v[6:7], v[6:7]
	v_fmac_f64_e32 v[2:3], 0xc1f00000, v[6:7]
	v_cvt_i32_f64_e32 v11, v[6:7]
	v_cvt_u32_f64_e32 v10, v[2:3]
	global_store_dwordx2 v[4:5], v[10:11], off
	s_mov_b64 s[8:9], 0
.LBB7_155:
	s_andn2_b64 vcc, exec, s[8:9]
	s_cbranch_vccnz .LBB7_157
; %bb.156:
	v_cvt_i32_f64_e32 v2, v[0:1]
	global_store_dword v[4:5], v2, off
.LBB7_157:
	s_mov_b64 s[8:9], 0
.LBB7_158:
	s_andn2_b64 vcc, exec, s[8:9]
	s_cbranch_vccnz .LBB7_160
; %bb.159:
	v_cvt_i32_f64_e32 v2, v[0:1]
	global_store_short v[4:5], v2, off
.LBB7_160:
	s_mov_b64 s[8:9], 0
.LBB7_161:
	s_andn2_b64 vcc, exec, s[8:9]
	s_cbranch_vccnz .LBB7_166
; %bb.162:
	v_mov_b32_e32 v2, 0
	v_cmp_gt_i16_sdwa s[10:11], s77, v2 src0_sel:BYTE_0 src1_sel:DWORD
	s_mov_b64 s[8:9], -1
	s_and_b64 vcc, exec, s[10:11]
	s_cbranch_vccz .LBB7_164
; %bb.163:
	v_cvt_i32_f64_e32 v2, v[0:1]
	global_store_byte v[4:5], v2, off
	s_mov_b64 s[8:9], 0
.LBB7_164:
	s_andn2_b64 vcc, exec, s[8:9]
	s_cbranch_vccnz .LBB7_166
; %bb.165:
	v_trunc_f64_e32 v[0:1], v[0:1]
	s_movk_i32 s8, 0xffe0
	v_ldexp_f64 v[2:3], v[0:1], s8
	v_floor_f64_e32 v[2:3], v[2:3]
	v_fmac_f64_e32 v[0:1], 0xc1f00000, v[2:3]
	v_cvt_u32_f64_e32 v0, v[0:1]
	global_store_byte v[4:5], v0, off
.LBB7_166:
.LBB7_167:
	v_add_u32_e32 v9, 0x80, v9
	s_mov_b64 s[8:9], -1
	s_branch .LBB7_278
.LBB7_168:
	s_mov_b64 s[2:3], -1
                                        ; implicit-def: $vgpr4_vgpr5
.LBB7_169:
	s_mov_b64 s[8:9], 0
.LBB7_170:
	s_and_b64 vcc, exec, s[8:9]
	s_cbranch_vccz .LBB7_174
; %bb.171:
	v_cmp_eq_u16_e32 vcc, 29, v8
	s_cbranch_vccz .LBB7_173
; %bb.172:
	global_load_dwordx2 v[4:5], v[0:1], off
	s_mov_b64 s[0:1], -1
	s_mov_b64 s[2:3], 0
	s_mov_b64 s[8:9], 0
	s_waitcnt vmcnt(0)
	v_cvt_f64_u32_e32 v[6:7], v5
	v_cvt_f64_u32_e32 v[4:5], v4
	v_ldexp_f64 v[6:7], v[6:7], 32
	v_add_f64 v[4:5], v[6:7], v[4:5]
	s_branch .LBB7_175
.LBB7_173:
	s_mov_b64 s[2:3], -1
                                        ; implicit-def: $vgpr4_vgpr5
.LBB7_174:
	s_mov_b64 s[8:9], 0
.LBB7_175:
	s_and_b64 vcc, exec, s[8:9]
	s_cbranch_vccz .LBB7_193
; %bb.176:
	v_cmp_gt_i16_e32 vcc, 27, v8
	s_cbranch_vccnz .LBB7_179
; %bb.177:
	v_cmp_lt_i16_e32 vcc, 27, v8
	s_cbranch_vccz .LBB7_180
; %bb.178:
	global_load_dword v3, v[0:1], off
	s_mov_b64 s[0:1], 0
	s_waitcnt vmcnt(0)
	v_cvt_f64_u32_e32 v[4:5], v3
	s_branch .LBB7_181
.LBB7_179:
	s_mov_b64 s[0:1], -1
                                        ; implicit-def: $vgpr4_vgpr5
	s_branch .LBB7_184
.LBB7_180:
	s_mov_b64 s[0:1], -1
                                        ; implicit-def: $vgpr4_vgpr5
.LBB7_181:
	s_andn2_b64 vcc, exec, s[0:1]
	s_cbranch_vccnz .LBB7_183
; %bb.182:
	global_load_ushort v3, v[0:1], off
	s_waitcnt vmcnt(0)
	v_cvt_f64_u32_e32 v[4:5], v3
.LBB7_183:
	s_mov_b64 s[0:1], 0
.LBB7_184:
	s_andn2_b64 vcc, exec, s[0:1]
	s_cbranch_vccnz .LBB7_192
; %bb.185:
	global_load_ubyte v3, v[0:1], off
	s_movk_i32 s0, 0x7f
                                        ; implicit-def: $sgpr8_sgpr9
	s_waitcnt vmcnt(0)
	v_cmp_lt_i16_e32 vcc, s0, v3
	s_mov_b64 s[0:1], 0
	s_and_saveexec_b64 s[10:11], vcc
	s_xor_b64 s[10:11], exec, s[10:11]
	s_cbranch_execz .LBB7_205
; %bb.186:
	s_movk_i32 s0, 0x80
	v_cmp_eq_u16_e32 vcc, s0, v3
	s_mov_b64 s[12:13], -1
                                        ; implicit-def: $sgpr8_sgpr9
	s_and_saveexec_b64 s[0:1], vcc
; %bb.187:
	s_mov_b32 s9, 0x7ff80000
	s_brev_b32 s8, 4
	s_xor_b64 s[12:13], exec, -1
; %bb.188:
	s_or_b64 exec, exec, s[0:1]
	s_and_b64 s[0:1], s[12:13], exec
	s_or_saveexec_b64 s[10:11], s[10:11]
	v_pk_mov_b32 v[4:5], s[8:9], s[8:9] op_sel:[0,1]
	s_xor_b64 exec, exec, s[10:11]
	s_cbranch_execnz .LBB7_206
.LBB7_189:
	s_or_b64 exec, exec, s[10:11]
	s_and_saveexec_b64 s[8:9], s[0:1]
	s_cbranch_execz .LBB7_191
.LBB7_190:
	v_lshlrev_b32_e32 v4, 24, v3
	v_and_b32_e32 v3, 0xffff, v3
	v_and_b32_e32 v5, 7, v3
	v_ffbh_u32_e32 v7, v5
	v_min_u32_e32 v7, 32, v7
	v_subrev_u32_e32 v10, 28, v7
	v_bfe_u32 v6, v3, 3, 4
	v_lshlrev_b32_e32 v3, v10, v3
	v_sub_u32_e32 v7, 29, v7
	v_and_b32_e32 v3, 7, v3
	v_cmp_eq_u32_e32 vcc, 0, v6
	v_cndmask_b32_e32 v6, v6, v7, vcc
	v_cndmask_b32_e32 v3, v5, v3, vcc
	v_mov_b32_e32 v5, 0x3b800000
	v_lshlrev_b32_e32 v3, 20, v3
	v_and_b32_e32 v4, 0x80000000, v4
	v_lshl_add_u32 v5, v6, 23, v5
	v_or3_b32 v3, v4, v5, v3
	v_cvt_f64_f32_e32 v[4:5], v3
.LBB7_191:
	s_or_b64 exec, exec, s[8:9]
.LBB7_192:
	s_mov_b64 s[0:1], -1
.LBB7_193:
	s_branch .LBB7_228
.LBB7_194:
	v_cmp_lt_i16_e32 vcc, 22, v8
	s_cbranch_vccz .LBB7_204
; %bb.195:
	v_cmp_gt_i16_e32 vcc, 24, v8
	s_cbranch_vccnz .LBB7_207
; %bb.196:
	v_cmp_lt_i16_e32 vcc, 24, v8
	s_cbranch_vccz .LBB7_208
; %bb.197:
	global_load_ubyte v3, v[0:1], off
	s_movk_i32 s0, 0x7f
                                        ; implicit-def: $sgpr8_sgpr9
	s_waitcnt vmcnt(0)
	v_cmp_lt_i16_e32 vcc, s0, v3
	s_mov_b64 s[0:1], 0
	s_and_saveexec_b64 s[10:11], vcc
	s_xor_b64 s[10:11], exec, s[10:11]
	s_cbranch_execz .LBB7_220
; %bb.198:
	s_movk_i32 s0, 0x80
	v_cmp_eq_u16_e32 vcc, s0, v3
	s_mov_b64 s[12:13], -1
                                        ; implicit-def: $sgpr8_sgpr9
	s_and_saveexec_b64 s[0:1], vcc
; %bb.199:
	s_mov_b32 s9, 0x7ff80000
	s_brev_b32 s8, 4
	s_xor_b64 s[12:13], exec, -1
; %bb.200:
	s_or_b64 exec, exec, s[0:1]
	s_and_b64 s[0:1], s[12:13], exec
	s_or_saveexec_b64 s[10:11], s[10:11]
	v_pk_mov_b32 v[4:5], s[8:9], s[8:9] op_sel:[0,1]
	s_xor_b64 exec, exec, s[10:11]
	s_cbranch_execnz .LBB7_221
.LBB7_201:
	s_or_b64 exec, exec, s[10:11]
	s_and_saveexec_b64 s[8:9], s[0:1]
	s_cbranch_execz .LBB7_203
.LBB7_202:
	v_lshlrev_b32_e32 v4, 24, v3
	v_and_b32_e32 v3, 0xffff, v3
	v_and_b32_e32 v5, 3, v3
	v_ffbh_u32_e32 v7, v5
	v_min_u32_e32 v7, 32, v7
	v_subrev_u32_e32 v10, 29, v7
	v_bfe_u32 v6, v3, 2, 5
	v_lshlrev_b32_e32 v3, v10, v3
	v_sub_u32_e32 v7, 30, v7
	v_and_b32_e32 v3, 3, v3
	v_cmp_eq_u32_e32 vcc, 0, v6
	v_cndmask_b32_e32 v6, v6, v7, vcc
	v_cndmask_b32_e32 v3, v5, v3, vcc
	v_mov_b32_e32 v5, 0x37800000
	v_lshlrev_b32_e32 v3, 21, v3
	v_and_b32_e32 v4, 0x80000000, v4
	v_lshl_add_u32 v5, v6, 23, v5
	v_or3_b32 v3, v4, v5, v3
	v_cvt_f64_f32_e32 v[4:5], v3
.LBB7_203:
	s_or_b64 exec, exec, s[8:9]
	s_mov_b64 s[0:1], 0
	s_branch .LBB7_209
.LBB7_204:
	s_mov_b64 s[8:9], -1
                                        ; implicit-def: $vgpr4_vgpr5
	s_branch .LBB7_215
.LBB7_205:
	s_or_saveexec_b64 s[10:11], s[10:11]
	v_pk_mov_b32 v[4:5], s[8:9], s[8:9] op_sel:[0,1]
	s_xor_b64 exec, exec, s[10:11]
	s_cbranch_execz .LBB7_189
.LBB7_206:
	v_cmp_ne_u16_e32 vcc, 0, v3
	s_andn2_b64 s[0:1], s[0:1], exec
	s_and_b64 s[8:9], vcc, exec
	v_pk_mov_b32 v[4:5], 0, 0
	s_or_b64 s[0:1], s[0:1], s[8:9]
	s_or_b64 exec, exec, s[10:11]
	s_and_saveexec_b64 s[8:9], s[0:1]
	s_cbranch_execnz .LBB7_190
	s_branch .LBB7_191
.LBB7_207:
	s_mov_b64 s[0:1], -1
                                        ; implicit-def: $vgpr4_vgpr5
	s_branch .LBB7_212
.LBB7_208:
	s_mov_b64 s[0:1], -1
                                        ; implicit-def: $vgpr4_vgpr5
.LBB7_209:
	s_and_b64 vcc, exec, s[0:1]
	s_cbranch_vccz .LBB7_211
; %bb.210:
	global_load_ubyte v3, v[0:1], off
	s_mov_b32 s0, 0x7f800000
	s_waitcnt vmcnt(0)
	v_lshlrev_b32_e32 v3, 24, v3
	v_and_b32_e32 v4, 0x7f000000, v3
	v_ffbh_u32_e32 v5, v4
	v_min_u32_e32 v5, 32, v5
	v_sub_u32_e64 v5, v5, 4 clamp
	v_lshlrev_b32_e32 v7, v5, v4
	v_lshlrev_b32_e32 v5, 23, v5
	v_lshrrev_b32_e32 v7, 4, v7
	v_add_u32_e32 v6, 0x1000000, v4
	v_sub_u32_e32 v5, v7, v5
	v_ashrrev_i32_e32 v6, 8, v6
	v_add_u32_e32 v5, 0x3c000000, v5
	v_and_or_b32 v5, v6, s0, v5
	v_cmp_ne_u32_e32 vcc, 0, v4
	v_cndmask_b32_e32 v4, 0, v5, vcc
	s_brev_b32 s0, 1
	v_and_or_b32 v3, v3, s0, v4
	v_cvt_f64_f32_e32 v[4:5], v3
.LBB7_211:
	s_mov_b64 s[0:1], 0
.LBB7_212:
	s_andn2_b64 vcc, exec, s[0:1]
	s_cbranch_vccnz .LBB7_214
; %bb.213:
	global_load_ubyte v3, v[0:1], off
	s_movk_i32 s0, 0x7f00
	s_brev_b32 s1, 16
	s_waitcnt vmcnt(0)
	v_lshlrev_b16_e32 v4, 8, v3
	v_lshlrev_b32_e32 v3, 25, v3
	v_lshrrev_b32_e32 v5, 4, v3
	v_and_or_b32 v6, v4, s0, 0.5
	v_or_b32_e32 v5, 0x70000000, v5
	v_add_f32_e32 v6, -0.5, v6
	v_mul_f32_e32 v5, 0x7800000, v5
	v_cmp_gt_u32_e32 vcc, s1, v3
	v_bfe_i32 v4, v4, 0, 16
	v_cndmask_b32_e32 v3, v5, v6, vcc
	s_brev_b32 s0, 1
	v_and_or_b32 v3, v4, s0, v3
	v_cvt_f64_f32_e32 v[4:5], v3
.LBB7_214:
	s_mov_b64 s[8:9], 0
	s_mov_b64 s[0:1], -1
.LBB7_215:
	s_andn2_b64 vcc, exec, s[8:9]
	s_cbranch_vccnz .LBB7_228
; %bb.216:
	v_cmp_lt_i16_e32 vcc, 14, v8
	s_cbranch_vccz .LBB7_219
; %bb.217:
	v_cmp_eq_u16_e32 vcc, 15, v8
	s_cbranch_vccz .LBB7_222
; %bb.218:
	global_load_ushort v3, v[0:1], off
	s_mov_b64 s[0:1], -1
	s_mov_b64 s[2:3], 0
	s_waitcnt vmcnt(0)
	v_lshlrev_b32_e32 v3, 16, v3
	v_cvt_f64_f32_e32 v[4:5], v3
	s_branch .LBB7_223
.LBB7_219:
	s_mov_b64 s[8:9], -1
                                        ; implicit-def: $vgpr4_vgpr5
	s_branch .LBB7_224
.LBB7_220:
	s_or_saveexec_b64 s[10:11], s[10:11]
	v_pk_mov_b32 v[4:5], s[8:9], s[8:9] op_sel:[0,1]
	s_xor_b64 exec, exec, s[10:11]
	s_cbranch_execz .LBB7_201
.LBB7_221:
	v_cmp_ne_u16_e32 vcc, 0, v3
	s_andn2_b64 s[0:1], s[0:1], exec
	s_and_b64 s[8:9], vcc, exec
	v_pk_mov_b32 v[4:5], 0, 0
	s_or_b64 s[0:1], s[0:1], s[8:9]
	s_or_b64 exec, exec, s[10:11]
	s_and_saveexec_b64 s[8:9], s[0:1]
	s_cbranch_execnz .LBB7_202
	s_branch .LBB7_203
.LBB7_222:
	s_mov_b64 s[2:3], -1
                                        ; implicit-def: $vgpr4_vgpr5
.LBB7_223:
	s_mov_b64 s[8:9], 0
.LBB7_224:
	s_and_b64 vcc, exec, s[8:9]
	s_cbranch_vccz .LBB7_228
; %bb.225:
	v_cmp_eq_u16_e32 vcc, 11, v8
	s_cbranch_vccz .LBB7_227
; %bb.226:
	global_load_ubyte v3, v[0:1], off
	v_mov_b32_e32 v5, 0x3ff00000
	v_mov_b32_e32 v4, 0
	s_mov_b64 s[0:1], -1
	s_mov_b64 s[2:3], 0
	s_waitcnt vmcnt(0)
	v_cmp_ne_u16_e32 vcc, 0, v3
	v_cndmask_b32_e32 v5, 0, v5, vcc
	s_branch .LBB7_228
.LBB7_227:
	s_mov_b64 s[2:3], -1
                                        ; implicit-def: $vgpr4_vgpr5
.LBB7_228:
	s_branch .LBB7_25
.LBB7_229:
	v_cmp_gt_i16_e32 vcc, 5, v8
	s_cbranch_vccnz .LBB7_234
; %bb.230:
	v_cmp_gt_i16_e32 vcc, 8, v8
	s_cbranch_vccnz .LBB7_235
; %bb.231:
	;; [unrolled: 3-line block ×3, first 2 shown]
	v_cmp_lt_i16_e32 vcc, 9, v8
	s_cbranch_vccz .LBB7_237
; %bb.233:
	global_load_dwordx2 v[4:5], v[0:1], off
	s_mov_b64 s[0:1], 0
	s_branch .LBB7_238
.LBB7_234:
                                        ; implicit-def: $vgpr4_vgpr5
	s_branch .LBB7_256
.LBB7_235:
	s_mov_b64 s[0:1], -1
                                        ; implicit-def: $vgpr4_vgpr5
	s_branch .LBB7_244
.LBB7_236:
	s_mov_b64 s[0:1], -1
                                        ; implicit-def: $vgpr4_vgpr5
	s_branch .LBB7_241
.LBB7_237:
	s_mov_b64 s[0:1], -1
                                        ; implicit-def: $vgpr4_vgpr5
.LBB7_238:
	s_andn2_b64 vcc, exec, s[0:1]
	s_cbranch_vccnz .LBB7_240
; %bb.239:
	global_load_dword v3, v[0:1], off
	s_waitcnt vmcnt(0)
	v_cvt_f64_f32_e32 v[4:5], v3
.LBB7_240:
	s_mov_b64 s[0:1], 0
.LBB7_241:
	s_andn2_b64 vcc, exec, s[0:1]
	s_cbranch_vccnz .LBB7_243
; %bb.242:
	global_load_dword v3, v[0:1], off
	s_waitcnt vmcnt(0)
	v_cvt_f32_f16_e32 v3, v3
	v_cvt_f64_f32_e32 v[4:5], v3
.LBB7_243:
	s_mov_b64 s[0:1], 0
.LBB7_244:
	s_andn2_b64 vcc, exec, s[0:1]
	s_cbranch_vccnz .LBB7_255
; %bb.245:
	v_cmp_gt_i16_e32 vcc, 6, v8
	s_cbranch_vccnz .LBB7_248
; %bb.246:
	v_cmp_lt_i16_e32 vcc, 6, v8
	s_cbranch_vccz .LBB7_249
; %bb.247:
	global_load_dwordx2 v[4:5], v[0:1], off
	s_mov_b64 s[0:1], 0
	s_branch .LBB7_250
.LBB7_248:
	s_mov_b64 s[0:1], -1
                                        ; implicit-def: $vgpr4_vgpr5
	s_branch .LBB7_253
.LBB7_249:
	s_mov_b64 s[0:1], -1
                                        ; implicit-def: $vgpr4_vgpr5
.LBB7_250:
	s_andn2_b64 vcc, exec, s[0:1]
	s_cbranch_vccnz .LBB7_252
; %bb.251:
	global_load_dword v3, v[0:1], off
	s_waitcnt vmcnt(0)
	v_cvt_f64_f32_e32 v[4:5], v3
.LBB7_252:
	s_mov_b64 s[0:1], 0
.LBB7_253:
	s_andn2_b64 vcc, exec, s[0:1]
	s_cbranch_vccnz .LBB7_255
; %bb.254:
	global_load_ushort v3, v[0:1], off
	s_waitcnt vmcnt(0)
	v_cvt_f32_f16_e32 v3, v3
	v_cvt_f64_f32_e32 v[4:5], v3
.LBB7_255:
	s_cbranch_execnz .LBB7_275
.LBB7_256:
	v_cmp_gt_i16_e32 vcc, 2, v8
	s_cbranch_vccnz .LBB7_260
; %bb.257:
	v_cmp_gt_i16_e32 vcc, 3, v8
	s_cbranch_vccnz .LBB7_261
; %bb.258:
	v_cmp_lt_i16_e32 vcc, 3, v8
	s_cbranch_vccz .LBB7_262
; %bb.259:
	global_load_dwordx2 v[4:5], v[0:1], off
	s_mov_b64 s[0:1], 0
	s_waitcnt vmcnt(0)
	v_cvt_f64_i32_e32 v[6:7], v5
	v_cvt_f64_u32_e32 v[4:5], v4
	v_ldexp_f64 v[6:7], v[6:7], 32
	v_add_f64 v[4:5], v[6:7], v[4:5]
	s_branch .LBB7_263
.LBB7_260:
	s_mov_b64 s[0:1], -1
                                        ; implicit-def: $vgpr4_vgpr5
	s_branch .LBB7_269
.LBB7_261:
	s_mov_b64 s[0:1], -1
                                        ; implicit-def: $vgpr4_vgpr5
	s_branch .LBB7_266
.LBB7_262:
	s_mov_b64 s[0:1], -1
                                        ; implicit-def: $vgpr4_vgpr5
.LBB7_263:
	s_andn2_b64 vcc, exec, s[0:1]
	s_cbranch_vccnz .LBB7_265
; %bb.264:
	global_load_dword v3, v[0:1], off
	s_waitcnt vmcnt(0)
	v_cvt_f64_i32_e32 v[4:5], v3
.LBB7_265:
	s_mov_b64 s[0:1], 0
.LBB7_266:
	s_andn2_b64 vcc, exec, s[0:1]
	s_cbranch_vccnz .LBB7_268
; %bb.267:
	global_load_sshort v3, v[0:1], off
	s_waitcnt vmcnt(0)
	v_cvt_f64_i32_e32 v[4:5], v3
.LBB7_268:
	s_mov_b64 s[0:1], 0
.LBB7_269:
	s_andn2_b64 vcc, exec, s[0:1]
	s_cbranch_vccnz .LBB7_275
; %bb.270:
	v_cmp_lt_i16_e32 vcc, 0, v8
	s_cbranch_vccz .LBB7_272
; %bb.271:
	global_load_sbyte v3, v[0:1], off
	s_mov_b64 s[0:1], 0
	s_waitcnt vmcnt(0)
	v_cvt_f64_i32_e32 v[4:5], v3
	s_branch .LBB7_273
.LBB7_272:
	s_mov_b64 s[0:1], -1
                                        ; implicit-def: $vgpr4_vgpr5
.LBB7_273:
	s_andn2_b64 vcc, exec, s[0:1]
	s_cbranch_vccnz .LBB7_275
; %bb.274:
	global_load_ubyte v0, v[0:1], off
	s_waitcnt vmcnt(0)
	v_cvt_f64_u32_e32 v[4:5], v0
.LBB7_275:
	s_branch .LBB7_26
.LBB7_276:
	s_mov_b64 s[0:1], 0
.LBB7_277:
	s_mov_b64 s[8:9], 0
                                        ; implicit-def: $vgpr9
.LBB7_278:
	s_and_b64 s[54:55], s[0:1], exec
	s_and_b64 s[56:57], s[2:3], exec
	s_orn2_b64 s[2:3], s[8:9], exec
.LBB7_279:
	s_or_b64 exec, exec, s[58:59]
	s_mov_b64 s[10:11], 0
	s_mov_b64 s[0:1], 0
                                        ; implicit-def: $vgpr0_vgpr1
                                        ; implicit-def: $vgpr2
                                        ; implicit-def: $vgpr6_vgpr7
	s_and_saveexec_b64 s[58:59], s[2:3]
	s_cbranch_execz .LBB7_287
; %bb.280:
	v_cmp_gt_i32_e32 vcc, s74, v9
	s_mov_b64 s[0:1], -1
	s_mov_b64 s[60:61], s[56:57]
	s_mov_b64 s[62:63], s[54:55]
	s_and_saveexec_b64 s[64:65], vcc
	s_cbranch_execz .LBB7_568
; %bb.281:
	s_andn2_b64 vcc, exec, s[40:41]
	s_cbranch_vccnz .LBB7_290
; %bb.282:
	s_mov_b32 s60, 0
	s_andn2_b64 vcc, exec, s[52:53]
	v_mov_b32_e32 v0, 0
	v_mov_b32_e32 v2, 0
	s_cbranch_vccnz .LBB7_296
; %bb.283:
	s_add_i32 s68, s75, 1
	s_cmp_eq_u32 s76, 2
	s_cbranch_scc1 .LBB7_291
; %bb.284:
	s_and_b32 s60, s68, 28
	s_mov_b32 s61, 0
	v_mov_b32_e32 v2, 0
	s_mov_b64 s[62:63], s[34:35]
	s_mov_b64 s[66:67], s[50:51]
	v_mov_b32_e32 v1, v9
	v_mov_b32_e32 v0, 0
.LBB7_285:                              ; =>This Inner Loop Header: Depth=1
	s_load_dwordx8 s[16:23], s[62:63], 0x4
	s_load_dwordx4 s[0:3], s[62:63], 0x24
	s_load_dwordx8 s[8:15], s[66:67], 0x0
	s_add_u32 s62, s62, 48
	s_addc_u32 s63, s63, 0
	s_waitcnt lgkmcnt(0)
	v_mul_hi_u32 v3, s17, v1
	v_add_u32_e32 v3, v1, v3
	v_lshrrev_b32_e32 v3, s18, v3
	s_waitcnt vmcnt(0)
	v_mul_lo_u32 v4, v3, s16
	v_mul_hi_u32 v5, s20, v3
	v_sub_u32_e32 v1, v1, v4
	v_add_u32_e32 v4, v3, v5
	v_lshrrev_b32_e32 v4, s21, v4
	v_mul_lo_u32 v6, v4, s19
	v_mul_hi_u32 v7, s23, v4
	v_sub_u32_e32 v3, v3, v6
	v_add_u32_e32 v6, v4, v7
	v_mul_lo_u32 v5, v1, s9
	v_mul_lo_u32 v1, v1, s8
	;; [unrolled: 1-line block ×4, first 2 shown]
	v_lshrrev_b32_e32 v6, s0, v6
	v_add3_u32 v2, v1, v2, v3
	v_mul_lo_u32 v1, v6, s22
	v_mul_hi_u32 v3, s2, v6
	v_sub_u32_e32 v1, v4, v1
	v_add_u32_e32 v3, v6, v3
	v_add3_u32 v0, v5, v0, v7
	v_mul_lo_u32 v4, v1, s12
	v_mul_lo_u32 v5, v1, s13
	v_lshrrev_b32_e32 v1, s3, v3
	s_add_i32 s61, s61, 4
	v_mul_lo_u32 v3, v1, s1
	s_add_u32 s66, s66, 32
	v_sub_u32_e32 v3, v6, v3
	s_addc_u32 s67, s67, 0
	v_mul_lo_u32 v6, v3, s14
	v_mul_lo_u32 v3, v3, s15
	s_cmp_eq_u32 s60, s61
	v_add3_u32 v0, v5, v0, v3
	v_add3_u32 v2, v4, v2, v6
	s_cbranch_scc0 .LBB7_285
; %bb.286:
	v_mov_b32_e32 v3, v0
	s_branch .LBB7_292
.LBB7_287:
	s_or_b64 exec, exec, s[58:59]
	s_mov_b64 s[2:3], 0
	s_and_saveexec_b64 s[8:9], s[56:57]
	s_cbranch_execnz .LBB7_958
.LBB7_288:
	s_or_b64 exec, exec, s[8:9]
	s_and_saveexec_b64 s[8:9], s[62:63]
	s_xor_b64 s[8:9], exec, s[8:9]
	s_cbranch_execz .LBB7_959
.LBB7_289:
	global_load_ubyte v3, v[0:1], off
	s_waitcnt vmcnt(1)
	v_mov_b32_e32 v4, 0x3ff00000
	v_mov_b32_e32 v6, 0
	s_or_b64 s[0:1], s[0:1], exec
	s_waitcnt vmcnt(0)
	v_cmp_ne_u16_e32 vcc, 0, v3
	v_cndmask_b32_e32 v7, 0, v4, vcc
	s_or_b64 exec, exec, s[8:9]
	s_and_saveexec_b64 s[8:9], s[10:11]
	s_cbranch_execz .LBB7_1005
	s_branch .LBB7_960
.LBB7_290:
                                        ; implicit-def: $vgpr0
                                        ; implicit-def: $vgpr2
	s_andn2_b64 vcc, exec, s[0:1]
	s_cbranch_vccz .LBB7_297
	s_branch .LBB7_299
.LBB7_291:
	s_mov_b32 s61, s60
	v_pk_mov_b32 v[2:3], s[60:61], s[60:61] op_sel:[0,1]
                                        ; implicit-def: $vgpr0
	v_mov_b32_e32 v1, v9
.LBB7_292:
	s_and_b32 s8, s68, 3
	s_cmp_eq_u32 s8, 0
	s_cbranch_scc1 .LBB7_296
; %bb.293:
	s_lshl_b32 s0, s60, 3
	s_add_u32 s0, s0, s34
	s_addc_u32 s1, s35, 0
	s_add_u32 s0, s0, 0xc4
	s_addc_u32 s1, s1, 0
	s_mul_i32 s2, s60, 12
	s_add_u32 s2, s34, s2
	s_addc_u32 s3, s35, 0
.LBB7_294:                              ; =>This Inner Loop Header: Depth=1
	s_load_dwordx2 s[10:11], s[2:3], 0x4
	s_load_dword s9, s[2:3], 0xc
	s_load_dwordx2 s[12:13], s[0:1], 0x0
	v_mov_b32_e32 v0, v3
	s_add_u32 s2, s2, 12
	s_waitcnt lgkmcnt(0)
	v_mul_hi_u32 v3, s11, v1
	v_add_u32_e32 v3, v1, v3
	v_lshrrev_b32_e32 v3, s9, v3
	s_addc_u32 s3, s3, 0
	s_waitcnt vmcnt(0)
	v_mul_lo_u32 v4, v3, s10
	s_add_u32 s0, s0, 8
	v_sub_u32_e32 v6, v1, v4
	v_mov_b32_e32 v1, v3
	s_addc_u32 s1, s1, 0
	s_add_i32 s8, s8, -1
	v_mad_u64_u32 v[4:5], s[10:11], v6, s13, v[0:1]
	v_mad_u64_u32 v[2:3], s[10:11], v6, s12, v[2:3]
	s_cmp_lg_u32 s8, 0
	v_mov_b32_e32 v3, v4
	s_cbranch_scc1 .LBB7_294
; %bb.295:
	v_mov_b32_e32 v0, v3
.LBB7_296:
	s_cbranch_execnz .LBB7_299
.LBB7_297:
	v_mul_hi_u32 v0, s29, v9
	v_add_u32_e32 v0, v9, v0
	v_lshrrev_b32_e32 v1, s30, v0
	v_mul_lo_u32 v0, v1, s28
	v_sub_u32_e32 v2, v9, v0
	v_mul_lo_u32 v0, v2, s37
	s_andn2_b64 vcc, exec, s[48:49]
	v_mul_lo_u32 v2, v2, s36
	s_cbranch_vccnz .LBB7_299
; %bb.298:
	v_mul_hi_u32 v3, s46, v1
	v_add_u32_e32 v3, v1, v3
	v_lshrrev_b32_e32 v3, s47, v3
	v_mul_lo_u32 v3, v3, s31
	v_sub_u32_e32 v1, v1, v3
	v_mad_u64_u32 v[2:3], s[0:1], v1, s38, v[2:3]
	v_mad_u64_u32 v[0:1], s[0:1], v1, s39, v[0:1]
.LBB7_299:
	v_mov_b32_e32 v1, s27
	v_add_co_u32_e32 v0, vcc, s26, v0
	v_addc_co_u32_e32 v1, vcc, 0, v1, vcc
	v_cmp_gt_i16_e32 vcc, 11, v8
	s_cbranch_vccnz .LBB7_306
; %bb.300:
	v_cmp_lt_i16_e32 vcc, 25, v8
	s_cbranch_vccz .LBB7_327
; %bb.301:
	v_cmp_lt_i16_e32 vcc, 28, v8
	s_cbranch_vccz .LBB7_329
	;; [unrolled: 3-line block ×4, first 2 shown]
; %bb.304:
	v_cmp_eq_u16_e32 vcc, 46, v8
	s_mov_b64 s[8:9], 0
	s_cbranch_vccz .LBB7_339
; %bb.305:
	global_load_dword v3, v[0:1], off
	s_mov_b64 s[0:1], -1
	s_mov_b64 s[2:3], 0
	s_waitcnt vmcnt(0)
	v_lshlrev_b32_e32 v3, 16, v3
	v_cvt_f64_f32_e32 v[4:5], v3
	s_branch .LBB7_340
.LBB7_306:
	s_mov_b64 s[0:1], 0
                                        ; implicit-def: $vgpr4_vgpr5
	s_mov_b64 s[2:3], s[56:57]
	s_cbranch_execnz .LBB7_517
.LBB7_307:
	s_andn2_b64 vcc, exec, s[0:1]
	s_cbranch_vccnz .LBB7_565
.LBB7_308:
	s_waitcnt vmcnt(0)
	v_trunc_f64_e32 v[0:1], v[4:5]
	s_movk_i32 s0, 0xffe0
	v_ldexp_f64 v[4:5], v[0:1], s0
	v_floor_f64_e32 v[6:7], v[4:5]
	v_fmac_f64_e32 v[0:1], 0xc1f00000, v[6:7]
	v_cvt_i32_f64_e32 v5, v[6:7]
	v_cvt_u32_f64_e32 v4, v[0:1]
	v_cmp_lt_i64_e32 vcc, -1, v[4:5]
	v_pk_mov_b32 v[0:1], 0, 0
	s_and_saveexec_b64 s[0:1], vcc
	s_cbranch_execz .LBB7_320
; %bb.309:
	v_mov_b32_e32 v0, 0
	v_cmp_lt_i64_e32 vcc, 0, v[4:5]
	v_mov_b32_e32 v1, 0x3ff00000
	s_and_saveexec_b64 s[8:9], vcc
	s_cbranch_execz .LBB7_319
; %bb.310:
	v_cmp_ne_u64_e32 vcc, 1, v[4:5]
                                        ; implicit-def: $vgpr0_vgpr1
	s_and_saveexec_b64 s[10:11], vcc
	s_xor_b64 s[10:11], exec, s[10:11]
	s_cbranch_execz .LBB7_316
; %bb.311:
	s_mov_b64 s[12:13], 0x201
	v_mov_b32_e32 v0, 0
	v_cmp_gt_u64_e32 vcc, s[12:13], v[4:5]
	v_mov_b32_e32 v1, 0x7ff80000
	s_and_saveexec_b64 s[12:13], vcc
	s_cbranch_execz .LBB7_315
; %bb.312:
	v_mov_b32_e32 v6, 0
	s_mov_b64 s[16:17], 1
	s_mov_b64 s[14:15], 0
	v_pk_mov_b32 v[0:1], s[44:45], s[44:45] op_sel:[0,1]
	v_mov_b32_e32 v7, 0x3ff00000
.LBB7_313:                              ; =>This Inner Loop Header: Depth=1
	v_cvt_f64_u32_e32 v[10:11], s17
	v_cvt_f64_u32_e32 v[12:13], s16
	s_add_u32 s16, s16, 1
	v_ldexp_f64 v[10:11], v[10:11], 32
	s_addc_u32 s17, s17, 0
	v_add_f64 v[10:11], v[10:11], v[12:13]
	v_cmp_eq_u64_e32 vcc, s[16:17], v[4:5]
	v_mul_f64 v[10:11], v[6:7], v[10:11]
	s_or_b64 s[14:15], vcc, s[14:15]
	v_pk_mov_b32 v[6:7], v[0:1], v[0:1] op_sel:[0,1]
	v_fma_f64 v[0:1], s[44:45], v[0:1], -v[10:11]
	s_andn2_b64 exec, exec, s[14:15]
	s_cbranch_execnz .LBB7_313
; %bb.314:
	s_or_b64 exec, exec, s[14:15]
.LBB7_315:
	s_or_b64 exec, exec, s[12:13]
.LBB7_316:
	s_andn2_saveexec_b64 s[10:11], s[10:11]
; %bb.317:
	v_pk_mov_b32 v[0:1], s[44:45], s[44:45] op_sel:[0,1]
; %bb.318:
	s_or_b64 exec, exec, s[10:11]
.LBB7_319:
	s_or_b64 exec, exec, s[8:9]
.LBB7_320:
	s_or_b64 exec, exec, s[0:1]
	v_mov_b32_e32 v3, s25
	v_add_co_u32_e32 v4, vcc, s24, v2
	v_mov_b32_e32 v2, 11
	v_addc_co_u32_e32 v5, vcc, 0, v3, vcc
	v_cmp_lt_i16_sdwa s[0:1], s77, v2 src0_sel:BYTE_0 src1_sel:DWORD
	s_and_b64 vcc, exec, s[0:1]
	s_cbranch_vccnz .LBB7_328
; %bb.321:
	v_mov_b32_e32 v2, 25
	v_cmp_gt_i16_sdwa s[0:1], s77, v2 src0_sel:BYTE_0 src1_sel:DWORD
	s_and_b64 vcc, exec, s[0:1]
	s_cbranch_vccz .LBB7_330
; %bb.322:
	v_mov_b32_e32 v2, 28
	v_cmp_gt_i16_sdwa s[0:1], s77, v2 src0_sel:BYTE_0 src1_sel:DWORD
	s_and_b64 vcc, exec, s[0:1]
	s_cbranch_vccz .LBB7_332
	;; [unrolled: 5-line block ×4, first 2 shown]
; %bb.325:
	v_mov_b32_e32 v2, 46
	v_cmp_eq_u16_sdwa s[8:9], s77, v2 src0_sel:BYTE_0 src1_sel:DWORD
	s_mov_b64 s[10:11], 0
	s_mov_b64 s[0:1], -1
	s_and_b64 vcc, exec, s[8:9]
	s_mov_b64 s[8:9], 0
	s_cbranch_vccz .LBB7_344
; %bb.326:
	v_cvt_f32_f64_e32 v2, v[0:1]
	v_bfe_u32 v3, v2, 16, 1
	s_movk_i32 s0, 0x7fff
	v_add3_u32 v3, v2, v3, s0
	v_lshrrev_b32_e32 v3, 16, v3
	v_mov_b32_e32 v6, 0x7fc0
	v_cmp_o_f32_e32 vcc, v2, v2
	v_cndmask_b32_e32 v2, v6, v3, vcc
	global_store_dword v[4:5], v2, off
	s_mov_b64 s[8:9], -1
	s_mov_b64 s[0:1], 0
	s_branch .LBB7_344
.LBB7_327:
	s_mov_b64 s[8:9], -1
	s_mov_b64 s[0:1], 0
	s_mov_b64 s[2:3], s[56:57]
                                        ; implicit-def: $vgpr4_vgpr5
	s_branch .LBB7_481
.LBB7_328:
	s_mov_b64 s[10:11], -1
	s_mov_b64 s[8:9], 0
	s_mov_b64 s[0:1], s[54:55]
	s_branch .LBB7_413
.LBB7_329:
	s_mov_b64 s[8:9], -1
	s_mov_b64 s[0:1], 0
	s_mov_b64 s[2:3], s[56:57]
                                        ; implicit-def: $vgpr4_vgpr5
	s_branch .LBB7_462
.LBB7_330:
	s_mov_b64 s[10:11], -1
	s_mov_b64 s[8:9], 0
	s_mov_b64 s[0:1], s[54:55]
	s_branch .LBB7_371
.LBB7_331:
	s_mov_b64 s[8:9], -1
	s_mov_b64 s[0:1], 0
	s_mov_b64 s[2:3], s[56:57]
                                        ; implicit-def: $vgpr4_vgpr5
	s_branch .LBB7_457
.LBB7_332:
	s_mov_b64 s[10:11], -1
	s_mov_b64 s[8:9], 0
	s_mov_b64 s[0:1], s[54:55]
	s_branch .LBB7_354
.LBB7_333:
	s_or_saveexec_b64 s[12:13], s[12:13]
                                        ; implicit-def: $sgpr14
	s_xor_b64 exec, exec, s[12:13]
	s_cbranch_execz .LBB7_81
.LBB7_334:
	s_mov_b32 s14, 0x46000000
	v_add_f32_e64 v3, |v2|, s14
	v_and_b32_e32 v3, 0xff, v3
	v_cmp_ne_u32_e32 vcc, 0, v3
	s_andn2_b64 s[10:11], s[10:11], exec
	s_and_b64 s[16:17], vcc, exec
	s_mov_b32 s14, 0
	s_or_b64 s[10:11], s[10:11], s[16:17]
	s_or_b64 exec, exec, s[12:13]
	v_mov_b32_e32 v6, s14
	s_and_saveexec_b64 s[12:13], s[10:11]
	s_cbranch_execnz .LBB7_82
	s_branch .LBB7_83
.LBB7_335:
	s_mov_b64 s[8:9], -1
	s_mov_b64 s[0:1], 0
	s_mov_b64 s[2:3], s[56:57]
                                        ; implicit-def: $vgpr4_vgpr5
	s_branch .LBB7_340
.LBB7_336:
	s_mov_b64 s[10:11], -1
	s_mov_b64 s[8:9], 0
	s_mov_b64 s[0:1], s[54:55]
	s_branch .LBB7_350
.LBB7_337:
	s_or_saveexec_b64 s[12:13], s[12:13]
                                        ; implicit-def: $sgpr14
	s_xor_b64 exec, exec, s[12:13]
	s_cbranch_execz .LBB7_94
.LBB7_338:
	s_mov_b32 s14, 0x42800000
	v_add_f32_e64 v3, |v2|, s14
	v_and_b32_e32 v3, 0xff, v3
	v_cmp_ne_u32_e32 vcc, 0, v3
	s_andn2_b64 s[10:11], s[10:11], exec
	s_and_b64 s[16:17], vcc, exec
	s_mov_b32 s14, 0
	s_or_b64 s[10:11], s[10:11], s[16:17]
	s_or_b64 exec, exec, s[12:13]
	v_mov_b32_e32 v6, s14
	s_and_saveexec_b64 s[12:13], s[10:11]
	s_cbranch_execnz .LBB7_95
	s_branch .LBB7_96
.LBB7_339:
	s_mov_b64 s[2:3], -1
                                        ; implicit-def: $vgpr4_vgpr5
	s_mov_b64 s[0:1], 0
.LBB7_340:
	s_and_b64 vcc, exec, s[8:9]
	s_cbranch_vccz .LBB7_456
; %bb.341:
	v_cmp_eq_u16_e32 vcc, 44, v8
	s_cbranch_vccz .LBB7_455
; %bb.342:
	global_load_ubyte v3, v[0:1], off
	s_movk_i32 s2, 0xff
	v_bfrev_b32_e32 v6, 4
	v_mov_b32_e32 v7, 0x7ff80000
	v_bfrev_b32_e32 v10, 28
	s_mov_b64 s[0:1], -1
	s_waitcnt vmcnt(0)
	v_lshlrev_b32_e32 v4, 23, v3
	v_cvt_f64_f32_e32 v[4:5], v4
	v_cmp_ne_u32_e32 vcc, s2, v3
	v_cndmask_b32_e32 v4, v6, v4, vcc
	v_cndmask_b32_e32 v5, v7, v5, vcc
	v_cmp_ne_u32_e32 vcc, 0, v3
	v_cndmask_b32_e32 v5, v10, v5, vcc
	v_cndmask_b32_e32 v4, 0, v4, vcc
	s_mov_b64 s[2:3], 0
	s_branch .LBB7_456
.LBB7_343:
	s_mov_b64 s[10:11], -1
	s_mov_b64 s[8:9], 0
	s_mov_b64 s[0:1], s[54:55]
.LBB7_344:
	s_and_b64 vcc, exec, s[10:11]
	s_cbranch_vccz .LBB7_349
; %bb.345:
	v_mov_b32_e32 v2, 44
	v_cmp_eq_u16_sdwa s[10:11], s77, v2 src0_sel:BYTE_0 src1_sel:DWORD
	s_mov_b64 s[0:1], -1
	s_and_b64 vcc, exec, s[10:11]
	s_cbranch_vccz .LBB7_349
; %bb.346:
	v_cvt_f32_f64_e32 v2, v[0:1]
	v_bfe_u32 v3, v2, 23, 8
	s_movk_i32 s0, 0xff
	v_cmp_ne_u32_e32 vcc, s0, v3
	v_mov_b32_e32 v6, 0xff
	s_and_saveexec_b64 s[8:9], vcc
; %bb.347:
	s_mov_b32 s0, 0x3fffff
	v_lshrrev_b32_e32 v6, 23, v2
	v_and_b32_e32 v7, 0x400000, v2
	v_and_or_b32 v2, v2, s0, v3
	v_cmp_ne_u32_e32 vcc, 0, v7
	v_cmp_ne_u32_e64 s[0:1], 0, v2
	s_and_b64 s[0:1], vcc, s[0:1]
	v_cndmask_b32_e64 v2, 0, 1, s[0:1]
	v_add_u32_e32 v6, v6, v2
; %bb.348:
	s_or_b64 exec, exec, s[8:9]
	s_mov_b64 s[8:9], -1
	s_mov_b64 s[0:1], 0
	global_store_byte v[4:5], v6, off
.LBB7_349:
	s_mov_b64 s[10:11], 0
.LBB7_350:
	s_and_b64 vcc, exec, s[10:11]
	s_cbranch_vccz .LBB7_353
; %bb.351:
	v_mov_b32_e32 v2, 29
	v_cmp_eq_u16_sdwa s[10:11], s77, v2 src0_sel:BYTE_0 src1_sel:DWORD
	s_mov_b64 s[0:1], -1
	s_and_b64 vcc, exec, s[10:11]
	s_cbranch_vccz .LBB7_353
; %bb.352:
	v_trunc_f64_e32 v[2:3], v[0:1]
	s_movk_i32 s0, 0xffe0
	v_ldexp_f64 v[6:7], v[2:3], s0
	v_floor_f64_e32 v[6:7], v[6:7]
	v_fmac_f64_e32 v[2:3], 0xc1f00000, v[6:7]
	v_cvt_u32_f64_e32 v11, v[6:7]
	v_cvt_u32_f64_e32 v10, v[2:3]
	global_store_dwordx2 v[4:5], v[10:11], off
	s_mov_b64 s[8:9], -1
	s_mov_b64 s[0:1], 0
.LBB7_353:
	s_mov_b64 s[10:11], 0
.LBB7_354:
	s_and_b64 vcc, exec, s[10:11]
	s_cbranch_vccz .LBB7_370
; %bb.355:
	v_mov_b32_e32 v2, 27
	v_cmp_lt_i16_sdwa s[10:11], s77, v2 src0_sel:BYTE_0 src1_sel:DWORD
	s_mov_b64 s[8:9], -1
	s_and_b64 vcc, exec, s[10:11]
	s_cbranch_vccnz .LBB7_361
; %bb.356:
	v_cmp_gt_i16_sdwa s[10:11], s77, v2 src0_sel:BYTE_0 src1_sel:DWORD
	s_and_b64 vcc, exec, s[10:11]
	v_cvt_u32_f64_e32 v2, v[0:1]
	s_cbranch_vccz .LBB7_358
; %bb.357:
	s_mov_b64 s[8:9], 0
	global_store_dword v[4:5], v2, off
.LBB7_358:
	s_andn2_b64 vcc, exec, s[8:9]
	s_cbranch_vccnz .LBB7_360
; %bb.359:
	global_store_short v[4:5], v2, off
.LBB7_360:
	s_mov_b64 s[8:9], 0
.LBB7_361:
	s_andn2_b64 vcc, exec, s[8:9]
	s_cbranch_vccnz .LBB7_369
; %bb.362:
	v_cvt_f32_f64_e32 v2, v[0:1]
	v_and_b32_e32 v3, 0x7fffffff, v2
	s_mov_b32 s8, 0x43800000
	v_cmp_gt_u32_e32 vcc, s8, v3
	v_mov_b32_e32 v6, 0x80
	s_and_saveexec_b64 s[8:9], vcc
	s_cbranch_execz .LBB7_368
; %bb.363:
	s_mov_b32 s10, 0x3bffffff
	v_cmp_lt_u32_e32 vcc, s10, v3
	s_mov_b64 s[10:11], 0
                                        ; implicit-def: $vgpr3
	s_and_saveexec_b64 s[12:13], vcc
	s_xor_b64 s[12:13], exec, s[12:13]
	s_cbranch_execz .LBB7_597
; %bb.364:
	v_bfe_u32 v3, v2, 20, 1
	s_mov_b32 s14, 0x487ffff
	v_add3_u32 v3, v2, v3, s14
	s_mov_b64 s[10:11], exec
	v_lshrrev_b32_e32 v3, 20, v3
	s_or_saveexec_b64 s[12:13], s[12:13]
                                        ; implicit-def: $sgpr14
	s_xor_b64 exec, exec, s[12:13]
	s_cbranch_execnz .LBB7_598
.LBB7_365:
	s_or_b64 exec, exec, s[12:13]
	v_mov_b32_e32 v6, s14
	s_and_saveexec_b64 s[12:13], s[10:11]
.LBB7_366:
	v_lshrrev_b32_e32 v2, 24, v2
	s_movk_i32 s10, 0x80
	v_and_or_b32 v6, v2, s10, v3
.LBB7_367:
	s_or_b64 exec, exec, s[12:13]
.LBB7_368:
	s_or_b64 exec, exec, s[8:9]
	global_store_byte v[4:5], v6, off
.LBB7_369:
	s_mov_b64 s[8:9], -1
.LBB7_370:
	s_mov_b64 s[10:11], 0
.LBB7_371:
	s_and_b64 vcc, exec, s[10:11]
	s_cbranch_vccz .LBB7_412
; %bb.372:
	v_mov_b32_e32 v2, 22
	v_cmp_gt_i16_sdwa s[12:13], s77, v2 src0_sel:BYTE_0 src1_sel:DWORD
	s_mov_b64 s[10:11], -1
	s_and_b64 vcc, exec, s[12:13]
	s_cbranch_vccz .LBB7_404
; %bb.373:
	v_mov_b32_e32 v2, 24
	v_cmp_lt_i16_sdwa s[10:11], s77, v2 src0_sel:BYTE_0 src1_sel:DWORD
	s_mov_b64 s[8:9], -1
	s_and_b64 vcc, exec, s[10:11]
	s_cbranch_vccnz .LBB7_393
; %bb.374:
	v_cmp_gt_i16_sdwa s[10:11], s77, v2 src0_sel:BYTE_0 src1_sel:DWORD
	s_and_b64 vcc, exec, s[10:11]
	s_cbranch_vccz .LBB7_382
; %bb.375:
	v_cvt_f32_f64_e32 v2, v[0:1]
	v_and_b32_e32 v3, 0x7fffffff, v2
	s_mov_b32 s8, 0x47800000
	v_cmp_gt_u32_e32 vcc, s8, v3
	v_mov_b32_e32 v6, 0x80
	s_and_saveexec_b64 s[8:9], vcc
	s_cbranch_execz .LBB7_381
; %bb.376:
	s_mov_b32 s10, 0x37ffffff
	v_cmp_lt_u32_e32 vcc, s10, v3
	s_mov_b64 s[10:11], 0
                                        ; implicit-def: $vgpr3
	s_and_saveexec_b64 s[12:13], vcc
	s_xor_b64 s[12:13], exec, s[12:13]
	s_cbranch_execz .LBB7_600
; %bb.377:
	v_bfe_u32 v3, v2, 21, 1
	s_mov_b32 s14, 0x88fffff
	v_add3_u32 v3, v2, v3, s14
	s_mov_b64 s[10:11], exec
	v_lshrrev_b32_e32 v3, 21, v3
	s_or_saveexec_b64 s[12:13], s[12:13]
                                        ; implicit-def: $sgpr14
	s_xor_b64 exec, exec, s[12:13]
	s_cbranch_execnz .LBB7_601
.LBB7_378:
	s_or_b64 exec, exec, s[12:13]
	v_mov_b32_e32 v6, s14
	s_and_saveexec_b64 s[12:13], s[10:11]
.LBB7_379:
	v_lshrrev_b32_e32 v2, 24, v2
	s_movk_i32 s10, 0x80
	v_and_or_b32 v6, v2, s10, v3
.LBB7_380:
	s_or_b64 exec, exec, s[12:13]
.LBB7_381:
	s_or_b64 exec, exec, s[8:9]
	s_mov_b64 s[8:9], 0
	global_store_byte v[4:5], v6, off
.LBB7_382:
	s_and_b64 vcc, exec, s[8:9]
	s_cbranch_vccz .LBB7_392
; %bb.383:
	v_cvt_f32_f64_e32 v2, v[0:1]
	v_and_b32_e32 v6, 0x7fffffff, v2
	s_mov_b32 s8, 0x43f00000
	v_cmp_gt_u32_e32 vcc, s8, v6
                                        ; implicit-def: $vgpr3
	s_and_saveexec_b64 s[8:9], vcc
	s_xor_b64 s[8:9], exec, s[8:9]
	s_cbranch_execz .LBB7_389
; %bb.384:
	s_mov_b32 s10, 0x3c7fffff
	v_cmp_lt_u32_e32 vcc, s10, v6
                                        ; implicit-def: $vgpr3
	s_and_saveexec_b64 s[10:11], vcc
	s_xor_b64 s[10:11], exec, s[10:11]
; %bb.385:
	v_bfe_u32 v3, v2, 20, 1
	s_mov_b32 s12, 0x407ffff
	v_add3_u32 v3, v2, v3, s12
	v_lshrrev_b32_e32 v6, 20, v3
	v_and_b32_e32 v3, 0xff00000, v3
	s_mov_b32 s12, 0x7f00000
	v_mov_b32_e32 v7, 0x7e
	v_cmp_ne_u32_e32 vcc, s12, v3
	v_cndmask_b32_e32 v3, v7, v6, vcc
; %bb.386:
	s_andn2_saveexec_b64 s[10:11], s[10:11]
; %bb.387:
	s_mov_b32 s12, 0x46800000
	v_add_f32_e64 v3, |v2|, s12
; %bb.388:
	s_or_b64 exec, exec, s[10:11]
                                        ; implicit-def: $vgpr6
.LBB7_389:
	s_andn2_saveexec_b64 s[8:9], s[8:9]
; %bb.390:
	s_mov_b32 s10, 0x7f800000
	v_mov_b32_e32 v3, 0x7e
	v_mov_b32_e32 v7, 0x7f
	v_cmp_lt_u32_e32 vcc, s10, v6
	v_cndmask_b32_e32 v3, v3, v7, vcc
; %bb.391:
	s_or_b64 exec, exec, s[8:9]
	v_lshrrev_b32_e32 v2, 24, v2
	s_movk_i32 s8, 0x80
	v_and_or_b32 v2, v2, s8, v3
	global_store_byte v[4:5], v2, off
.LBB7_392:
	s_mov_b64 s[8:9], 0
.LBB7_393:
	s_andn2_b64 vcc, exec, s[8:9]
	s_cbranch_vccnz .LBB7_403
; %bb.394:
	v_cvt_f32_f64_e32 v2, v[0:1]
	v_and_b32_e32 v6, 0x7fffffff, v2
	s_mov_b32 s8, 0x47800000
	v_cmp_gt_u32_e32 vcc, s8, v6
                                        ; implicit-def: $vgpr3
	s_and_saveexec_b64 s[8:9], vcc
	s_xor_b64 s[8:9], exec, s[8:9]
	s_cbranch_execz .LBB7_400
; %bb.395:
	s_mov_b32 s10, 0x387fffff
	v_cmp_lt_u32_e32 vcc, s10, v6
                                        ; implicit-def: $vgpr3
	s_and_saveexec_b64 s[10:11], vcc
	s_xor_b64 s[10:11], exec, s[10:11]
; %bb.396:
	v_bfe_u32 v3, v2, 21, 1
	s_mov_b32 s12, 0x80fffff
	v_add3_u32 v3, v2, v3, s12
	v_lshrrev_b32_e32 v3, 21, v3
; %bb.397:
	s_andn2_saveexec_b64 s[10:11], s[10:11]
; %bb.398:
	s_mov_b32 s12, 0x43000000
	v_add_f32_e64 v3, |v2|, s12
; %bb.399:
	s_or_b64 exec, exec, s[10:11]
                                        ; implicit-def: $vgpr6
.LBB7_400:
	s_andn2_saveexec_b64 s[8:9], s[8:9]
; %bb.401:
	s_mov_b32 s10, 0x7f800000
	v_mov_b32_e32 v3, 0x7c
	v_mov_b32_e32 v7, 0x7f
	v_cmp_lt_u32_e32 vcc, s10, v6
	v_cndmask_b32_e32 v3, v3, v7, vcc
; %bb.402:
	s_or_b64 exec, exec, s[8:9]
	v_lshrrev_b32_e32 v2, 24, v2
	s_movk_i32 s8, 0x80
	v_and_or_b32 v2, v2, s8, v3
	global_store_byte v[4:5], v2, off
.LBB7_403:
	s_mov_b64 s[10:11], 0
	s_mov_b64 s[8:9], -1
.LBB7_404:
	s_andn2_b64 vcc, exec, s[10:11]
	s_cbranch_vccnz .LBB7_412
; %bb.405:
	v_mov_b32_e32 v2, 14
	v_cmp_gt_i16_sdwa s[12:13], s77, v2 src0_sel:BYTE_0 src1_sel:DWORD
	s_mov_b64 s[10:11], -1
	s_and_b64 vcc, exec, s[12:13]
	s_cbranch_vccz .LBB7_409
; %bb.406:
	v_mov_b32_e32 v2, 15
	v_cmp_eq_u16_sdwa s[10:11], s77, v2 src0_sel:BYTE_0 src1_sel:DWORD
	s_mov_b64 s[0:1], -1
	s_and_b64 vcc, exec, s[10:11]
	s_cbranch_vccz .LBB7_408
; %bb.407:
	v_cvt_f32_f64_e32 v2, v[0:1]
	v_bfe_u32 v3, v2, 16, 1
	s_movk_i32 s0, 0x7fff
	v_add3_u32 v3, v2, v3, s0
	v_lshrrev_b32_e32 v3, 16, v3
	v_mov_b32_e32 v6, 0x7fc0
	v_cmp_o_f32_e32 vcc, v2, v2
	v_cndmask_b32_e32 v2, v6, v3, vcc
	global_store_short v[4:5], v2, off
	s_mov_b64 s[8:9], -1
	s_mov_b64 s[0:1], 0
.LBB7_408:
	s_mov_b64 s[10:11], 0
.LBB7_409:
	s_and_b64 vcc, exec, s[10:11]
	s_cbranch_vccz .LBB7_412
; %bb.410:
	v_mov_b32_e32 v2, 11
	v_cmp_eq_u16_sdwa s[10:11], s77, v2 src0_sel:BYTE_0 src1_sel:DWORD
	s_mov_b64 s[0:1], -1
	s_and_b64 vcc, exec, s[10:11]
	s_cbranch_vccz .LBB7_412
; %bb.411:
	v_cmp_neq_f64_e32 vcc, 0, v[0:1]
	s_mov_b64 s[0:1], 0
	v_cndmask_b32_e64 v2, 0, 1, vcc
	s_mov_b64 s[8:9], -1
	global_store_byte v[4:5], v2, off
.LBB7_412:
	s_mov_b64 s[10:11], 0
.LBB7_413:
	s_and_b64 vcc, exec, s[10:11]
	s_cbranch_vccz .LBB7_452
; %bb.414:
	v_mov_b32_e32 v2, 5
	v_cmp_lt_i16_sdwa s[10:11], s77, v2 src0_sel:BYTE_0 src1_sel:DWORD
	s_mov_b64 s[8:9], -1
	s_and_b64 vcc, exec, s[10:11]
	s_cbranch_vccnz .LBB7_435
; %bb.415:
	v_mov_b32_e32 v2, 8
	v_cmp_lt_i16_sdwa s[10:11], s77, v2 src0_sel:BYTE_0 src1_sel:DWORD
	s_and_b64 vcc, exec, s[10:11]
	s_cbranch_vccnz .LBB7_425
; %bb.416:
	v_mov_b32_e32 v2, 9
	v_cmp_lt_i16_sdwa s[10:11], s77, v2 src0_sel:BYTE_0 src1_sel:DWORD
	s_and_b64 vcc, exec, s[10:11]
	s_cbranch_vccnz .LBB7_422
; %bb.417:
	v_cmp_gt_i16_sdwa s[10:11], s77, v2 src0_sel:BYTE_0 src1_sel:DWORD
	s_and_b64 vcc, exec, s[10:11]
	s_cbranch_vccz .LBB7_419
; %bb.418:
	v_mov_b32_e32 v2, 0
	v_mov_b32_e32 v3, v2
	s_mov_b64 s[8:9], 0
	global_store_dwordx4 v[4:5], v[0:3], off
.LBB7_419:
	s_andn2_b64 vcc, exec, s[8:9]
	s_cbranch_vccnz .LBB7_421
; %bb.420:
	v_cvt_f32_f64_e32 v2, v[0:1]
	v_mov_b32_e32 v3, 0
	global_store_dwordx2 v[4:5], v[2:3], off
.LBB7_421:
	s_mov_b64 s[8:9], 0
.LBB7_422:
	s_andn2_b64 vcc, exec, s[8:9]
	s_cbranch_vccnz .LBB7_424
; %bb.423:
	v_cvt_f32_f64_e32 v2, v[0:1]
	v_cvt_f16_f32_e32 v2, v2
	global_store_dword v[4:5], v2, off
.LBB7_424:
	s_mov_b64 s[8:9], 0
.LBB7_425:
	s_andn2_b64 vcc, exec, s[8:9]
	s_cbranch_vccnz .LBB7_434
; %bb.426:
	v_mov_b32_e32 v2, 6
	v_cmp_lt_i16_sdwa s[10:11], s77, v2 src0_sel:BYTE_0 src1_sel:DWORD
	s_mov_b64 s[8:9], -1
	s_and_b64 vcc, exec, s[10:11]
	s_cbranch_vccnz .LBB7_432
; %bb.427:
	v_cmp_gt_i16_sdwa s[10:11], s77, v2 src0_sel:BYTE_0 src1_sel:DWORD
	s_and_b64 vcc, exec, s[10:11]
	s_cbranch_vccz .LBB7_429
; %bb.428:
	s_mov_b64 s[8:9], 0
	global_store_dwordx2 v[4:5], v[0:1], off
.LBB7_429:
	s_andn2_b64 vcc, exec, s[8:9]
	s_cbranch_vccnz .LBB7_431
; %bb.430:
	v_cvt_f32_f64_e32 v2, v[0:1]
	global_store_dword v[4:5], v2, off
.LBB7_431:
	s_mov_b64 s[8:9], 0
.LBB7_432:
	s_andn2_b64 vcc, exec, s[8:9]
	s_cbranch_vccnz .LBB7_434
; %bb.433:
	v_cvt_f32_f64_e32 v2, v[0:1]
	v_cvt_f16_f32_e32 v2, v2
	global_store_short v[4:5], v2, off
.LBB7_434:
	s_mov_b64 s[8:9], 0
.LBB7_435:
	s_andn2_b64 vcc, exec, s[8:9]
	s_cbranch_vccnz .LBB7_451
; %bb.436:
	v_mov_b32_e32 v2, 2
	v_cmp_lt_i16_sdwa s[10:11], s77, v2 src0_sel:BYTE_0 src1_sel:DWORD
	s_mov_b64 s[8:9], -1
	s_and_b64 vcc, exec, s[10:11]
	s_cbranch_vccnz .LBB7_446
; %bb.437:
	v_mov_b32_e32 v2, 3
	v_cmp_lt_i16_sdwa s[10:11], s77, v2 src0_sel:BYTE_0 src1_sel:DWORD
	s_and_b64 vcc, exec, s[10:11]
	s_cbranch_vccnz .LBB7_443
; %bb.438:
	v_cmp_gt_i16_sdwa s[10:11], s77, v2 src0_sel:BYTE_0 src1_sel:DWORD
	s_and_b64 vcc, exec, s[10:11]
	s_cbranch_vccz .LBB7_440
; %bb.439:
	v_trunc_f64_e32 v[2:3], v[0:1]
	s_movk_i32 s8, 0xffe0
	v_ldexp_f64 v[6:7], v[2:3], s8
	v_floor_f64_e32 v[6:7], v[6:7]
	v_fmac_f64_e32 v[2:3], 0xc1f00000, v[6:7]
	v_cvt_i32_f64_e32 v11, v[6:7]
	v_cvt_u32_f64_e32 v10, v[2:3]
	s_mov_b64 s[8:9], 0
	global_store_dwordx2 v[4:5], v[10:11], off
.LBB7_440:
	s_andn2_b64 vcc, exec, s[8:9]
	s_cbranch_vccnz .LBB7_442
; %bb.441:
	v_cvt_i32_f64_e32 v2, v[0:1]
	global_store_dword v[4:5], v2, off
.LBB7_442:
	s_mov_b64 s[8:9], 0
.LBB7_443:
	s_andn2_b64 vcc, exec, s[8:9]
	s_cbranch_vccnz .LBB7_445
; %bb.444:
	v_cvt_i32_f64_e32 v2, v[0:1]
	global_store_short v[4:5], v2, off
.LBB7_445:
	s_mov_b64 s[8:9], 0
.LBB7_446:
	s_andn2_b64 vcc, exec, s[8:9]
	s_cbranch_vccnz .LBB7_451
; %bb.447:
	v_mov_b32_e32 v2, 0
	v_cmp_gt_i16_sdwa s[10:11], s77, v2 src0_sel:BYTE_0 src1_sel:DWORD
	s_mov_b64 s[8:9], -1
	s_and_b64 vcc, exec, s[10:11]
	s_cbranch_vccz .LBB7_449
; %bb.448:
	v_cvt_i32_f64_e32 v2, v[0:1]
	s_mov_b64 s[8:9], 0
	global_store_byte v[4:5], v2, off
.LBB7_449:
	s_andn2_b64 vcc, exec, s[8:9]
	s_cbranch_vccnz .LBB7_451
; %bb.450:
	v_trunc_f64_e32 v[0:1], v[0:1]
	s_movk_i32 s8, 0xffe0
	v_ldexp_f64 v[2:3], v[0:1], s8
	v_floor_f64_e32 v[2:3], v[2:3]
	v_fmac_f64_e32 v[0:1], 0xc1f00000, v[2:3]
	v_cvt_u32_f64_e32 v0, v[0:1]
	global_store_byte v[4:5], v0, off
.LBB7_451:
	s_mov_b64 s[8:9], -1
.LBB7_452:
	s_andn2_b64 vcc, exec, s[8:9]
	s_cbranch_vccnz .LBB7_454
; %bb.453:
	v_add_u32_e32 v9, 0x80, v9
	s_mov_b64 s[8:9], -1
	s_branch .LBB7_567
.LBB7_454:
	s_mov_b64 s[8:9], 0
	s_branch .LBB7_566
.LBB7_455:
	s_mov_b64 s[2:3], -1
                                        ; implicit-def: $vgpr4_vgpr5
.LBB7_456:
	s_mov_b64 s[8:9], 0
.LBB7_457:
	s_and_b64 vcc, exec, s[8:9]
	s_cbranch_vccz .LBB7_461
; %bb.458:
	v_cmp_eq_u16_e32 vcc, 29, v8
	s_cbranch_vccz .LBB7_460
; %bb.459:
	global_load_dwordx2 v[4:5], v[0:1], off
	s_mov_b64 s[0:1], -1
	s_mov_b64 s[2:3], 0
	s_mov_b64 s[8:9], 0
	s_waitcnt vmcnt(0)
	v_cvt_f64_u32_e32 v[6:7], v5
	v_cvt_f64_u32_e32 v[4:5], v4
	v_ldexp_f64 v[6:7], v[6:7], 32
	v_add_f64 v[4:5], v[6:7], v[4:5]
	s_branch .LBB7_462
.LBB7_460:
	s_mov_b64 s[2:3], -1
                                        ; implicit-def: $vgpr4_vgpr5
.LBB7_461:
	s_mov_b64 s[8:9], 0
.LBB7_462:
	s_and_b64 vcc, exec, s[8:9]
	s_cbranch_vccz .LBB7_480
; %bb.463:
	v_cmp_gt_i16_e32 vcc, 27, v8
	s_cbranch_vccnz .LBB7_466
; %bb.464:
	v_cmp_lt_i16_e32 vcc, 27, v8
	s_cbranch_vccz .LBB7_467
; %bb.465:
	global_load_dword v3, v[0:1], off
	s_mov_b64 s[0:1], 0
	s_waitcnt vmcnt(0)
	v_cvt_f64_u32_e32 v[4:5], v3
	s_branch .LBB7_468
.LBB7_466:
	s_mov_b64 s[0:1], -1
                                        ; implicit-def: $vgpr4_vgpr5
	s_branch .LBB7_471
.LBB7_467:
	s_mov_b64 s[0:1], -1
                                        ; implicit-def: $vgpr4_vgpr5
.LBB7_468:
	s_andn2_b64 vcc, exec, s[0:1]
	s_cbranch_vccnz .LBB7_470
; %bb.469:
	global_load_ushort v3, v[0:1], off
	s_waitcnt vmcnt(0)
	v_cvt_f64_u32_e32 v[4:5], v3
.LBB7_470:
	s_mov_b64 s[0:1], 0
.LBB7_471:
	s_andn2_b64 vcc, exec, s[0:1]
	s_cbranch_vccnz .LBB7_479
; %bb.472:
	global_load_ubyte v3, v[0:1], off
	s_movk_i32 s0, 0x7f
                                        ; implicit-def: $sgpr8_sgpr9
	s_waitcnt vmcnt(0)
	v_cmp_lt_i16_e32 vcc, s0, v3
	s_mov_b64 s[0:1], 0
	s_and_saveexec_b64 s[10:11], vcc
	s_xor_b64 s[10:11], exec, s[10:11]
	s_cbranch_execz .LBB7_493
; %bb.473:
	s_movk_i32 s0, 0x80
	v_cmp_eq_u16_e32 vcc, s0, v3
	s_mov_b64 s[12:13], -1
                                        ; implicit-def: $sgpr8_sgpr9
	s_and_saveexec_b64 s[0:1], vcc
; %bb.474:
	s_mov_b32 s9, 0x7ff80000
	s_brev_b32 s8, 4
	s_xor_b64 s[12:13], exec, -1
; %bb.475:
	s_or_b64 exec, exec, s[0:1]
	s_and_b64 s[0:1], s[12:13], exec
	s_or_saveexec_b64 s[10:11], s[10:11]
	v_pk_mov_b32 v[4:5], s[8:9], s[8:9] op_sel:[0,1]
	s_xor_b64 exec, exec, s[10:11]
	s_cbranch_execnz .LBB7_494
.LBB7_476:
	s_or_b64 exec, exec, s[10:11]
	s_and_saveexec_b64 s[8:9], s[0:1]
	s_cbranch_execz .LBB7_478
.LBB7_477:
	v_lshlrev_b32_e32 v4, 24, v3
	v_and_b32_e32 v3, 0xffff, v3
	v_and_b32_e32 v5, 7, v3
	v_ffbh_u32_e32 v7, v5
	v_min_u32_e32 v7, 32, v7
	v_subrev_u32_e32 v10, 28, v7
	v_bfe_u32 v6, v3, 3, 4
	v_lshlrev_b32_e32 v3, v10, v3
	v_sub_u32_e32 v7, 29, v7
	v_and_b32_e32 v3, 7, v3
	v_cmp_eq_u32_e32 vcc, 0, v6
	v_cndmask_b32_e32 v6, v6, v7, vcc
	v_cndmask_b32_e32 v3, v5, v3, vcc
	v_mov_b32_e32 v5, 0x3b800000
	v_lshlrev_b32_e32 v3, 20, v3
	v_and_b32_e32 v4, 0x80000000, v4
	v_lshl_add_u32 v5, v6, 23, v5
	v_or3_b32 v3, v4, v5, v3
	v_cvt_f64_f32_e32 v[4:5], v3
.LBB7_478:
	s_or_b64 exec, exec, s[8:9]
.LBB7_479:
	s_mov_b64 s[0:1], -1
.LBB7_480:
	s_mov_b64 s[8:9], 0
.LBB7_481:
	s_and_b64 vcc, exec, s[8:9]
	s_cbranch_vccz .LBB7_516
; %bb.482:
	v_cmp_lt_i16_e32 vcc, 22, v8
	s_cbranch_vccz .LBB7_492
; %bb.483:
	v_cmp_gt_i16_e32 vcc, 24, v8
	s_cbranch_vccnz .LBB7_495
; %bb.484:
	v_cmp_lt_i16_e32 vcc, 24, v8
	s_cbranch_vccz .LBB7_496
; %bb.485:
	global_load_ubyte v3, v[0:1], off
	s_movk_i32 s0, 0x7f
                                        ; implicit-def: $sgpr8_sgpr9
	s_waitcnt vmcnt(0)
	v_cmp_lt_i16_e32 vcc, s0, v3
	s_mov_b64 s[0:1], 0
	s_and_saveexec_b64 s[10:11], vcc
	s_xor_b64 s[10:11], exec, s[10:11]
	s_cbranch_execz .LBB7_508
; %bb.486:
	s_movk_i32 s0, 0x80
	v_cmp_eq_u16_e32 vcc, s0, v3
	s_mov_b64 s[12:13], -1
                                        ; implicit-def: $sgpr8_sgpr9
	s_and_saveexec_b64 s[0:1], vcc
; %bb.487:
	s_mov_b32 s9, 0x7ff80000
	s_brev_b32 s8, 4
	s_xor_b64 s[12:13], exec, -1
; %bb.488:
	s_or_b64 exec, exec, s[0:1]
	s_and_b64 s[0:1], s[12:13], exec
	s_or_saveexec_b64 s[10:11], s[10:11]
	v_pk_mov_b32 v[4:5], s[8:9], s[8:9] op_sel:[0,1]
	s_xor_b64 exec, exec, s[10:11]
	s_cbranch_execnz .LBB7_509
.LBB7_489:
	s_or_b64 exec, exec, s[10:11]
	s_and_saveexec_b64 s[8:9], s[0:1]
	s_cbranch_execz .LBB7_491
.LBB7_490:
	v_lshlrev_b32_e32 v4, 24, v3
	v_and_b32_e32 v3, 0xffff, v3
	v_and_b32_e32 v5, 3, v3
	v_ffbh_u32_e32 v7, v5
	v_min_u32_e32 v7, 32, v7
	v_subrev_u32_e32 v10, 29, v7
	v_bfe_u32 v6, v3, 2, 5
	v_lshlrev_b32_e32 v3, v10, v3
	v_sub_u32_e32 v7, 30, v7
	v_and_b32_e32 v3, 3, v3
	v_cmp_eq_u32_e32 vcc, 0, v6
	v_cndmask_b32_e32 v6, v6, v7, vcc
	v_cndmask_b32_e32 v3, v5, v3, vcc
	v_mov_b32_e32 v5, 0x37800000
	v_lshlrev_b32_e32 v3, 21, v3
	v_and_b32_e32 v4, 0x80000000, v4
	v_lshl_add_u32 v5, v6, 23, v5
	v_or3_b32 v3, v4, v5, v3
	v_cvt_f64_f32_e32 v[4:5], v3
.LBB7_491:
	s_or_b64 exec, exec, s[8:9]
	s_mov_b64 s[0:1], 0
	s_branch .LBB7_497
.LBB7_492:
	s_mov_b64 s[8:9], -1
                                        ; implicit-def: $vgpr4_vgpr5
	s_branch .LBB7_503
.LBB7_493:
	s_or_saveexec_b64 s[10:11], s[10:11]
	v_pk_mov_b32 v[4:5], s[8:9], s[8:9] op_sel:[0,1]
	s_xor_b64 exec, exec, s[10:11]
	s_cbranch_execz .LBB7_476
.LBB7_494:
	v_cmp_ne_u16_e32 vcc, 0, v3
	s_andn2_b64 s[0:1], s[0:1], exec
	s_and_b64 s[8:9], vcc, exec
	v_pk_mov_b32 v[4:5], 0, 0
	s_or_b64 s[0:1], s[0:1], s[8:9]
	s_or_b64 exec, exec, s[10:11]
	s_and_saveexec_b64 s[8:9], s[0:1]
	s_cbranch_execnz .LBB7_477
	s_branch .LBB7_478
.LBB7_495:
	s_mov_b64 s[0:1], -1
                                        ; implicit-def: $vgpr4_vgpr5
	s_branch .LBB7_500
.LBB7_496:
	s_mov_b64 s[0:1], -1
                                        ; implicit-def: $vgpr4_vgpr5
.LBB7_497:
	s_and_b64 vcc, exec, s[0:1]
	s_cbranch_vccz .LBB7_499
; %bb.498:
	global_load_ubyte v3, v[0:1], off
	s_mov_b32 s0, 0x7f800000
	s_waitcnt vmcnt(0)
	v_lshlrev_b32_e32 v3, 24, v3
	v_and_b32_e32 v4, 0x7f000000, v3
	v_ffbh_u32_e32 v5, v4
	v_min_u32_e32 v5, 32, v5
	v_sub_u32_e64 v5, v5, 4 clamp
	v_lshlrev_b32_e32 v7, v5, v4
	v_lshlrev_b32_e32 v5, 23, v5
	v_lshrrev_b32_e32 v7, 4, v7
	v_add_u32_e32 v6, 0x1000000, v4
	v_sub_u32_e32 v5, v7, v5
	v_ashrrev_i32_e32 v6, 8, v6
	v_add_u32_e32 v5, 0x3c000000, v5
	v_and_or_b32 v5, v6, s0, v5
	v_cmp_ne_u32_e32 vcc, 0, v4
	v_cndmask_b32_e32 v4, 0, v5, vcc
	s_brev_b32 s0, 1
	v_and_or_b32 v3, v3, s0, v4
	v_cvt_f64_f32_e32 v[4:5], v3
.LBB7_499:
	s_mov_b64 s[0:1], 0
.LBB7_500:
	s_andn2_b64 vcc, exec, s[0:1]
	s_cbranch_vccnz .LBB7_502
; %bb.501:
	global_load_ubyte v3, v[0:1], off
	s_movk_i32 s0, 0x7f00
	s_brev_b32 s1, 16
	s_waitcnt vmcnt(0)
	v_lshlrev_b16_e32 v4, 8, v3
	v_lshlrev_b32_e32 v3, 25, v3
	v_lshrrev_b32_e32 v5, 4, v3
	v_and_or_b32 v6, v4, s0, 0.5
	v_or_b32_e32 v5, 0x70000000, v5
	v_add_f32_e32 v6, -0.5, v6
	v_mul_f32_e32 v5, 0x7800000, v5
	v_cmp_gt_u32_e32 vcc, s1, v3
	v_bfe_i32 v4, v4, 0, 16
	v_cndmask_b32_e32 v3, v5, v6, vcc
	s_brev_b32 s0, 1
	v_and_or_b32 v3, v4, s0, v3
	v_cvt_f64_f32_e32 v[4:5], v3
.LBB7_502:
	s_mov_b64 s[8:9], 0
	s_mov_b64 s[0:1], -1
.LBB7_503:
	s_andn2_b64 vcc, exec, s[8:9]
	s_cbranch_vccnz .LBB7_516
; %bb.504:
	v_cmp_lt_i16_e32 vcc, 14, v8
	s_cbranch_vccz .LBB7_507
; %bb.505:
	v_cmp_eq_u16_e32 vcc, 15, v8
	s_cbranch_vccz .LBB7_510
; %bb.506:
	global_load_ushort v3, v[0:1], off
	s_mov_b64 s[0:1], -1
	s_mov_b64 s[2:3], 0
	s_waitcnt vmcnt(0)
	v_lshlrev_b32_e32 v3, 16, v3
	v_cvt_f64_f32_e32 v[4:5], v3
	s_branch .LBB7_511
.LBB7_507:
	s_mov_b64 s[8:9], -1
                                        ; implicit-def: $vgpr4_vgpr5
	s_branch .LBB7_512
.LBB7_508:
	s_or_saveexec_b64 s[10:11], s[10:11]
	v_pk_mov_b32 v[4:5], s[8:9], s[8:9] op_sel:[0,1]
	s_xor_b64 exec, exec, s[10:11]
	s_cbranch_execz .LBB7_489
.LBB7_509:
	v_cmp_ne_u16_e32 vcc, 0, v3
	s_andn2_b64 s[0:1], s[0:1], exec
	s_and_b64 s[8:9], vcc, exec
	v_pk_mov_b32 v[4:5], 0, 0
	s_or_b64 s[0:1], s[0:1], s[8:9]
	s_or_b64 exec, exec, s[10:11]
	s_and_saveexec_b64 s[8:9], s[0:1]
	s_cbranch_execnz .LBB7_490
	s_branch .LBB7_491
.LBB7_510:
	s_mov_b64 s[2:3], -1
                                        ; implicit-def: $vgpr4_vgpr5
.LBB7_511:
	s_mov_b64 s[8:9], 0
.LBB7_512:
	s_and_b64 vcc, exec, s[8:9]
	s_cbranch_vccz .LBB7_516
; %bb.513:
	v_cmp_eq_u16_e32 vcc, 11, v8
	s_cbranch_vccz .LBB7_515
; %bb.514:
	global_load_ubyte v3, v[0:1], off
	s_waitcnt vmcnt(1)
	v_mov_b32_e32 v5, 0x3ff00000
	v_mov_b32_e32 v4, 0
	s_mov_b64 s[0:1], -1
	s_mov_b64 s[2:3], 0
	s_waitcnt vmcnt(0)
	v_cmp_ne_u16_e32 vcc, 0, v3
	v_cndmask_b32_e32 v5, 0, v5, vcc
	s_branch .LBB7_516
.LBB7_515:
	s_mov_b64 s[2:3], -1
                                        ; implicit-def: $vgpr4_vgpr5
.LBB7_516:
	s_branch .LBB7_307
.LBB7_517:
	v_cmp_gt_i16_e32 vcc, 5, v8
	s_cbranch_vccnz .LBB7_522
; %bb.518:
	v_cmp_gt_i16_e32 vcc, 8, v8
	s_cbranch_vccnz .LBB7_523
; %bb.519:
	;; [unrolled: 3-line block ×3, first 2 shown]
	v_cmp_lt_i16_e32 vcc, 9, v8
	s_cbranch_vccz .LBB7_525
; %bb.521:
	global_load_dwordx2 v[4:5], v[0:1], off
	s_mov_b64 s[0:1], 0
	s_branch .LBB7_526
.LBB7_522:
	s_mov_b64 s[0:1], -1
                                        ; implicit-def: $vgpr4_vgpr5
	s_branch .LBB7_544
.LBB7_523:
	s_mov_b64 s[0:1], -1
                                        ; implicit-def: $vgpr4_vgpr5
	s_branch .LBB7_532
.LBB7_524:
	s_mov_b64 s[0:1], -1
                                        ; implicit-def: $vgpr4_vgpr5
	s_branch .LBB7_529
.LBB7_525:
	s_mov_b64 s[0:1], -1
                                        ; implicit-def: $vgpr4_vgpr5
.LBB7_526:
	s_andn2_b64 vcc, exec, s[0:1]
	s_cbranch_vccnz .LBB7_528
; %bb.527:
	global_load_dword v3, v[0:1], off
	s_waitcnt vmcnt(0)
	v_cvt_f64_f32_e32 v[4:5], v3
.LBB7_528:
	s_mov_b64 s[0:1], 0
.LBB7_529:
	s_andn2_b64 vcc, exec, s[0:1]
	s_cbranch_vccnz .LBB7_531
; %bb.530:
	global_load_dword v3, v[0:1], off
	s_waitcnt vmcnt(0)
	v_cvt_f32_f16_e32 v3, v3
	v_cvt_f64_f32_e32 v[4:5], v3
.LBB7_531:
	s_mov_b64 s[0:1], 0
.LBB7_532:
	s_andn2_b64 vcc, exec, s[0:1]
	s_cbranch_vccnz .LBB7_543
; %bb.533:
	v_cmp_gt_i16_e32 vcc, 6, v8
	s_cbranch_vccnz .LBB7_536
; %bb.534:
	v_cmp_lt_i16_e32 vcc, 6, v8
	s_cbranch_vccz .LBB7_537
; %bb.535:
	global_load_dwordx2 v[4:5], v[0:1], off
	s_mov_b64 s[0:1], 0
	s_branch .LBB7_538
.LBB7_536:
	s_mov_b64 s[0:1], -1
                                        ; implicit-def: $vgpr4_vgpr5
	s_branch .LBB7_541
.LBB7_537:
	s_mov_b64 s[0:1], -1
                                        ; implicit-def: $vgpr4_vgpr5
.LBB7_538:
	s_andn2_b64 vcc, exec, s[0:1]
	s_cbranch_vccnz .LBB7_540
; %bb.539:
	global_load_dword v3, v[0:1], off
	s_waitcnt vmcnt(0)
	v_cvt_f64_f32_e32 v[4:5], v3
.LBB7_540:
	s_mov_b64 s[0:1], 0
.LBB7_541:
	s_andn2_b64 vcc, exec, s[0:1]
	s_cbranch_vccnz .LBB7_543
; %bb.542:
	global_load_ushort v3, v[0:1], off
	s_waitcnt vmcnt(0)
	v_cvt_f32_f16_e32 v3, v3
	v_cvt_f64_f32_e32 v[4:5], v3
.LBB7_543:
	s_mov_b64 s[0:1], 0
.LBB7_544:
	s_andn2_b64 vcc, exec, s[0:1]
	s_cbranch_vccnz .LBB7_564
; %bb.545:
	v_cmp_gt_i16_e32 vcc, 2, v8
	s_cbranch_vccnz .LBB7_549
; %bb.546:
	v_cmp_gt_i16_e32 vcc, 3, v8
	s_cbranch_vccnz .LBB7_550
; %bb.547:
	v_cmp_lt_i16_e32 vcc, 3, v8
	s_cbranch_vccz .LBB7_551
; %bb.548:
	global_load_dwordx2 v[4:5], v[0:1], off
	s_mov_b64 s[0:1], 0
	s_waitcnt vmcnt(0)
	v_cvt_f64_i32_e32 v[6:7], v5
	v_cvt_f64_u32_e32 v[4:5], v4
	v_ldexp_f64 v[6:7], v[6:7], 32
	v_add_f64 v[4:5], v[6:7], v[4:5]
	s_branch .LBB7_552
.LBB7_549:
	s_mov_b64 s[0:1], -1
                                        ; implicit-def: $vgpr4_vgpr5
	s_branch .LBB7_558
.LBB7_550:
	s_mov_b64 s[0:1], -1
                                        ; implicit-def: $vgpr4_vgpr5
	s_branch .LBB7_555
.LBB7_551:
	s_mov_b64 s[0:1], -1
                                        ; implicit-def: $vgpr4_vgpr5
.LBB7_552:
	s_andn2_b64 vcc, exec, s[0:1]
	s_cbranch_vccnz .LBB7_554
; %bb.553:
	global_load_dword v3, v[0:1], off
	s_waitcnt vmcnt(0)
	v_cvt_f64_i32_e32 v[4:5], v3
.LBB7_554:
	s_mov_b64 s[0:1], 0
.LBB7_555:
	s_andn2_b64 vcc, exec, s[0:1]
	s_cbranch_vccnz .LBB7_557
; %bb.556:
	global_load_sshort v3, v[0:1], off
	s_waitcnt vmcnt(0)
	v_cvt_f64_i32_e32 v[4:5], v3
.LBB7_557:
	s_mov_b64 s[0:1], 0
.LBB7_558:
	s_andn2_b64 vcc, exec, s[0:1]
	s_cbranch_vccnz .LBB7_564
; %bb.559:
	v_cmp_lt_i16_e32 vcc, 0, v8
	s_cbranch_vccz .LBB7_561
; %bb.560:
	global_load_sbyte v3, v[0:1], off
	s_mov_b64 s[0:1], 0
	s_waitcnt vmcnt(0)
	v_cvt_f64_i32_e32 v[4:5], v3
	s_branch .LBB7_562
.LBB7_561:
	s_mov_b64 s[0:1], -1
                                        ; implicit-def: $vgpr4_vgpr5
.LBB7_562:
	s_andn2_b64 vcc, exec, s[0:1]
	s_cbranch_vccnz .LBB7_564
; %bb.563:
	global_load_ubyte v0, v[0:1], off
	s_waitcnt vmcnt(0)
	v_cvt_f64_u32_e32 v[4:5], v0
.LBB7_564:
	s_branch .LBB7_308
.LBB7_565:
	s_mov_b64 s[8:9], 0
	s_mov_b64 s[0:1], s[54:55]
.LBB7_566:
                                        ; implicit-def: $vgpr9
.LBB7_567:
	s_andn2_b64 s[10:11], s[54:55], exec
	s_and_b64 s[0:1], s[0:1], exec
	s_or_b64 s[62:63], s[10:11], s[0:1]
	s_andn2_b64 s[0:1], s[56:57], exec
	s_and_b64 s[2:3], s[2:3], exec
	s_or_b64 s[60:61], s[0:1], s[2:3]
	s_orn2_b64 s[0:1], s[8:9], exec
.LBB7_568:
	s_or_b64 exec, exec, s[64:65]
	s_mov_b64 s[2:3], 0
	s_mov_b64 s[8:9], 0
	;; [unrolled: 1-line block ×3, first 2 shown]
                                        ; implicit-def: $vgpr0_vgpr1
                                        ; implicit-def: $vgpr2
                                        ; implicit-def: $vgpr6_vgpr7
	s_and_saveexec_b64 s[64:65], s[0:1]
	s_cbranch_execz .LBB7_957
; %bb.569:
	v_cmp_gt_i32_e32 vcc, s74, v9
	s_mov_b64 s[2:3], -1
	s_mov_b64 s[68:69], s[60:61]
	s_mov_b64 s[70:71], s[62:63]
	s_and_saveexec_b64 s[66:67], vcc
	s_cbranch_execz .LBB7_856
; %bb.570:
	s_andn2_b64 vcc, exec, s[40:41]
	s_cbranch_vccnz .LBB7_576
; %bb.571:
	s_mov_b32 s68, 0
	s_andn2_b64 vcc, exec, s[52:53]
	v_mov_b32_e32 v0, 0
	v_mov_b32_e32 v2, 0
	s_cbranch_vccnz .LBB7_582
; %bb.572:
	s_add_i32 s78, s75, 1
	s_cmp_eq_u32 s76, 2
	s_cbranch_scc1 .LBB7_577
; %bb.573:
	s_and_b32 s68, s78, 28
	s_mov_b32 s69, 0
	v_mov_b32_e32 v2, 0
	s_mov_b64 s[70:71], s[34:35]
	s_mov_b64 s[72:73], s[50:51]
	v_mov_b32_e32 v1, v9
	v_mov_b32_e32 v0, 0
.LBB7_574:                              ; =>This Inner Loop Header: Depth=1
	s_load_dwordx8 s[16:23], s[70:71], 0x4
	s_load_dwordx4 s[0:3], s[70:71], 0x24
	s_load_dwordx8 s[8:15], s[72:73], 0x0
	s_add_u32 s70, s70, 48
	s_addc_u32 s71, s71, 0
	s_waitcnt lgkmcnt(0)
	v_mul_hi_u32 v3, s17, v1
	v_add_u32_e32 v3, v1, v3
	v_lshrrev_b32_e32 v3, s18, v3
	s_waitcnt vmcnt(0)
	v_mul_lo_u32 v4, v3, s16
	v_mul_hi_u32 v5, s20, v3
	v_sub_u32_e32 v1, v1, v4
	v_add_u32_e32 v4, v3, v5
	v_lshrrev_b32_e32 v4, s21, v4
	v_mul_lo_u32 v6, v4, s19
	v_mul_hi_u32 v7, s23, v4
	v_sub_u32_e32 v3, v3, v6
	v_add_u32_e32 v6, v4, v7
	v_mul_lo_u32 v5, v1, s9
	v_mul_lo_u32 v1, v1, s8
	v_mul_lo_u32 v7, v3, s11
	v_mul_lo_u32 v3, v3, s10
	v_lshrrev_b32_e32 v6, s0, v6
	v_add3_u32 v2, v1, v2, v3
	v_mul_lo_u32 v1, v6, s22
	v_mul_hi_u32 v3, s2, v6
	v_sub_u32_e32 v1, v4, v1
	v_add_u32_e32 v3, v6, v3
	v_add3_u32 v0, v5, v0, v7
	v_mul_lo_u32 v4, v1, s12
	v_mul_lo_u32 v5, v1, s13
	v_lshrrev_b32_e32 v1, s3, v3
	s_add_i32 s69, s69, 4
	v_mul_lo_u32 v3, v1, s1
	s_add_u32 s72, s72, 32
	v_sub_u32_e32 v3, v6, v3
	s_addc_u32 s73, s73, 0
	v_mul_lo_u32 v6, v3, s14
	v_mul_lo_u32 v3, v3, s15
	s_cmp_eq_u32 s68, s69
	v_add3_u32 v0, v5, v0, v3
	v_add3_u32 v2, v4, v2, v6
	s_cbranch_scc0 .LBB7_574
; %bb.575:
	v_mov_b32_e32 v3, v0
	s_branch .LBB7_578
.LBB7_576:
	s_mov_b64 s[0:1], -1
                                        ; implicit-def: $vgpr0
                                        ; implicit-def: $vgpr2
	s_branch .LBB7_583
.LBB7_577:
	s_mov_b32 s69, s68
	v_pk_mov_b32 v[2:3], s[68:69], s[68:69] op_sel:[0,1]
                                        ; implicit-def: $vgpr0
	v_mov_b32_e32 v1, v9
.LBB7_578:
	s_and_b32 s8, s78, 3
	s_cmp_eq_u32 s8, 0
	s_cbranch_scc1 .LBB7_582
; %bb.579:
	s_lshl_b32 s0, s68, 3
	s_add_u32 s0, s0, s34
	s_addc_u32 s1, s35, 0
	s_add_u32 s0, s0, 0xc4
	s_addc_u32 s1, s1, 0
	s_mul_i32 s2, s68, 12
	s_add_u32 s2, s34, s2
	s_addc_u32 s3, s35, 0
.LBB7_580:                              ; =>This Inner Loop Header: Depth=1
	s_load_dwordx2 s[10:11], s[2:3], 0x4
	s_load_dword s9, s[2:3], 0xc
	s_load_dwordx2 s[12:13], s[0:1], 0x0
	v_mov_b32_e32 v0, v3
	s_add_u32 s2, s2, 12
	s_waitcnt lgkmcnt(0)
	v_mul_hi_u32 v3, s11, v1
	v_add_u32_e32 v3, v1, v3
	v_lshrrev_b32_e32 v3, s9, v3
	s_addc_u32 s3, s3, 0
	s_waitcnt vmcnt(0)
	v_mul_lo_u32 v4, v3, s10
	s_add_u32 s0, s0, 8
	v_sub_u32_e32 v6, v1, v4
	v_mov_b32_e32 v1, v3
	s_addc_u32 s1, s1, 0
	s_add_i32 s8, s8, -1
	v_mad_u64_u32 v[4:5], s[10:11], v6, s13, v[0:1]
	v_mad_u64_u32 v[2:3], s[10:11], v6, s12, v[2:3]
	s_cmp_lg_u32 s8, 0
	v_mov_b32_e32 v3, v4
	s_cbranch_scc1 .LBB7_580
; %bb.581:
	v_mov_b32_e32 v0, v3
.LBB7_582:
	s_mov_b64 s[0:1], 0
.LBB7_583:
	s_andn2_b64 vcc, exec, s[0:1]
	s_cbranch_vccnz .LBB7_586
; %bb.584:
	v_mul_hi_u32 v0, s29, v9
	v_add_u32_e32 v0, v9, v0
	v_lshrrev_b32_e32 v1, s30, v0
	v_mul_lo_u32 v0, v1, s28
	v_sub_u32_e32 v2, v9, v0
	v_mul_lo_u32 v0, v2, s37
	s_andn2_b64 vcc, exec, s[48:49]
	v_mul_lo_u32 v2, v2, s36
	s_cbranch_vccnz .LBB7_586
; %bb.585:
	v_mul_hi_u32 v3, s46, v1
	v_add_u32_e32 v3, v1, v3
	v_lshrrev_b32_e32 v3, s47, v3
	v_mul_lo_u32 v3, v3, s31
	v_sub_u32_e32 v1, v1, v3
	v_mad_u64_u32 v[2:3], s[0:1], v1, s38, v[2:3]
	v_mad_u64_u32 v[0:1], s[0:1], v1, s39, v[0:1]
.LBB7_586:
	v_mov_b32_e32 v1, s27
	v_add_co_u32_e32 v0, vcc, s26, v0
	v_addc_co_u32_e32 v1, vcc, 0, v1, vcc
	v_cmp_gt_i16_e32 vcc, 11, v8
	s_cbranch_vccnz .LBB7_593
; %bb.587:
	v_cmp_lt_i16_e32 vcc, 25, v8
	s_cbranch_vccz .LBB7_594
; %bb.588:
	v_cmp_lt_i16_e32 vcc, 28, v8
	s_cbranch_vccz .LBB7_595
	;; [unrolled: 3-line block ×4, first 2 shown]
; %bb.591:
	v_cmp_eq_u16_e32 vcc, 46, v8
	s_mov_b64 s[8:9], 0
	s_cbranch_vccz .LBB7_602
; %bb.592:
	global_load_dword v3, v[0:1], off
	s_mov_b64 s[0:1], -1
	s_mov_b64 s[2:3], 0
	s_waitcnt vmcnt(0)
	v_lshlrev_b32_e32 v3, 16, v3
	v_cvt_f64_f32_e32 v[4:5], v3
	s_branch .LBB7_603
.LBB7_593:
	s_mov_b64 s[8:9], -1
	s_mov_b64 s[0:1], 0
                                        ; implicit-def: $vgpr4_vgpr5
	s_mov_b64 s[2:3], s[60:61]
	s_branch .LBB7_668
.LBB7_594:
	s_mov_b64 s[8:9], -1
	s_mov_b64 s[0:1], 0
	s_mov_b64 s[2:3], s[60:61]
                                        ; implicit-def: $vgpr4_vgpr5
	s_branch .LBB7_632
.LBB7_595:
	s_mov_b64 s[8:9], -1
	s_mov_b64 s[0:1], 0
	s_mov_b64 s[2:3], s[60:61]
                                        ; implicit-def: $vgpr4_vgpr5
	s_branch .LBB7_613
.LBB7_596:
	s_mov_b64 s[8:9], -1
	s_mov_b64 s[0:1], 0
	s_mov_b64 s[2:3], s[60:61]
                                        ; implicit-def: $vgpr4_vgpr5
	s_branch .LBB7_608
.LBB7_597:
	s_or_saveexec_b64 s[12:13], s[12:13]
                                        ; implicit-def: $sgpr14
	s_xor_b64 exec, exec, s[12:13]
	s_cbranch_execz .LBB7_365
.LBB7_598:
	s_mov_b32 s14, 0x46000000
	v_add_f32_e64 v3, |v2|, s14
	v_and_b32_e32 v3, 0xff, v3
	v_cmp_ne_u32_e32 vcc, 0, v3
	s_andn2_b64 s[10:11], s[10:11], exec
	s_and_b64 s[16:17], vcc, exec
	s_mov_b32 s14, 0
	s_or_b64 s[10:11], s[10:11], s[16:17]
	s_or_b64 exec, exec, s[12:13]
	v_mov_b32_e32 v6, s14
	s_and_saveexec_b64 s[12:13], s[10:11]
	s_cbranch_execnz .LBB7_366
	s_branch .LBB7_367
.LBB7_599:
	s_mov_b64 s[8:9], -1
	s_mov_b64 s[0:1], 0
	s_mov_b64 s[2:3], s[60:61]
                                        ; implicit-def: $vgpr4_vgpr5
	s_branch .LBB7_603
.LBB7_600:
	s_or_saveexec_b64 s[12:13], s[12:13]
                                        ; implicit-def: $sgpr14
	s_xor_b64 exec, exec, s[12:13]
	s_cbranch_execz .LBB7_378
.LBB7_601:
	s_mov_b32 s14, 0x42800000
	v_add_f32_e64 v3, |v2|, s14
	v_and_b32_e32 v3, 0xff, v3
	v_cmp_ne_u32_e32 vcc, 0, v3
	s_andn2_b64 s[10:11], s[10:11], exec
	s_and_b64 s[16:17], vcc, exec
	s_mov_b32 s14, 0
	s_or_b64 s[10:11], s[10:11], s[16:17]
	s_or_b64 exec, exec, s[12:13]
	v_mov_b32_e32 v6, s14
	s_and_saveexec_b64 s[12:13], s[10:11]
	s_cbranch_execnz .LBB7_379
	s_branch .LBB7_380
.LBB7_602:
	s_mov_b64 s[2:3], -1
                                        ; implicit-def: $vgpr4_vgpr5
	s_mov_b64 s[0:1], 0
.LBB7_603:
	s_and_b64 vcc, exec, s[8:9]
	s_cbranch_vccz .LBB7_607
; %bb.604:
	v_cmp_eq_u16_e32 vcc, 44, v8
	s_cbranch_vccz .LBB7_606
; %bb.605:
	global_load_ubyte v3, v[0:1], off
	s_movk_i32 s2, 0xff
	v_bfrev_b32_e32 v6, 4
	v_mov_b32_e32 v7, 0x7ff80000
	v_bfrev_b32_e32 v10, 28
	s_mov_b64 s[0:1], -1
	s_waitcnt vmcnt(0)
	v_lshlrev_b32_e32 v4, 23, v3
	v_cvt_f64_f32_e32 v[4:5], v4
	v_cmp_ne_u32_e32 vcc, s2, v3
	v_cndmask_b32_e32 v4, v6, v4, vcc
	v_cndmask_b32_e32 v5, v7, v5, vcc
	v_cmp_ne_u32_e32 vcc, 0, v3
	v_cndmask_b32_e32 v5, v10, v5, vcc
	v_cndmask_b32_e32 v4, 0, v4, vcc
	s_mov_b64 s[2:3], 0
	s_branch .LBB7_607
.LBB7_606:
	s_mov_b64 s[2:3], -1
                                        ; implicit-def: $vgpr4_vgpr5
.LBB7_607:
	s_mov_b64 s[8:9], 0
.LBB7_608:
	s_and_b64 vcc, exec, s[8:9]
	s_cbranch_vccz .LBB7_612
; %bb.609:
	v_cmp_eq_u16_e32 vcc, 29, v8
	s_cbranch_vccz .LBB7_611
; %bb.610:
	global_load_dwordx2 v[4:5], v[0:1], off
	s_mov_b64 s[0:1], -1
	s_mov_b64 s[2:3], 0
	s_mov_b64 s[8:9], 0
	s_waitcnt vmcnt(0)
	v_cvt_f64_u32_e32 v[6:7], v5
	v_cvt_f64_u32_e32 v[4:5], v4
	v_ldexp_f64 v[6:7], v[6:7], 32
	v_add_f64 v[4:5], v[6:7], v[4:5]
	s_branch .LBB7_613
.LBB7_611:
	s_mov_b64 s[2:3], -1
                                        ; implicit-def: $vgpr4_vgpr5
.LBB7_612:
	s_mov_b64 s[8:9], 0
.LBB7_613:
	s_and_b64 vcc, exec, s[8:9]
	s_cbranch_vccz .LBB7_631
; %bb.614:
	v_cmp_gt_i16_e32 vcc, 27, v8
	s_cbranch_vccnz .LBB7_617
; %bb.615:
	v_cmp_lt_i16_e32 vcc, 27, v8
	s_cbranch_vccz .LBB7_618
; %bb.616:
	global_load_dword v3, v[0:1], off
	s_mov_b64 s[0:1], 0
	s_waitcnt vmcnt(0)
	v_cvt_f64_u32_e32 v[4:5], v3
	s_branch .LBB7_619
.LBB7_617:
	s_mov_b64 s[0:1], -1
                                        ; implicit-def: $vgpr4_vgpr5
	s_branch .LBB7_622
.LBB7_618:
	s_mov_b64 s[0:1], -1
                                        ; implicit-def: $vgpr4_vgpr5
.LBB7_619:
	s_andn2_b64 vcc, exec, s[0:1]
	s_cbranch_vccnz .LBB7_621
; %bb.620:
	global_load_ushort v3, v[0:1], off
	s_waitcnt vmcnt(0)
	v_cvt_f64_u32_e32 v[4:5], v3
.LBB7_621:
	s_mov_b64 s[0:1], 0
.LBB7_622:
	s_andn2_b64 vcc, exec, s[0:1]
	s_cbranch_vccnz .LBB7_630
; %bb.623:
	global_load_ubyte v3, v[0:1], off
	s_movk_i32 s0, 0x7f
                                        ; implicit-def: $sgpr8_sgpr9
	s_waitcnt vmcnt(0)
	v_cmp_lt_i16_e32 vcc, s0, v3
	s_mov_b64 s[0:1], 0
	s_and_saveexec_b64 s[10:11], vcc
	s_xor_b64 s[10:11], exec, s[10:11]
	s_cbranch_execz .LBB7_644
; %bb.624:
	s_movk_i32 s0, 0x80
	v_cmp_eq_u16_e32 vcc, s0, v3
	s_mov_b64 s[12:13], -1
                                        ; implicit-def: $sgpr8_sgpr9
	s_and_saveexec_b64 s[0:1], vcc
; %bb.625:
	s_mov_b32 s9, 0x7ff80000
	s_brev_b32 s8, 4
	s_xor_b64 s[12:13], exec, -1
; %bb.626:
	s_or_b64 exec, exec, s[0:1]
	s_and_b64 s[0:1], s[12:13], exec
	s_or_saveexec_b64 s[10:11], s[10:11]
	v_pk_mov_b32 v[4:5], s[8:9], s[8:9] op_sel:[0,1]
	s_xor_b64 exec, exec, s[10:11]
	s_cbranch_execnz .LBB7_645
.LBB7_627:
	s_or_b64 exec, exec, s[10:11]
	s_and_saveexec_b64 s[8:9], s[0:1]
	s_cbranch_execz .LBB7_629
.LBB7_628:
	v_lshlrev_b32_e32 v4, 24, v3
	v_and_b32_e32 v3, 0xffff, v3
	v_and_b32_e32 v5, 7, v3
	v_ffbh_u32_e32 v7, v5
	v_min_u32_e32 v7, 32, v7
	v_subrev_u32_e32 v10, 28, v7
	v_bfe_u32 v6, v3, 3, 4
	v_lshlrev_b32_e32 v3, v10, v3
	v_sub_u32_e32 v7, 29, v7
	v_and_b32_e32 v3, 7, v3
	v_cmp_eq_u32_e32 vcc, 0, v6
	v_cndmask_b32_e32 v6, v6, v7, vcc
	v_cndmask_b32_e32 v3, v5, v3, vcc
	v_mov_b32_e32 v5, 0x3b800000
	v_lshlrev_b32_e32 v3, 20, v3
	v_and_b32_e32 v4, 0x80000000, v4
	v_lshl_add_u32 v5, v6, 23, v5
	v_or3_b32 v3, v4, v5, v3
	v_cvt_f64_f32_e32 v[4:5], v3
.LBB7_629:
	s_or_b64 exec, exec, s[8:9]
.LBB7_630:
	s_mov_b64 s[0:1], -1
.LBB7_631:
	s_mov_b64 s[8:9], 0
.LBB7_632:
	s_and_b64 vcc, exec, s[8:9]
	s_cbranch_vccz .LBB7_667
; %bb.633:
	v_cmp_lt_i16_e32 vcc, 22, v8
	s_cbranch_vccz .LBB7_643
; %bb.634:
	v_cmp_gt_i16_e32 vcc, 24, v8
	s_cbranch_vccnz .LBB7_646
; %bb.635:
	v_cmp_lt_i16_e32 vcc, 24, v8
	s_cbranch_vccz .LBB7_647
; %bb.636:
	global_load_ubyte v3, v[0:1], off
	s_movk_i32 s0, 0x7f
                                        ; implicit-def: $sgpr8_sgpr9
	s_waitcnt vmcnt(0)
	v_cmp_lt_i16_e32 vcc, s0, v3
	s_mov_b64 s[0:1], 0
	s_and_saveexec_b64 s[10:11], vcc
	s_xor_b64 s[10:11], exec, s[10:11]
	s_cbranch_execz .LBB7_659
; %bb.637:
	s_movk_i32 s0, 0x80
	v_cmp_eq_u16_e32 vcc, s0, v3
	s_mov_b64 s[12:13], -1
                                        ; implicit-def: $sgpr8_sgpr9
	s_and_saveexec_b64 s[0:1], vcc
; %bb.638:
	s_mov_b32 s9, 0x7ff80000
	s_brev_b32 s8, 4
	s_xor_b64 s[12:13], exec, -1
; %bb.639:
	s_or_b64 exec, exec, s[0:1]
	s_and_b64 s[0:1], s[12:13], exec
	s_or_saveexec_b64 s[10:11], s[10:11]
	v_pk_mov_b32 v[4:5], s[8:9], s[8:9] op_sel:[0,1]
	s_xor_b64 exec, exec, s[10:11]
	s_cbranch_execnz .LBB7_660
.LBB7_640:
	s_or_b64 exec, exec, s[10:11]
	s_and_saveexec_b64 s[8:9], s[0:1]
	s_cbranch_execz .LBB7_642
.LBB7_641:
	v_lshlrev_b32_e32 v4, 24, v3
	v_and_b32_e32 v3, 0xffff, v3
	v_and_b32_e32 v5, 3, v3
	v_ffbh_u32_e32 v7, v5
	v_min_u32_e32 v7, 32, v7
	v_subrev_u32_e32 v10, 29, v7
	v_bfe_u32 v6, v3, 2, 5
	v_lshlrev_b32_e32 v3, v10, v3
	v_sub_u32_e32 v7, 30, v7
	v_and_b32_e32 v3, 3, v3
	v_cmp_eq_u32_e32 vcc, 0, v6
	v_cndmask_b32_e32 v6, v6, v7, vcc
	v_cndmask_b32_e32 v3, v5, v3, vcc
	v_mov_b32_e32 v5, 0x37800000
	v_lshlrev_b32_e32 v3, 21, v3
	v_and_b32_e32 v4, 0x80000000, v4
	v_lshl_add_u32 v5, v6, 23, v5
	v_or3_b32 v3, v4, v5, v3
	v_cvt_f64_f32_e32 v[4:5], v3
.LBB7_642:
	s_or_b64 exec, exec, s[8:9]
	s_mov_b64 s[0:1], 0
	s_branch .LBB7_648
.LBB7_643:
	s_mov_b64 s[8:9], -1
                                        ; implicit-def: $vgpr4_vgpr5
	s_branch .LBB7_654
.LBB7_644:
	s_or_saveexec_b64 s[10:11], s[10:11]
	v_pk_mov_b32 v[4:5], s[8:9], s[8:9] op_sel:[0,1]
	s_xor_b64 exec, exec, s[10:11]
	s_cbranch_execz .LBB7_627
.LBB7_645:
	v_cmp_ne_u16_e32 vcc, 0, v3
	s_andn2_b64 s[0:1], s[0:1], exec
	s_and_b64 s[8:9], vcc, exec
	v_pk_mov_b32 v[4:5], 0, 0
	s_or_b64 s[0:1], s[0:1], s[8:9]
	s_or_b64 exec, exec, s[10:11]
	s_and_saveexec_b64 s[8:9], s[0:1]
	s_cbranch_execnz .LBB7_628
	s_branch .LBB7_629
.LBB7_646:
	s_mov_b64 s[0:1], -1
                                        ; implicit-def: $vgpr4_vgpr5
	s_branch .LBB7_651
.LBB7_647:
	s_mov_b64 s[0:1], -1
                                        ; implicit-def: $vgpr4_vgpr5
.LBB7_648:
	s_and_b64 vcc, exec, s[0:1]
	s_cbranch_vccz .LBB7_650
; %bb.649:
	global_load_ubyte v3, v[0:1], off
	s_mov_b32 s0, 0x7f800000
	s_waitcnt vmcnt(0)
	v_lshlrev_b32_e32 v3, 24, v3
	v_and_b32_e32 v4, 0x7f000000, v3
	v_ffbh_u32_e32 v5, v4
	v_min_u32_e32 v5, 32, v5
	v_sub_u32_e64 v5, v5, 4 clamp
	v_lshlrev_b32_e32 v7, v5, v4
	v_lshlrev_b32_e32 v5, 23, v5
	v_lshrrev_b32_e32 v7, 4, v7
	v_add_u32_e32 v6, 0x1000000, v4
	v_sub_u32_e32 v5, v7, v5
	v_ashrrev_i32_e32 v6, 8, v6
	v_add_u32_e32 v5, 0x3c000000, v5
	v_and_or_b32 v5, v6, s0, v5
	v_cmp_ne_u32_e32 vcc, 0, v4
	v_cndmask_b32_e32 v4, 0, v5, vcc
	s_brev_b32 s0, 1
	v_and_or_b32 v3, v3, s0, v4
	v_cvt_f64_f32_e32 v[4:5], v3
.LBB7_650:
	s_mov_b64 s[0:1], 0
.LBB7_651:
	s_andn2_b64 vcc, exec, s[0:1]
	s_cbranch_vccnz .LBB7_653
; %bb.652:
	global_load_ubyte v3, v[0:1], off
	s_movk_i32 s0, 0x7f00
	s_brev_b32 s1, 16
	s_waitcnt vmcnt(0)
	v_lshlrev_b16_e32 v4, 8, v3
	v_lshlrev_b32_e32 v3, 25, v3
	v_lshrrev_b32_e32 v5, 4, v3
	v_and_or_b32 v6, v4, s0, 0.5
	v_or_b32_e32 v5, 0x70000000, v5
	v_add_f32_e32 v6, -0.5, v6
	v_mul_f32_e32 v5, 0x7800000, v5
	v_cmp_gt_u32_e32 vcc, s1, v3
	v_bfe_i32 v4, v4, 0, 16
	v_cndmask_b32_e32 v3, v5, v6, vcc
	s_brev_b32 s0, 1
	v_and_or_b32 v3, v4, s0, v3
	v_cvt_f64_f32_e32 v[4:5], v3
.LBB7_653:
	s_mov_b64 s[8:9], 0
	s_mov_b64 s[0:1], -1
.LBB7_654:
	s_andn2_b64 vcc, exec, s[8:9]
	s_cbranch_vccnz .LBB7_667
; %bb.655:
	v_cmp_lt_i16_e32 vcc, 14, v8
	s_cbranch_vccz .LBB7_658
; %bb.656:
	v_cmp_eq_u16_e32 vcc, 15, v8
	s_cbranch_vccz .LBB7_661
; %bb.657:
	global_load_ushort v3, v[0:1], off
	s_mov_b64 s[0:1], -1
	s_mov_b64 s[2:3], 0
	s_waitcnt vmcnt(0)
	v_lshlrev_b32_e32 v3, 16, v3
	v_cvt_f64_f32_e32 v[4:5], v3
	s_branch .LBB7_662
.LBB7_658:
	s_mov_b64 s[8:9], -1
                                        ; implicit-def: $vgpr4_vgpr5
	s_branch .LBB7_663
.LBB7_659:
	s_or_saveexec_b64 s[10:11], s[10:11]
	v_pk_mov_b32 v[4:5], s[8:9], s[8:9] op_sel:[0,1]
	s_xor_b64 exec, exec, s[10:11]
	s_cbranch_execz .LBB7_640
.LBB7_660:
	v_cmp_ne_u16_e32 vcc, 0, v3
	s_andn2_b64 s[0:1], s[0:1], exec
	s_and_b64 s[8:9], vcc, exec
	v_pk_mov_b32 v[4:5], 0, 0
	s_or_b64 s[0:1], s[0:1], s[8:9]
	s_or_b64 exec, exec, s[10:11]
	s_and_saveexec_b64 s[8:9], s[0:1]
	s_cbranch_execnz .LBB7_641
	s_branch .LBB7_642
.LBB7_661:
	s_mov_b64 s[2:3], -1
                                        ; implicit-def: $vgpr4_vgpr5
.LBB7_662:
	s_mov_b64 s[8:9], 0
.LBB7_663:
	s_and_b64 vcc, exec, s[8:9]
	s_cbranch_vccz .LBB7_667
; %bb.664:
	v_cmp_eq_u16_e32 vcc, 11, v8
	s_cbranch_vccz .LBB7_666
; %bb.665:
	global_load_ubyte v3, v[0:1], off
	s_waitcnt vmcnt(1)
	v_mov_b32_e32 v5, 0x3ff00000
	v_mov_b32_e32 v4, 0
	s_mov_b64 s[0:1], -1
	s_mov_b64 s[2:3], 0
	s_waitcnt vmcnt(0)
	v_cmp_ne_u16_e32 vcc, 0, v3
	v_cndmask_b32_e32 v5, 0, v5, vcc
	s_branch .LBB7_667
.LBB7_666:
	s_mov_b64 s[2:3], -1
                                        ; implicit-def: $vgpr4_vgpr5
.LBB7_667:
	s_mov_b64 s[8:9], 0
.LBB7_668:
	s_and_b64 vcc, exec, s[8:9]
	s_cbranch_vccz .LBB7_717
; %bb.669:
	v_cmp_gt_i16_e32 vcc, 5, v8
	s_cbranch_vccnz .LBB7_674
; %bb.670:
	v_cmp_gt_i16_e32 vcc, 8, v8
	s_cbranch_vccnz .LBB7_675
	;; [unrolled: 3-line block ×3, first 2 shown]
; %bb.672:
	v_cmp_lt_i16_e32 vcc, 9, v8
	s_cbranch_vccz .LBB7_677
; %bb.673:
	global_load_dwordx2 v[4:5], v[0:1], off
	s_mov_b64 s[0:1], 0
	s_branch .LBB7_678
.LBB7_674:
	s_mov_b64 s[0:1], -1
                                        ; implicit-def: $vgpr4_vgpr5
	s_branch .LBB7_696
.LBB7_675:
	s_mov_b64 s[0:1], -1
                                        ; implicit-def: $vgpr4_vgpr5
	s_branch .LBB7_684
.LBB7_676:
	s_mov_b64 s[0:1], -1
                                        ; implicit-def: $vgpr4_vgpr5
	s_branch .LBB7_681
.LBB7_677:
	s_mov_b64 s[0:1], -1
                                        ; implicit-def: $vgpr4_vgpr5
.LBB7_678:
	s_andn2_b64 vcc, exec, s[0:1]
	s_cbranch_vccnz .LBB7_680
; %bb.679:
	global_load_dword v3, v[0:1], off
	s_waitcnt vmcnt(0)
	v_cvt_f64_f32_e32 v[4:5], v3
.LBB7_680:
	s_mov_b64 s[0:1], 0
.LBB7_681:
	s_andn2_b64 vcc, exec, s[0:1]
	s_cbranch_vccnz .LBB7_683
; %bb.682:
	global_load_dword v3, v[0:1], off
	s_waitcnt vmcnt(0)
	v_cvt_f32_f16_e32 v3, v3
	v_cvt_f64_f32_e32 v[4:5], v3
.LBB7_683:
	s_mov_b64 s[0:1], 0
.LBB7_684:
	s_andn2_b64 vcc, exec, s[0:1]
	s_cbranch_vccnz .LBB7_695
; %bb.685:
	v_cmp_gt_i16_e32 vcc, 6, v8
	s_cbranch_vccnz .LBB7_688
; %bb.686:
	v_cmp_lt_i16_e32 vcc, 6, v8
	s_cbranch_vccz .LBB7_689
; %bb.687:
	global_load_dwordx2 v[4:5], v[0:1], off
	s_mov_b64 s[0:1], 0
	s_branch .LBB7_690
.LBB7_688:
	s_mov_b64 s[0:1], -1
                                        ; implicit-def: $vgpr4_vgpr5
	s_branch .LBB7_693
.LBB7_689:
	s_mov_b64 s[0:1], -1
                                        ; implicit-def: $vgpr4_vgpr5
.LBB7_690:
	s_andn2_b64 vcc, exec, s[0:1]
	s_cbranch_vccnz .LBB7_692
; %bb.691:
	global_load_dword v3, v[0:1], off
	s_waitcnt vmcnt(0)
	v_cvt_f64_f32_e32 v[4:5], v3
.LBB7_692:
	s_mov_b64 s[0:1], 0
.LBB7_693:
	s_andn2_b64 vcc, exec, s[0:1]
	s_cbranch_vccnz .LBB7_695
; %bb.694:
	global_load_ushort v3, v[0:1], off
	s_waitcnt vmcnt(0)
	v_cvt_f32_f16_e32 v3, v3
	v_cvt_f64_f32_e32 v[4:5], v3
.LBB7_695:
	s_mov_b64 s[0:1], 0
.LBB7_696:
	s_andn2_b64 vcc, exec, s[0:1]
	s_cbranch_vccnz .LBB7_716
; %bb.697:
	v_cmp_gt_i16_e32 vcc, 2, v8
	s_cbranch_vccnz .LBB7_701
; %bb.698:
	v_cmp_gt_i16_e32 vcc, 3, v8
	s_cbranch_vccnz .LBB7_702
; %bb.699:
	v_cmp_lt_i16_e32 vcc, 3, v8
	s_cbranch_vccz .LBB7_703
; %bb.700:
	global_load_dwordx2 v[4:5], v[0:1], off
	s_mov_b64 s[0:1], 0
	s_waitcnt vmcnt(0)
	v_cvt_f64_i32_e32 v[6:7], v5
	v_cvt_f64_u32_e32 v[4:5], v4
	v_ldexp_f64 v[6:7], v[6:7], 32
	v_add_f64 v[4:5], v[6:7], v[4:5]
	s_branch .LBB7_704
.LBB7_701:
	s_mov_b64 s[0:1], -1
                                        ; implicit-def: $vgpr4_vgpr5
	s_branch .LBB7_710
.LBB7_702:
	s_mov_b64 s[0:1], -1
                                        ; implicit-def: $vgpr4_vgpr5
	s_branch .LBB7_707
.LBB7_703:
	s_mov_b64 s[0:1], -1
                                        ; implicit-def: $vgpr4_vgpr5
.LBB7_704:
	s_andn2_b64 vcc, exec, s[0:1]
	s_cbranch_vccnz .LBB7_706
; %bb.705:
	global_load_dword v3, v[0:1], off
	s_waitcnt vmcnt(0)
	v_cvt_f64_i32_e32 v[4:5], v3
.LBB7_706:
	s_mov_b64 s[0:1], 0
.LBB7_707:
	s_andn2_b64 vcc, exec, s[0:1]
	s_cbranch_vccnz .LBB7_709
; %bb.708:
	global_load_sshort v3, v[0:1], off
	s_waitcnt vmcnt(0)
	v_cvt_f64_i32_e32 v[4:5], v3
.LBB7_709:
	s_mov_b64 s[0:1], 0
.LBB7_710:
	s_andn2_b64 vcc, exec, s[0:1]
	s_cbranch_vccnz .LBB7_716
; %bb.711:
	v_cmp_lt_i16_e32 vcc, 0, v8
	s_cbranch_vccz .LBB7_713
; %bb.712:
	global_load_sbyte v3, v[0:1], off
	s_mov_b64 s[0:1], 0
	s_waitcnt vmcnt(0)
	v_cvt_f64_i32_e32 v[4:5], v3
	s_branch .LBB7_714
.LBB7_713:
	s_mov_b64 s[0:1], -1
                                        ; implicit-def: $vgpr4_vgpr5
.LBB7_714:
	s_andn2_b64 vcc, exec, s[0:1]
	s_cbranch_vccnz .LBB7_716
; %bb.715:
	global_load_ubyte v0, v[0:1], off
	s_waitcnt vmcnt(0)
	v_cvt_f64_u32_e32 v[4:5], v0
.LBB7_716:
	s_mov_b64 s[0:1], -1
.LBB7_717:
	s_andn2_b64 vcc, exec, s[0:1]
	s_cbranch_vccnz .LBB7_737
; %bb.718:
	s_waitcnt vmcnt(0)
	v_trunc_f64_e32 v[0:1], v[4:5]
	s_movk_i32 s0, 0xffe0
	v_ldexp_f64 v[4:5], v[0:1], s0
	v_floor_f64_e32 v[6:7], v[4:5]
	v_fmac_f64_e32 v[0:1], 0xc1f00000, v[6:7]
	v_cvt_i32_f64_e32 v5, v[6:7]
	v_cvt_u32_f64_e32 v4, v[0:1]
	v_cmp_lt_i64_e32 vcc, -1, v[4:5]
	v_pk_mov_b32 v[0:1], 0, 0
	s_and_saveexec_b64 s[0:1], vcc
	s_cbranch_execz .LBB7_730
; %bb.719:
	v_mov_b32_e32 v0, 0
	v_cmp_lt_i64_e32 vcc, 0, v[4:5]
	v_mov_b32_e32 v1, 0x3ff00000
	s_and_saveexec_b64 s[8:9], vcc
	s_cbranch_execz .LBB7_729
; %bb.720:
	v_cmp_ne_u64_e32 vcc, 1, v[4:5]
                                        ; implicit-def: $vgpr0_vgpr1
	s_and_saveexec_b64 s[10:11], vcc
	s_xor_b64 s[10:11], exec, s[10:11]
	s_cbranch_execz .LBB7_726
; %bb.721:
	s_mov_b64 s[12:13], 0x201
	v_mov_b32_e32 v0, 0
	v_cmp_gt_u64_e32 vcc, s[12:13], v[4:5]
	v_mov_b32_e32 v1, 0x7ff80000
	s_and_saveexec_b64 s[12:13], vcc
	s_cbranch_execz .LBB7_725
; %bb.722:
	v_mov_b32_e32 v6, 0
	s_mov_b64 s[16:17], 1
	s_mov_b64 s[14:15], 0
	v_pk_mov_b32 v[0:1], s[44:45], s[44:45] op_sel:[0,1]
	v_mov_b32_e32 v7, 0x3ff00000
.LBB7_723:                              ; =>This Inner Loop Header: Depth=1
	v_cvt_f64_u32_e32 v[10:11], s17
	v_cvt_f64_u32_e32 v[12:13], s16
	s_add_u32 s16, s16, 1
	v_ldexp_f64 v[10:11], v[10:11], 32
	s_addc_u32 s17, s17, 0
	v_add_f64 v[10:11], v[10:11], v[12:13]
	v_cmp_eq_u64_e32 vcc, s[16:17], v[4:5]
	v_mul_f64 v[10:11], v[6:7], v[10:11]
	s_or_b64 s[14:15], vcc, s[14:15]
	v_pk_mov_b32 v[6:7], v[0:1], v[0:1] op_sel:[0,1]
	v_fma_f64 v[0:1], s[44:45], v[0:1], -v[10:11]
	s_andn2_b64 exec, exec, s[14:15]
	s_cbranch_execnz .LBB7_723
; %bb.724:
	s_or_b64 exec, exec, s[14:15]
.LBB7_725:
	s_or_b64 exec, exec, s[12:13]
.LBB7_726:
	s_andn2_saveexec_b64 s[10:11], s[10:11]
; %bb.727:
	v_pk_mov_b32 v[0:1], s[44:45], s[44:45] op_sel:[0,1]
; %bb.728:
	s_or_b64 exec, exec, s[10:11]
.LBB7_729:
	s_or_b64 exec, exec, s[8:9]
.LBB7_730:
	s_or_b64 exec, exec, s[0:1]
	v_mov_b32_e32 v3, s25
	v_add_co_u32_e32 v4, vcc, s24, v2
	v_mov_b32_e32 v2, 11
	v_addc_co_u32_e32 v5, vcc, 0, v3, vcc
	v_cmp_lt_i16_sdwa s[0:1], s77, v2 src0_sel:BYTE_0 src1_sel:DWORD
	s_and_b64 vcc, exec, s[0:1]
	s_cbranch_vccnz .LBB7_738
; %bb.731:
	v_mov_b32_e32 v2, 25
	v_cmp_gt_i16_sdwa s[0:1], s77, v2 src0_sel:BYTE_0 src1_sel:DWORD
	s_and_b64 vcc, exec, s[0:1]
	s_cbranch_vccz .LBB7_739
; %bb.732:
	v_mov_b32_e32 v2, 28
	v_cmp_gt_i16_sdwa s[0:1], s77, v2 src0_sel:BYTE_0 src1_sel:DWORD
	s_and_b64 vcc, exec, s[0:1]
	s_cbranch_vccz .LBB7_740
	;; [unrolled: 5-line block ×4, first 2 shown]
; %bb.735:
	v_mov_b32_e32 v2, 46
	v_cmp_eq_u16_sdwa s[8:9], s77, v2 src0_sel:BYTE_0 src1_sel:DWORD
	s_mov_b64 s[10:11], 0
	s_mov_b64 s[0:1], -1
	s_and_b64 vcc, exec, s[8:9]
	s_mov_b64 s[8:9], 0
	s_cbranch_vccz .LBB7_743
; %bb.736:
	v_cvt_f32_f64_e32 v2, v[0:1]
	v_bfe_u32 v3, v2, 16, 1
	s_movk_i32 s0, 0x7fff
	v_add3_u32 v3, v2, v3, s0
	v_lshrrev_b32_e32 v3, 16, v3
	v_mov_b32_e32 v6, 0x7fc0
	v_cmp_o_f32_e32 vcc, v2, v2
	v_cndmask_b32_e32 v2, v6, v3, vcc
	global_store_dword v[4:5], v2, off
	s_mov_b64 s[8:9], -1
	s_mov_b64 s[0:1], 0
	s_branch .LBB7_743
.LBB7_737:
	s_mov_b64 s[8:9], 0
	s_mov_b64 s[0:1], s[62:63]
	s_branch .LBB7_854
.LBB7_738:
	s_mov_b64 s[10:11], -1
	s_mov_b64 s[8:9], 0
	s_mov_b64 s[0:1], s[62:63]
	s_branch .LBB7_812
.LBB7_739:
	s_mov_b64 s[10:11], -1
	s_mov_b64 s[8:9], 0
	s_mov_b64 s[0:1], s[62:63]
	s_branch .LBB7_770
.LBB7_740:
	s_mov_b64 s[10:11], -1
	s_mov_b64 s[8:9], 0
	s_mov_b64 s[0:1], s[62:63]
	s_branch .LBB7_753
.LBB7_741:
	s_mov_b64 s[10:11], -1
	s_mov_b64 s[8:9], 0
	s_mov_b64 s[0:1], s[62:63]
	s_branch .LBB7_749
.LBB7_742:
	s_mov_b64 s[10:11], -1
	s_mov_b64 s[8:9], 0
	s_mov_b64 s[0:1], s[62:63]
.LBB7_743:
	s_and_b64 vcc, exec, s[10:11]
	s_cbranch_vccz .LBB7_748
; %bb.744:
	v_mov_b32_e32 v2, 44
	v_cmp_eq_u16_sdwa s[10:11], s77, v2 src0_sel:BYTE_0 src1_sel:DWORD
	s_mov_b64 s[0:1], -1
	s_and_b64 vcc, exec, s[10:11]
	s_cbranch_vccz .LBB7_748
; %bb.745:
	v_cvt_f32_f64_e32 v2, v[0:1]
	v_bfe_u32 v3, v2, 23, 8
	s_movk_i32 s0, 0xff
	v_cmp_ne_u32_e32 vcc, s0, v3
	v_mov_b32_e32 v6, 0xff
	s_and_saveexec_b64 s[8:9], vcc
; %bb.746:
	s_mov_b32 s0, 0x3fffff
	v_lshrrev_b32_e32 v6, 23, v2
	v_and_b32_e32 v7, 0x400000, v2
	v_and_or_b32 v2, v2, s0, v3
	v_cmp_ne_u32_e32 vcc, 0, v7
	v_cmp_ne_u32_e64 s[0:1], 0, v2
	s_and_b64 s[0:1], vcc, s[0:1]
	v_cndmask_b32_e64 v2, 0, 1, s[0:1]
	v_add_u32_e32 v6, v6, v2
; %bb.747:
	s_or_b64 exec, exec, s[8:9]
	s_mov_b64 s[8:9], -1
	s_mov_b64 s[0:1], 0
	global_store_byte v[4:5], v6, off
.LBB7_748:
	s_mov_b64 s[10:11], 0
.LBB7_749:
	s_and_b64 vcc, exec, s[10:11]
	s_cbranch_vccz .LBB7_752
; %bb.750:
	v_mov_b32_e32 v2, 29
	v_cmp_eq_u16_sdwa s[10:11], s77, v2 src0_sel:BYTE_0 src1_sel:DWORD
	s_mov_b64 s[0:1], -1
	s_and_b64 vcc, exec, s[10:11]
	s_cbranch_vccz .LBB7_752
; %bb.751:
	v_trunc_f64_e32 v[2:3], v[0:1]
	s_movk_i32 s0, 0xffe0
	v_ldexp_f64 v[6:7], v[2:3], s0
	v_floor_f64_e32 v[6:7], v[6:7]
	v_fmac_f64_e32 v[2:3], 0xc1f00000, v[6:7]
	v_cvt_u32_f64_e32 v11, v[6:7]
	v_cvt_u32_f64_e32 v10, v[2:3]
	global_store_dwordx2 v[4:5], v[10:11], off
	s_mov_b64 s[8:9], -1
	s_mov_b64 s[0:1], 0
.LBB7_752:
	s_mov_b64 s[10:11], 0
.LBB7_753:
	s_and_b64 vcc, exec, s[10:11]
	s_cbranch_vccz .LBB7_769
; %bb.754:
	v_mov_b32_e32 v2, 27
	v_cmp_lt_i16_sdwa s[10:11], s77, v2 src0_sel:BYTE_0 src1_sel:DWORD
	s_mov_b64 s[8:9], -1
	s_and_b64 vcc, exec, s[10:11]
	s_cbranch_vccnz .LBB7_760
; %bb.755:
	v_cmp_gt_i16_sdwa s[10:11], s77, v2 src0_sel:BYTE_0 src1_sel:DWORD
	s_and_b64 vcc, exec, s[10:11]
	v_cvt_u32_f64_e32 v2, v[0:1]
	s_cbranch_vccz .LBB7_757
; %bb.756:
	s_mov_b64 s[8:9], 0
	global_store_dword v[4:5], v2, off
.LBB7_757:
	s_andn2_b64 vcc, exec, s[8:9]
	s_cbranch_vccnz .LBB7_759
; %bb.758:
	global_store_short v[4:5], v2, off
.LBB7_759:
	s_mov_b64 s[8:9], 0
.LBB7_760:
	s_andn2_b64 vcc, exec, s[8:9]
	s_cbranch_vccnz .LBB7_768
; %bb.761:
	v_cvt_f32_f64_e32 v2, v[0:1]
	v_and_b32_e32 v3, 0x7fffffff, v2
	s_mov_b32 s8, 0x43800000
	v_cmp_gt_u32_e32 vcc, s8, v3
	v_mov_b32_e32 v6, 0x80
	s_and_saveexec_b64 s[8:9], vcc
	s_cbranch_execz .LBB7_767
; %bb.762:
	s_mov_b32 s10, 0x3bffffff
	v_cmp_lt_u32_e32 vcc, s10, v3
	s_mov_b64 s[10:11], 0
                                        ; implicit-def: $vgpr3
	s_and_saveexec_b64 s[12:13], vcc
	s_xor_b64 s[12:13], exec, s[12:13]
	s_cbranch_execz .LBB7_885
; %bb.763:
	v_bfe_u32 v3, v2, 20, 1
	s_mov_b32 s14, 0x487ffff
	v_add3_u32 v3, v2, v3, s14
	s_mov_b64 s[10:11], exec
	v_lshrrev_b32_e32 v3, 20, v3
	s_or_saveexec_b64 s[12:13], s[12:13]
                                        ; implicit-def: $sgpr14
	s_xor_b64 exec, exec, s[12:13]
	s_cbranch_execnz .LBB7_886
.LBB7_764:
	s_or_b64 exec, exec, s[12:13]
	v_mov_b32_e32 v6, s14
	s_and_saveexec_b64 s[12:13], s[10:11]
.LBB7_765:
	v_lshrrev_b32_e32 v2, 24, v2
	s_movk_i32 s10, 0x80
	v_and_or_b32 v6, v2, s10, v3
.LBB7_766:
	s_or_b64 exec, exec, s[12:13]
.LBB7_767:
	s_or_b64 exec, exec, s[8:9]
	global_store_byte v[4:5], v6, off
.LBB7_768:
	s_mov_b64 s[8:9], -1
.LBB7_769:
	s_mov_b64 s[10:11], 0
.LBB7_770:
	s_and_b64 vcc, exec, s[10:11]
	s_cbranch_vccz .LBB7_811
; %bb.771:
	v_mov_b32_e32 v2, 22
	v_cmp_gt_i16_sdwa s[12:13], s77, v2 src0_sel:BYTE_0 src1_sel:DWORD
	s_mov_b64 s[10:11], -1
	s_and_b64 vcc, exec, s[12:13]
	s_cbranch_vccz .LBB7_803
; %bb.772:
	v_mov_b32_e32 v2, 24
	v_cmp_lt_i16_sdwa s[10:11], s77, v2 src0_sel:BYTE_0 src1_sel:DWORD
	s_mov_b64 s[8:9], -1
	s_and_b64 vcc, exec, s[10:11]
	s_cbranch_vccnz .LBB7_792
; %bb.773:
	v_cmp_gt_i16_sdwa s[10:11], s77, v2 src0_sel:BYTE_0 src1_sel:DWORD
	s_and_b64 vcc, exec, s[10:11]
	s_cbranch_vccz .LBB7_781
; %bb.774:
	v_cvt_f32_f64_e32 v2, v[0:1]
	v_and_b32_e32 v3, 0x7fffffff, v2
	s_mov_b32 s8, 0x47800000
	v_cmp_gt_u32_e32 vcc, s8, v3
	v_mov_b32_e32 v6, 0x80
	s_and_saveexec_b64 s[8:9], vcc
	s_cbranch_execz .LBB7_780
; %bb.775:
	s_mov_b32 s10, 0x37ffffff
	v_cmp_lt_u32_e32 vcc, s10, v3
	s_mov_b64 s[10:11], 0
                                        ; implicit-def: $vgpr3
	s_and_saveexec_b64 s[12:13], vcc
	s_xor_b64 s[12:13], exec, s[12:13]
	s_cbranch_execz .LBB7_888
; %bb.776:
	v_bfe_u32 v3, v2, 21, 1
	s_mov_b32 s14, 0x88fffff
	v_add3_u32 v3, v2, v3, s14
	s_mov_b64 s[10:11], exec
	v_lshrrev_b32_e32 v3, 21, v3
	s_or_saveexec_b64 s[12:13], s[12:13]
                                        ; implicit-def: $sgpr14
	s_xor_b64 exec, exec, s[12:13]
	s_cbranch_execnz .LBB7_889
.LBB7_777:
	s_or_b64 exec, exec, s[12:13]
	v_mov_b32_e32 v6, s14
	s_and_saveexec_b64 s[12:13], s[10:11]
.LBB7_778:
	v_lshrrev_b32_e32 v2, 24, v2
	s_movk_i32 s10, 0x80
	v_and_or_b32 v6, v2, s10, v3
.LBB7_779:
	s_or_b64 exec, exec, s[12:13]
.LBB7_780:
	s_or_b64 exec, exec, s[8:9]
	s_mov_b64 s[8:9], 0
	global_store_byte v[4:5], v6, off
.LBB7_781:
	s_and_b64 vcc, exec, s[8:9]
	s_cbranch_vccz .LBB7_791
; %bb.782:
	v_cvt_f32_f64_e32 v2, v[0:1]
	v_and_b32_e32 v6, 0x7fffffff, v2
	s_mov_b32 s8, 0x43f00000
	v_cmp_gt_u32_e32 vcc, s8, v6
                                        ; implicit-def: $vgpr3
	s_and_saveexec_b64 s[8:9], vcc
	s_xor_b64 s[8:9], exec, s[8:9]
	s_cbranch_execz .LBB7_788
; %bb.783:
	s_mov_b32 s10, 0x3c7fffff
	v_cmp_lt_u32_e32 vcc, s10, v6
                                        ; implicit-def: $vgpr3
	s_and_saveexec_b64 s[10:11], vcc
	s_xor_b64 s[10:11], exec, s[10:11]
; %bb.784:
	v_bfe_u32 v3, v2, 20, 1
	s_mov_b32 s12, 0x407ffff
	v_add3_u32 v3, v2, v3, s12
	v_lshrrev_b32_e32 v6, 20, v3
	v_and_b32_e32 v3, 0xff00000, v3
	s_mov_b32 s12, 0x7f00000
	v_mov_b32_e32 v7, 0x7e
	v_cmp_ne_u32_e32 vcc, s12, v3
	v_cndmask_b32_e32 v3, v7, v6, vcc
; %bb.785:
	s_andn2_saveexec_b64 s[10:11], s[10:11]
; %bb.786:
	s_mov_b32 s12, 0x46800000
	v_add_f32_e64 v3, |v2|, s12
; %bb.787:
	s_or_b64 exec, exec, s[10:11]
                                        ; implicit-def: $vgpr6
.LBB7_788:
	s_andn2_saveexec_b64 s[8:9], s[8:9]
; %bb.789:
	s_mov_b32 s10, 0x7f800000
	v_mov_b32_e32 v3, 0x7e
	v_mov_b32_e32 v7, 0x7f
	v_cmp_lt_u32_e32 vcc, s10, v6
	v_cndmask_b32_e32 v3, v3, v7, vcc
; %bb.790:
	s_or_b64 exec, exec, s[8:9]
	v_lshrrev_b32_e32 v2, 24, v2
	s_movk_i32 s8, 0x80
	v_and_or_b32 v2, v2, s8, v3
	global_store_byte v[4:5], v2, off
.LBB7_791:
	s_mov_b64 s[8:9], 0
.LBB7_792:
	s_andn2_b64 vcc, exec, s[8:9]
	s_cbranch_vccnz .LBB7_802
; %bb.793:
	v_cvt_f32_f64_e32 v2, v[0:1]
	v_and_b32_e32 v6, 0x7fffffff, v2
	s_mov_b32 s8, 0x47800000
	v_cmp_gt_u32_e32 vcc, s8, v6
                                        ; implicit-def: $vgpr3
	s_and_saveexec_b64 s[8:9], vcc
	s_xor_b64 s[8:9], exec, s[8:9]
	s_cbranch_execz .LBB7_799
; %bb.794:
	s_mov_b32 s10, 0x387fffff
	v_cmp_lt_u32_e32 vcc, s10, v6
                                        ; implicit-def: $vgpr3
	s_and_saveexec_b64 s[10:11], vcc
	s_xor_b64 s[10:11], exec, s[10:11]
; %bb.795:
	v_bfe_u32 v3, v2, 21, 1
	s_mov_b32 s12, 0x80fffff
	v_add3_u32 v3, v2, v3, s12
	v_lshrrev_b32_e32 v3, 21, v3
; %bb.796:
	s_andn2_saveexec_b64 s[10:11], s[10:11]
; %bb.797:
	s_mov_b32 s12, 0x43000000
	v_add_f32_e64 v3, |v2|, s12
; %bb.798:
	s_or_b64 exec, exec, s[10:11]
                                        ; implicit-def: $vgpr6
.LBB7_799:
	s_andn2_saveexec_b64 s[8:9], s[8:9]
; %bb.800:
	s_mov_b32 s10, 0x7f800000
	v_mov_b32_e32 v3, 0x7c
	v_mov_b32_e32 v7, 0x7f
	v_cmp_lt_u32_e32 vcc, s10, v6
	v_cndmask_b32_e32 v3, v3, v7, vcc
; %bb.801:
	s_or_b64 exec, exec, s[8:9]
	v_lshrrev_b32_e32 v2, 24, v2
	s_movk_i32 s8, 0x80
	v_and_or_b32 v2, v2, s8, v3
	global_store_byte v[4:5], v2, off
.LBB7_802:
	s_mov_b64 s[10:11], 0
	s_mov_b64 s[8:9], -1
.LBB7_803:
	s_andn2_b64 vcc, exec, s[10:11]
	s_cbranch_vccnz .LBB7_811
; %bb.804:
	v_mov_b32_e32 v2, 14
	v_cmp_gt_i16_sdwa s[12:13], s77, v2 src0_sel:BYTE_0 src1_sel:DWORD
	s_mov_b64 s[10:11], -1
	s_and_b64 vcc, exec, s[12:13]
	s_cbranch_vccz .LBB7_808
; %bb.805:
	v_mov_b32_e32 v2, 15
	v_cmp_eq_u16_sdwa s[10:11], s77, v2 src0_sel:BYTE_0 src1_sel:DWORD
	s_mov_b64 s[0:1], -1
	s_and_b64 vcc, exec, s[10:11]
	s_cbranch_vccz .LBB7_807
; %bb.806:
	v_cvt_f32_f64_e32 v2, v[0:1]
	v_bfe_u32 v3, v2, 16, 1
	s_movk_i32 s0, 0x7fff
	v_add3_u32 v3, v2, v3, s0
	v_lshrrev_b32_e32 v3, 16, v3
	v_mov_b32_e32 v6, 0x7fc0
	v_cmp_o_f32_e32 vcc, v2, v2
	v_cndmask_b32_e32 v2, v6, v3, vcc
	global_store_short v[4:5], v2, off
	s_mov_b64 s[8:9], -1
	s_mov_b64 s[0:1], 0
.LBB7_807:
	s_mov_b64 s[10:11], 0
.LBB7_808:
	s_and_b64 vcc, exec, s[10:11]
	s_cbranch_vccz .LBB7_811
; %bb.809:
	v_mov_b32_e32 v2, 11
	v_cmp_eq_u16_sdwa s[10:11], s77, v2 src0_sel:BYTE_0 src1_sel:DWORD
	s_mov_b64 s[0:1], -1
	s_and_b64 vcc, exec, s[10:11]
	s_cbranch_vccz .LBB7_811
; %bb.810:
	v_cmp_neq_f64_e32 vcc, 0, v[0:1]
	s_mov_b64 s[0:1], 0
	v_cndmask_b32_e64 v2, 0, 1, vcc
	s_mov_b64 s[8:9], -1
	global_store_byte v[4:5], v2, off
.LBB7_811:
	s_mov_b64 s[10:11], 0
.LBB7_812:
	s_and_b64 vcc, exec, s[10:11]
	s_cbranch_vccz .LBB7_851
; %bb.813:
	v_mov_b32_e32 v2, 5
	v_cmp_lt_i16_sdwa s[10:11], s77, v2 src0_sel:BYTE_0 src1_sel:DWORD
	s_mov_b64 s[8:9], -1
	s_and_b64 vcc, exec, s[10:11]
	s_cbranch_vccnz .LBB7_834
; %bb.814:
	v_mov_b32_e32 v2, 8
	v_cmp_lt_i16_sdwa s[10:11], s77, v2 src0_sel:BYTE_0 src1_sel:DWORD
	s_and_b64 vcc, exec, s[10:11]
	s_cbranch_vccnz .LBB7_824
; %bb.815:
	v_mov_b32_e32 v2, 9
	v_cmp_lt_i16_sdwa s[10:11], s77, v2 src0_sel:BYTE_0 src1_sel:DWORD
	s_and_b64 vcc, exec, s[10:11]
	s_cbranch_vccnz .LBB7_821
; %bb.816:
	v_cmp_gt_i16_sdwa s[10:11], s77, v2 src0_sel:BYTE_0 src1_sel:DWORD
	s_and_b64 vcc, exec, s[10:11]
	s_cbranch_vccz .LBB7_818
; %bb.817:
	v_mov_b32_e32 v2, 0
	v_mov_b32_e32 v3, v2
	s_mov_b64 s[8:9], 0
	global_store_dwordx4 v[4:5], v[0:3], off
.LBB7_818:
	s_andn2_b64 vcc, exec, s[8:9]
	s_cbranch_vccnz .LBB7_820
; %bb.819:
	v_cvt_f32_f64_e32 v2, v[0:1]
	v_mov_b32_e32 v3, 0
	global_store_dwordx2 v[4:5], v[2:3], off
.LBB7_820:
	s_mov_b64 s[8:9], 0
.LBB7_821:
	s_andn2_b64 vcc, exec, s[8:9]
	s_cbranch_vccnz .LBB7_823
; %bb.822:
	v_cvt_f32_f64_e32 v2, v[0:1]
	v_cvt_f16_f32_e32 v2, v2
	global_store_dword v[4:5], v2, off
.LBB7_823:
	s_mov_b64 s[8:9], 0
.LBB7_824:
	s_andn2_b64 vcc, exec, s[8:9]
	s_cbranch_vccnz .LBB7_833
; %bb.825:
	v_mov_b32_e32 v2, 6
	v_cmp_lt_i16_sdwa s[10:11], s77, v2 src0_sel:BYTE_0 src1_sel:DWORD
	s_mov_b64 s[8:9], -1
	s_and_b64 vcc, exec, s[10:11]
	s_cbranch_vccnz .LBB7_831
; %bb.826:
	v_cmp_gt_i16_sdwa s[10:11], s77, v2 src0_sel:BYTE_0 src1_sel:DWORD
	s_and_b64 vcc, exec, s[10:11]
	s_cbranch_vccz .LBB7_828
; %bb.827:
	s_mov_b64 s[8:9], 0
	global_store_dwordx2 v[4:5], v[0:1], off
.LBB7_828:
	s_andn2_b64 vcc, exec, s[8:9]
	s_cbranch_vccnz .LBB7_830
; %bb.829:
	v_cvt_f32_f64_e32 v2, v[0:1]
	global_store_dword v[4:5], v2, off
.LBB7_830:
	s_mov_b64 s[8:9], 0
.LBB7_831:
	s_andn2_b64 vcc, exec, s[8:9]
	s_cbranch_vccnz .LBB7_833
; %bb.832:
	v_cvt_f32_f64_e32 v2, v[0:1]
	v_cvt_f16_f32_e32 v2, v2
	global_store_short v[4:5], v2, off
.LBB7_833:
	s_mov_b64 s[8:9], 0
.LBB7_834:
	s_andn2_b64 vcc, exec, s[8:9]
	s_cbranch_vccnz .LBB7_850
; %bb.835:
	v_mov_b32_e32 v2, 2
	v_cmp_lt_i16_sdwa s[10:11], s77, v2 src0_sel:BYTE_0 src1_sel:DWORD
	s_mov_b64 s[8:9], -1
	s_and_b64 vcc, exec, s[10:11]
	s_cbranch_vccnz .LBB7_845
; %bb.836:
	v_mov_b32_e32 v2, 3
	v_cmp_lt_i16_sdwa s[10:11], s77, v2 src0_sel:BYTE_0 src1_sel:DWORD
	s_and_b64 vcc, exec, s[10:11]
	s_cbranch_vccnz .LBB7_842
; %bb.837:
	v_cmp_gt_i16_sdwa s[10:11], s77, v2 src0_sel:BYTE_0 src1_sel:DWORD
	s_and_b64 vcc, exec, s[10:11]
	s_cbranch_vccz .LBB7_839
; %bb.838:
	v_trunc_f64_e32 v[2:3], v[0:1]
	s_movk_i32 s8, 0xffe0
	v_ldexp_f64 v[6:7], v[2:3], s8
	v_floor_f64_e32 v[6:7], v[6:7]
	v_fmac_f64_e32 v[2:3], 0xc1f00000, v[6:7]
	v_cvt_i32_f64_e32 v11, v[6:7]
	v_cvt_u32_f64_e32 v10, v[2:3]
	s_mov_b64 s[8:9], 0
	global_store_dwordx2 v[4:5], v[10:11], off
.LBB7_839:
	s_andn2_b64 vcc, exec, s[8:9]
	s_cbranch_vccnz .LBB7_841
; %bb.840:
	v_cvt_i32_f64_e32 v2, v[0:1]
	global_store_dword v[4:5], v2, off
.LBB7_841:
	s_mov_b64 s[8:9], 0
.LBB7_842:
	s_andn2_b64 vcc, exec, s[8:9]
	s_cbranch_vccnz .LBB7_844
; %bb.843:
	v_cvt_i32_f64_e32 v2, v[0:1]
	global_store_short v[4:5], v2, off
.LBB7_844:
	s_mov_b64 s[8:9], 0
.LBB7_845:
	s_andn2_b64 vcc, exec, s[8:9]
	s_cbranch_vccnz .LBB7_850
; %bb.846:
	v_mov_b32_e32 v2, 0
	v_cmp_gt_i16_sdwa s[10:11], s77, v2 src0_sel:BYTE_0 src1_sel:DWORD
	s_mov_b64 s[8:9], -1
	s_and_b64 vcc, exec, s[10:11]
	s_cbranch_vccz .LBB7_848
; %bb.847:
	v_cvt_i32_f64_e32 v2, v[0:1]
	s_mov_b64 s[8:9], 0
	global_store_byte v[4:5], v2, off
.LBB7_848:
	s_andn2_b64 vcc, exec, s[8:9]
	s_cbranch_vccnz .LBB7_850
; %bb.849:
	v_trunc_f64_e32 v[0:1], v[0:1]
	s_movk_i32 s8, 0xffe0
	v_ldexp_f64 v[2:3], v[0:1], s8
	v_floor_f64_e32 v[2:3], v[2:3]
	v_fmac_f64_e32 v[0:1], 0xc1f00000, v[2:3]
	v_cvt_u32_f64_e32 v0, v[0:1]
	global_store_byte v[4:5], v0, off
.LBB7_850:
	s_mov_b64 s[8:9], -1
.LBB7_851:
	s_andn2_b64 vcc, exec, s[8:9]
	s_cbranch_vccnz .LBB7_853
; %bb.852:
	v_add_u32_e32 v9, 0x80, v9
	s_mov_b64 s[8:9], -1
	s_branch .LBB7_855
.LBB7_853:
	s_mov_b64 s[8:9], 0
.LBB7_854:
                                        ; implicit-def: $vgpr9
.LBB7_855:
	s_andn2_b64 s[10:11], s[62:63], exec
	s_and_b64 s[0:1], s[0:1], exec
	s_or_b64 s[70:71], s[10:11], s[0:1]
	s_andn2_b64 s[0:1], s[60:61], exec
	s_and_b64 s[2:3], s[2:3], exec
	s_or_b64 s[68:69], s[0:1], s[2:3]
	s_orn2_b64 s[2:3], s[8:9], exec
.LBB7_856:
	s_or_b64 exec, exec, s[66:67]
	s_mov_b64 s[0:1], 0
	s_mov_b64 s[8:9], 0
	;; [unrolled: 1-line block ×3, first 2 shown]
                                        ; implicit-def: $vgpr0_vgpr1
                                        ; implicit-def: $vgpr2
                                        ; implicit-def: $vgpr6_vgpr7
	s_and_saveexec_b64 s[66:67], s[2:3]
	s_cbranch_execz .LBB7_956
; %bb.857:
	v_cmp_gt_i32_e32 vcc, s74, v9
	s_mov_b64 s[2:3], 0
	s_mov_b64 s[12:13], s[68:69]
                                        ; implicit-def: $vgpr0_vgpr1
                                        ; implicit-def: $vgpr2
                                        ; implicit-def: $vgpr6_vgpr7
	s_and_saveexec_b64 s[72:73], vcc
	s_cbranch_execz .LBB7_955
; %bb.858:
	s_andn2_b64 vcc, exec, s[40:41]
	s_cbranch_vccnz .LBB7_864
; %bb.859:
	s_mov_b32 s74, 0
	s_andn2_b64 vcc, exec, s[52:53]
	v_mov_b32_e32 v0, 0
	v_mov_b32_e32 v2, 0
	s_cbranch_vccnz .LBB7_870
; %bb.860:
	s_add_i32 s78, s75, 1
	s_cmp_eq_u32 s76, 2
	s_cbranch_scc1 .LBB7_865
; %bb.861:
	s_and_b32 s74, s78, 28
	s_mov_b32 s75, 0
	v_mov_b32_e32 v2, 0
	s_mov_b64 s[52:53], s[34:35]
	v_mov_b32_e32 v1, v9
	v_mov_b32_e32 v0, 0
.LBB7_862:                              ; =>This Inner Loop Header: Depth=1
	s_load_dwordx8 s[16:23], s[52:53], 0x4
	s_load_dwordx4 s[0:3], s[52:53], 0x24
	s_load_dwordx8 s[8:15], s[50:51], 0x0
	s_add_u32 s52, s52, 48
	s_addc_u32 s53, s53, 0
	s_waitcnt lgkmcnt(0)
	v_mul_hi_u32 v3, s17, v1
	v_add_u32_e32 v3, v1, v3
	v_lshrrev_b32_e32 v3, s18, v3
	s_waitcnt vmcnt(0)
	v_mul_lo_u32 v4, v3, s16
	v_mul_hi_u32 v5, s20, v3
	v_sub_u32_e32 v1, v1, v4
	v_add_u32_e32 v4, v3, v5
	v_lshrrev_b32_e32 v4, s21, v4
	v_mul_lo_u32 v6, v4, s19
	v_mul_hi_u32 v7, s23, v4
	v_sub_u32_e32 v3, v3, v6
	v_add_u32_e32 v6, v4, v7
	v_mul_lo_u32 v5, v1, s9
	v_mul_lo_u32 v1, v1, s8
	;; [unrolled: 1-line block ×4, first 2 shown]
	v_lshrrev_b32_e32 v6, s0, v6
	v_add3_u32 v2, v1, v2, v3
	v_mul_lo_u32 v1, v6, s22
	v_mul_hi_u32 v3, s2, v6
	v_sub_u32_e32 v1, v4, v1
	v_add_u32_e32 v3, v6, v3
	v_add3_u32 v0, v5, v0, v7
	v_mul_lo_u32 v4, v1, s12
	v_mul_lo_u32 v5, v1, s13
	v_lshrrev_b32_e32 v1, s3, v3
	s_add_i32 s75, s75, 4
	v_mul_lo_u32 v3, v1, s1
	s_add_u32 s50, s50, 32
	v_sub_u32_e32 v3, v6, v3
	s_addc_u32 s51, s51, 0
	v_mul_lo_u32 v6, v3, s14
	v_mul_lo_u32 v3, v3, s15
	s_cmp_eq_u32 s74, s75
	v_add3_u32 v0, v5, v0, v3
	v_add3_u32 v2, v4, v2, v6
	s_cbranch_scc0 .LBB7_862
; %bb.863:
	v_mov_b32_e32 v3, v0
	s_branch .LBB7_866
.LBB7_864:
	s_mov_b64 s[0:1], -1
                                        ; implicit-def: $vgpr0
                                        ; implicit-def: $vgpr2
	s_branch .LBB7_871
.LBB7_865:
	s_mov_b32 s75, s74
	v_pk_mov_b32 v[2:3], s[74:75], s[74:75] op_sel:[0,1]
                                        ; implicit-def: $vgpr0
	v_mov_b32_e32 v1, v9
.LBB7_866:
	s_and_b32 s8, s78, 3
	s_cmp_eq_u32 s8, 0
	s_cbranch_scc1 .LBB7_870
; %bb.867:
	s_lshl_b32 s0, s74, 3
	s_add_u32 s0, s0, s34
	s_addc_u32 s1, s35, 0
	s_add_u32 s0, s0, 0xc4
	s_addc_u32 s1, s1, 0
	s_mul_i32 s2, s74, 12
	s_add_u32 s2, s34, s2
	s_addc_u32 s3, s35, 0
.LBB7_868:                              ; =>This Inner Loop Header: Depth=1
	s_load_dwordx2 s[10:11], s[2:3], 0x4
	s_load_dword s9, s[2:3], 0xc
	s_load_dwordx2 s[12:13], s[0:1], 0x0
	v_mov_b32_e32 v0, v3
	s_add_u32 s2, s2, 12
	s_waitcnt lgkmcnt(0)
	v_mul_hi_u32 v3, s11, v1
	v_add_u32_e32 v3, v1, v3
	v_lshrrev_b32_e32 v3, s9, v3
	s_addc_u32 s3, s3, 0
	s_waitcnt vmcnt(0)
	v_mul_lo_u32 v4, v3, s10
	s_add_u32 s0, s0, 8
	v_sub_u32_e32 v6, v1, v4
	v_mov_b32_e32 v1, v3
	s_addc_u32 s1, s1, 0
	s_add_i32 s8, s8, -1
	v_mad_u64_u32 v[4:5], s[10:11], v6, s13, v[0:1]
	v_mad_u64_u32 v[2:3], s[10:11], v6, s12, v[2:3]
	s_cmp_lg_u32 s8, 0
	v_mov_b32_e32 v3, v4
	s_cbranch_scc1 .LBB7_868
; %bb.869:
	v_mov_b32_e32 v0, v3
.LBB7_870:
	s_mov_b64 s[0:1], 0
.LBB7_871:
	s_andn2_b64 vcc, exec, s[0:1]
	s_cbranch_vccnz .LBB7_874
; %bb.872:
	v_mul_hi_u32 v0, s29, v9
	v_add_u32_e32 v0, v9, v0
	v_lshrrev_b32_e32 v1, s30, v0
	v_mul_lo_u32 v0, v1, s28
	v_sub_u32_e32 v2, v9, v0
	v_mul_lo_u32 v0, v2, s37
	s_andn2_b64 vcc, exec, s[48:49]
	v_mul_lo_u32 v2, v2, s36
	s_cbranch_vccnz .LBB7_874
; %bb.873:
	v_mul_hi_u32 v3, s46, v1
	v_add_u32_e32 v3, v1, v3
	v_lshrrev_b32_e32 v3, s47, v3
	v_mul_lo_u32 v3, v3, s31
	v_sub_u32_e32 v1, v1, v3
	v_mad_u64_u32 v[2:3], s[0:1], v1, s38, v[2:3]
	v_mad_u64_u32 v[0:1], s[0:1], v1, s39, v[0:1]
.LBB7_874:
	v_mov_b32_e32 v1, s27
	v_add_co_u32_e32 v0, vcc, s26, v0
	v_addc_co_u32_e32 v1, vcc, 0, v1, vcc
	v_cmp_gt_i16_e32 vcc, 11, v8
	s_cbranch_vccnz .LBB7_881
; %bb.875:
	v_cmp_lt_i16_e32 vcc, 25, v8
	s_mov_b64 s[2:3], 0
	s_cbranch_vccz .LBB7_882
; %bb.876:
	v_cmp_lt_i16_e32 vcc, 28, v8
	s_cbranch_vccz .LBB7_883
; %bb.877:
	v_cmp_lt_i16_e32 vcc, 43, v8
	;; [unrolled: 3-line block ×3, first 2 shown]
	s_cbranch_vccz .LBB7_887
; %bb.879:
	v_cmp_eq_u16_e32 vcc, 46, v8
	s_mov_b64 s[10:11], 0
	s_cbranch_vccz .LBB7_890
; %bb.880:
	global_load_dword v3, v[0:1], off
	s_mov_b64 s[0:1], 0
	s_mov_b64 s[8:9], -1
	s_waitcnt vmcnt(0)
	v_lshlrev_b32_e32 v3, 16, v3
	v_cvt_f64_f32_e32 v[6:7], v3
	s_branch .LBB7_891
.LBB7_881:
	s_mov_b64 s[12:13], -1
	s_mov_b64 s[8:9], 0
	s_mov_b64 s[2:3], 0
	;; [unrolled: 1-line block ×3, first 2 shown]
                                        ; implicit-def: $vgpr6_vgpr7
	s_branch .LBB7_954
.LBB7_882:
	s_mov_b64 s[10:11], -1
	s_mov_b64 s[8:9], 0
	s_mov_b64 s[0:1], s[68:69]
                                        ; implicit-def: $vgpr6_vgpr7
	s_branch .LBB7_920
.LBB7_883:
	s_mov_b64 s[10:11], -1
	s_mov_b64 s[8:9], 0
	s_mov_b64 s[0:1], s[68:69]
                                        ; implicit-def: $vgpr6_vgpr7
	s_branch .LBB7_901
.LBB7_884:
	s_mov_b64 s[10:11], -1
	s_mov_b64 s[8:9], 0
	s_mov_b64 s[0:1], s[68:69]
                                        ; implicit-def: $vgpr6_vgpr7
	s_branch .LBB7_896
.LBB7_885:
	s_or_saveexec_b64 s[12:13], s[12:13]
                                        ; implicit-def: $sgpr14
	s_xor_b64 exec, exec, s[12:13]
	s_cbranch_execz .LBB7_764
.LBB7_886:
	s_mov_b32 s14, 0x46000000
	v_add_f32_e64 v3, |v2|, s14
	v_and_b32_e32 v3, 0xff, v3
	v_cmp_ne_u32_e32 vcc, 0, v3
	s_andn2_b64 s[10:11], s[10:11], exec
	s_and_b64 s[16:17], vcc, exec
	s_mov_b32 s14, 0
	s_or_b64 s[10:11], s[10:11], s[16:17]
	s_or_b64 exec, exec, s[12:13]
	v_mov_b32_e32 v6, s14
	s_and_saveexec_b64 s[12:13], s[10:11]
	s_cbranch_execnz .LBB7_765
	s_branch .LBB7_766
.LBB7_887:
	s_mov_b64 s[10:11], -1
	s_mov_b64 s[8:9], 0
	s_mov_b64 s[0:1], s[68:69]
                                        ; implicit-def: $vgpr6_vgpr7
	s_branch .LBB7_891
.LBB7_888:
	s_or_saveexec_b64 s[12:13], s[12:13]
                                        ; implicit-def: $sgpr14
	s_xor_b64 exec, exec, s[12:13]
	s_cbranch_execz .LBB7_777
.LBB7_889:
	s_mov_b32 s14, 0x42800000
	v_add_f32_e64 v3, |v2|, s14
	v_and_b32_e32 v3, 0xff, v3
	v_cmp_ne_u32_e32 vcc, 0, v3
	s_andn2_b64 s[10:11], s[10:11], exec
	s_and_b64 s[16:17], vcc, exec
	s_mov_b32 s14, 0
	s_or_b64 s[10:11], s[10:11], s[16:17]
	s_or_b64 exec, exec, s[12:13]
	v_mov_b32_e32 v6, s14
	s_and_saveexec_b64 s[12:13], s[10:11]
	s_cbranch_execnz .LBB7_778
	s_branch .LBB7_779
.LBB7_890:
	s_mov_b64 s[0:1], -1
                                        ; implicit-def: $vgpr6_vgpr7
	s_mov_b64 s[8:9], 0
.LBB7_891:
	s_and_b64 vcc, exec, s[10:11]
	s_cbranch_vccz .LBB7_895
; %bb.892:
	v_cmp_eq_u16_e32 vcc, 44, v8
	s_cbranch_vccz .LBB7_894
; %bb.893:
	global_load_ubyte v3, v[0:1], off
	s_movk_i32 s8, 0xff
	v_bfrev_b32_e32 v6, 4
	v_mov_b32_e32 v7, 0x7ff80000
	v_bfrev_b32_e32 v9, 28
	s_mov_b64 s[0:1], 0
	s_waitcnt vmcnt(0)
	v_lshlrev_b32_e32 v4, 23, v3
	v_cvt_f64_f32_e32 v[4:5], v4
	v_cmp_ne_u32_e32 vcc, s8, v3
	v_cndmask_b32_e32 v4, v6, v4, vcc
	v_cndmask_b32_e32 v5, v7, v5, vcc
	v_cmp_ne_u32_e32 vcc, 0, v3
	v_cndmask_b32_e32 v7, v9, v5, vcc
	v_cndmask_b32_e32 v6, 0, v4, vcc
	s_mov_b64 s[8:9], -1
	s_branch .LBB7_895
.LBB7_894:
	s_mov_b64 s[0:1], -1
                                        ; implicit-def: $vgpr6_vgpr7
.LBB7_895:
	s_mov_b64 s[10:11], 0
.LBB7_896:
	s_and_b64 vcc, exec, s[10:11]
	s_cbranch_vccz .LBB7_900
; %bb.897:
	v_cmp_eq_u16_e32 vcc, 29, v8
	s_cbranch_vccz .LBB7_899
; %bb.898:
	global_load_dwordx2 v[4:5], v[0:1], off
	s_mov_b64 s[0:1], 0
	s_mov_b64 s[8:9], -1
	s_mov_b64 s[10:11], 0
	s_waitcnt vmcnt(0)
	v_cvt_f64_u32_e32 v[6:7], v5
	v_cvt_f64_u32_e32 v[4:5], v4
	v_ldexp_f64 v[6:7], v[6:7], 32
	v_add_f64 v[6:7], v[6:7], v[4:5]
	s_branch .LBB7_901
.LBB7_899:
	s_mov_b64 s[0:1], -1
                                        ; implicit-def: $vgpr6_vgpr7
.LBB7_900:
	s_mov_b64 s[10:11], 0
.LBB7_901:
	s_and_b64 vcc, exec, s[10:11]
	s_cbranch_vccz .LBB7_919
; %bb.902:
	v_cmp_gt_i16_e32 vcc, 27, v8
	s_cbranch_vccnz .LBB7_905
; %bb.903:
	v_cmp_lt_i16_e32 vcc, 27, v8
	s_cbranch_vccz .LBB7_906
; %bb.904:
	global_load_dword v3, v[0:1], off
	s_mov_b64 s[8:9], 0
	s_waitcnt vmcnt(0)
	v_cvt_f64_u32_e32 v[6:7], v3
	s_branch .LBB7_907
.LBB7_905:
	s_mov_b64 s[8:9], -1
                                        ; implicit-def: $vgpr6_vgpr7
	s_branch .LBB7_910
.LBB7_906:
	s_mov_b64 s[8:9], -1
                                        ; implicit-def: $vgpr6_vgpr7
.LBB7_907:
	s_andn2_b64 vcc, exec, s[8:9]
	s_cbranch_vccnz .LBB7_909
; %bb.908:
	global_load_ushort v3, v[0:1], off
	s_waitcnt vmcnt(0)
	v_cvt_f64_u32_e32 v[6:7], v3
.LBB7_909:
	s_mov_b64 s[8:9], 0
.LBB7_910:
	s_andn2_b64 vcc, exec, s[8:9]
	s_cbranch_vccnz .LBB7_918
; %bb.911:
	global_load_ubyte v3, v[0:1], off
	s_movk_i32 s8, 0x7f
                                        ; implicit-def: $sgpr10_sgpr11
	s_waitcnt vmcnt(0)
	v_cmp_lt_i16_e32 vcc, s8, v3
	s_mov_b64 s[8:9], 0
	s_and_saveexec_b64 s[12:13], vcc
	s_xor_b64 s[12:13], exec, s[12:13]
	s_cbranch_execz .LBB7_932
; %bb.912:
	s_movk_i32 s8, 0x80
	v_cmp_eq_u16_e32 vcc, s8, v3
	s_mov_b64 s[14:15], -1
                                        ; implicit-def: $sgpr10_sgpr11
	s_and_saveexec_b64 s[8:9], vcc
; %bb.913:
	s_mov_b32 s11, 0x7ff80000
	s_brev_b32 s10, 4
	s_xor_b64 s[14:15], exec, -1
; %bb.914:
	s_or_b64 exec, exec, s[8:9]
	s_and_b64 s[8:9], s[14:15], exec
	s_or_saveexec_b64 s[12:13], s[12:13]
	v_pk_mov_b32 v[6:7], s[10:11], s[10:11] op_sel:[0,1]
	s_xor_b64 exec, exec, s[12:13]
	s_cbranch_execnz .LBB7_933
.LBB7_915:
	s_or_b64 exec, exec, s[12:13]
	s_and_saveexec_b64 s[10:11], s[8:9]
	s_cbranch_execz .LBB7_917
.LBB7_916:
	v_lshlrev_b32_e32 v4, 24, v3
	v_and_b32_e32 v3, 0xffff, v3
	v_and_b32_e32 v5, 7, v3
	v_ffbh_u32_e32 v7, v5
	v_min_u32_e32 v7, 32, v7
	v_subrev_u32_e32 v9, 28, v7
	v_bfe_u32 v6, v3, 3, 4
	v_lshlrev_b32_e32 v3, v9, v3
	v_sub_u32_e32 v7, 29, v7
	v_and_b32_e32 v3, 7, v3
	v_cmp_eq_u32_e32 vcc, 0, v6
	v_cndmask_b32_e32 v6, v6, v7, vcc
	v_cndmask_b32_e32 v3, v5, v3, vcc
	v_mov_b32_e32 v5, 0x3b800000
	v_lshlrev_b32_e32 v3, 20, v3
	v_and_b32_e32 v4, 0x80000000, v4
	v_lshl_add_u32 v5, v6, 23, v5
	v_or3_b32 v3, v4, v5, v3
	v_cvt_f64_f32_e32 v[6:7], v3
.LBB7_917:
	s_or_b64 exec, exec, s[10:11]
.LBB7_918:
	s_mov_b64 s[8:9], -1
.LBB7_919:
	s_mov_b64 s[10:11], 0
.LBB7_920:
	s_and_b64 vcc, exec, s[10:11]
	s_cbranch_vccz .LBB7_953
; %bb.921:
	v_cmp_lt_i16_e32 vcc, 22, v8
	s_cbranch_vccz .LBB7_931
; %bb.922:
	v_cmp_gt_i16_e32 vcc, 24, v8
	s_cbranch_vccnz .LBB7_934
; %bb.923:
	v_cmp_lt_i16_e32 vcc, 24, v8
	s_cbranch_vccz .LBB7_935
; %bb.924:
	global_load_ubyte v3, v[0:1], off
	s_movk_i32 s2, 0x7f
                                        ; implicit-def: $sgpr8_sgpr9
	s_waitcnt vmcnt(0)
	v_cmp_lt_i16_e32 vcc, s2, v3
	s_mov_b64 s[2:3], 0
	s_and_saveexec_b64 s[10:11], vcc
	s_xor_b64 s[10:11], exec, s[10:11]
	s_cbranch_execz .LBB7_947
; %bb.925:
	s_movk_i32 s2, 0x80
	v_cmp_eq_u16_e32 vcc, s2, v3
	s_mov_b64 s[12:13], -1
                                        ; implicit-def: $sgpr8_sgpr9
	s_and_saveexec_b64 s[2:3], vcc
; %bb.926:
	s_mov_b32 s9, 0x7ff80000
	s_brev_b32 s8, 4
	s_xor_b64 s[12:13], exec, -1
; %bb.927:
	s_or_b64 exec, exec, s[2:3]
	s_and_b64 s[2:3], s[12:13], exec
	s_or_saveexec_b64 s[10:11], s[10:11]
	v_pk_mov_b32 v[6:7], s[8:9], s[8:9] op_sel:[0,1]
	s_xor_b64 exec, exec, s[10:11]
	s_cbranch_execnz .LBB7_948
.LBB7_928:
	s_or_b64 exec, exec, s[10:11]
	s_and_saveexec_b64 s[8:9], s[2:3]
	s_cbranch_execz .LBB7_930
.LBB7_929:
	v_lshlrev_b32_e32 v4, 24, v3
	v_and_b32_e32 v3, 0xffff, v3
	v_and_b32_e32 v5, 3, v3
	v_ffbh_u32_e32 v7, v5
	v_min_u32_e32 v7, 32, v7
	v_subrev_u32_e32 v9, 29, v7
	v_bfe_u32 v6, v3, 2, 5
	v_lshlrev_b32_e32 v3, v9, v3
	v_sub_u32_e32 v7, 30, v7
	v_and_b32_e32 v3, 3, v3
	v_cmp_eq_u32_e32 vcc, 0, v6
	v_cndmask_b32_e32 v6, v6, v7, vcc
	v_cndmask_b32_e32 v3, v5, v3, vcc
	v_mov_b32_e32 v5, 0x37800000
	v_lshlrev_b32_e32 v3, 21, v3
	v_and_b32_e32 v4, 0x80000000, v4
	v_lshl_add_u32 v5, v6, 23, v5
	v_or3_b32 v3, v4, v5, v3
	v_cvt_f64_f32_e32 v[6:7], v3
.LBB7_930:
	s_or_b64 exec, exec, s[8:9]
	s_mov_b64 s[2:3], 0
	s_branch .LBB7_936
.LBB7_931:
	s_mov_b64 s[2:3], -1
                                        ; implicit-def: $vgpr6_vgpr7
	s_branch .LBB7_942
.LBB7_932:
	s_or_saveexec_b64 s[12:13], s[12:13]
	v_pk_mov_b32 v[6:7], s[10:11], s[10:11] op_sel:[0,1]
	s_xor_b64 exec, exec, s[12:13]
	s_cbranch_execz .LBB7_915
.LBB7_933:
	v_cmp_ne_u16_e32 vcc, 0, v3
	s_andn2_b64 s[8:9], s[8:9], exec
	s_and_b64 s[10:11], vcc, exec
	v_pk_mov_b32 v[6:7], 0, 0
	s_or_b64 s[8:9], s[8:9], s[10:11]
	s_or_b64 exec, exec, s[12:13]
	s_and_saveexec_b64 s[10:11], s[8:9]
	s_cbranch_execnz .LBB7_916
	s_branch .LBB7_917
.LBB7_934:
	s_mov_b64 s[2:3], -1
                                        ; implicit-def: $vgpr6_vgpr7
	s_branch .LBB7_939
.LBB7_935:
	s_mov_b64 s[2:3], -1
                                        ; implicit-def: $vgpr6_vgpr7
.LBB7_936:
	s_and_b64 vcc, exec, s[2:3]
	s_cbranch_vccz .LBB7_938
; %bb.937:
	global_load_ubyte v3, v[0:1], off
	s_mov_b32 s2, 0x7f800000
	s_waitcnt vmcnt(0)
	v_lshlrev_b32_e32 v3, 24, v3
	v_and_b32_e32 v4, 0x7f000000, v3
	v_ffbh_u32_e32 v5, v4
	v_min_u32_e32 v5, 32, v5
	v_sub_u32_e64 v5, v5, 4 clamp
	v_lshlrev_b32_e32 v7, v5, v4
	v_lshlrev_b32_e32 v5, 23, v5
	v_lshrrev_b32_e32 v7, 4, v7
	v_add_u32_e32 v6, 0x1000000, v4
	v_sub_u32_e32 v5, v7, v5
	v_ashrrev_i32_e32 v6, 8, v6
	v_add_u32_e32 v5, 0x3c000000, v5
	v_and_or_b32 v5, v6, s2, v5
	v_cmp_ne_u32_e32 vcc, 0, v4
	v_cndmask_b32_e32 v4, 0, v5, vcc
	s_brev_b32 s2, 1
	v_and_or_b32 v3, v3, s2, v4
	v_cvt_f64_f32_e32 v[6:7], v3
.LBB7_938:
	s_mov_b64 s[2:3], 0
.LBB7_939:
	s_andn2_b64 vcc, exec, s[2:3]
	s_cbranch_vccnz .LBB7_941
; %bb.940:
	global_load_ubyte v3, v[0:1], off
	s_movk_i32 s2, 0x7f00
	s_brev_b32 s3, 16
	s_waitcnt vmcnt(0)
	v_lshlrev_b16_e32 v4, 8, v3
	v_lshlrev_b32_e32 v3, 25, v3
	v_lshrrev_b32_e32 v5, 4, v3
	v_and_or_b32 v6, v4, s2, 0.5
	v_or_b32_e32 v5, 0x70000000, v5
	v_add_f32_e32 v6, -0.5, v6
	v_mul_f32_e32 v5, 0x7800000, v5
	v_cmp_gt_u32_e32 vcc, s3, v3
	v_bfe_i32 v4, v4, 0, 16
	v_cndmask_b32_e32 v3, v5, v6, vcc
	s_brev_b32 s2, 1
	v_and_or_b32 v3, v4, s2, v3
	v_cvt_f64_f32_e32 v[6:7], v3
.LBB7_941:
	s_mov_b64 s[2:3], 0
	s_mov_b64 s[8:9], -1
.LBB7_942:
	s_andn2_b64 vcc, exec, s[2:3]
	s_mov_b64 s[2:3], 0
	s_cbranch_vccnz .LBB7_953
; %bb.943:
	v_cmp_lt_i16_e32 vcc, 14, v8
	s_cbranch_vccz .LBB7_946
; %bb.944:
	v_cmp_eq_u16_e32 vcc, 15, v8
	s_cbranch_vccz .LBB7_949
; %bb.945:
	global_load_ushort v3, v[0:1], off
	s_mov_b64 s[0:1], 0
	s_mov_b64 s[8:9], -1
	s_waitcnt vmcnt(0)
	v_lshlrev_b32_e32 v3, 16, v3
	v_cvt_f64_f32_e32 v[6:7], v3
	s_branch .LBB7_950
.LBB7_946:
	s_mov_b64 s[10:11], -1
                                        ; implicit-def: $vgpr6_vgpr7
	s_branch .LBB7_951
.LBB7_947:
	s_or_saveexec_b64 s[10:11], s[10:11]
	v_pk_mov_b32 v[6:7], s[8:9], s[8:9] op_sel:[0,1]
	s_xor_b64 exec, exec, s[10:11]
	s_cbranch_execz .LBB7_928
.LBB7_948:
	v_cmp_ne_u16_e32 vcc, 0, v3
	s_andn2_b64 s[2:3], s[2:3], exec
	s_and_b64 s[8:9], vcc, exec
	v_pk_mov_b32 v[6:7], 0, 0
	s_or_b64 s[2:3], s[2:3], s[8:9]
	s_or_b64 exec, exec, s[10:11]
	s_and_saveexec_b64 s[8:9], s[2:3]
	s_cbranch_execnz .LBB7_929
	s_branch .LBB7_930
.LBB7_949:
	s_mov_b64 s[0:1], -1
                                        ; implicit-def: $vgpr6_vgpr7
.LBB7_950:
	s_mov_b64 s[10:11], 0
.LBB7_951:
	s_and_b64 vcc, exec, s[10:11]
	s_cbranch_vccz .LBB7_953
; %bb.952:
	v_cmp_ne_u16_e32 vcc, 11, v8
	s_andn2_b64 s[0:1], s[0:1], exec
	s_and_b64 s[10:11], vcc, exec
	s_mov_b64 s[2:3], -1
	s_or_b64 s[0:1], s[0:1], s[10:11]
                                        ; implicit-def: $vgpr6_vgpr7
.LBB7_953:
	s_mov_b64 s[12:13], 0
.LBB7_954:
	s_and_b64 s[10:11], s[8:9], exec
	s_and_b64 s[8:9], s[12:13], exec
	s_andn2_b64 s[12:13], s[68:69], exec
	s_and_b64 s[0:1], s[0:1], exec
	s_and_b64 s[2:3], s[2:3], exec
	s_or_b64 s[12:13], s[12:13], s[0:1]
.LBB7_955:
	s_or_b64 exec, exec, s[72:73]
	s_and_b64 s[0:1], s[2:3], exec
	s_andn2_b64 s[2:3], s[68:69], exec
	s_and_b64 s[12:13], s[12:13], exec
	s_and_b64 s[10:11], s[10:11], exec
	;; [unrolled: 1-line block ×3, first 2 shown]
	s_or_b64 s[68:69], s[2:3], s[12:13]
.LBB7_956:
	s_or_b64 exec, exec, s[66:67]
	s_andn2_b64 s[2:3], s[62:63], exec
	s_and_b64 s[12:13], s[70:71], exec
	s_or_b64 s[62:63], s[2:3], s[12:13]
	s_and_b64 s[2:3], s[0:1], exec
	s_andn2_b64 s[0:1], s[60:61], exec
	s_and_b64 s[12:13], s[68:69], exec
	s_and_b64 s[10:11], s[10:11], exec
	;; [unrolled: 1-line block ×3, first 2 shown]
	s_or_b64 s[60:61], s[0:1], s[12:13]
.LBB7_957:
	s_or_b64 exec, exec, s[64:65]
	s_andn2_b64 s[0:1], s[54:55], exec
	s_and_b64 s[12:13], s[62:63], exec
	s_or_b64 s[54:55], s[0:1], s[12:13]
	s_and_b64 s[0:1], s[10:11], exec
	s_and_b64 s[10:11], s[8:9], exec
	;; [unrolled: 1-line block ×3, first 2 shown]
	s_andn2_b64 s[2:3], s[56:57], exec
	s_and_b64 s[8:9], s[60:61], exec
	s_or_b64 s[56:57], s[2:3], s[8:9]
	s_or_b64 exec, exec, s[58:59]
	s_mov_b64 s[2:3], 0
	s_and_saveexec_b64 s[8:9], s[56:57]
	s_cbranch_execz .LBB7_288
.LBB7_958:
	s_mov_b64 s[2:3], exec
	s_andn2_b64 s[62:63], s[62:63], exec
	s_trap 2
                                        ; implicit-def: $vgpr6_vgpr7
	s_or_b64 exec, exec, s[8:9]
	s_and_saveexec_b64 s[8:9], s[62:63]
	s_xor_b64 s[8:9], exec, s[8:9]
	s_cbranch_execnz .LBB7_289
.LBB7_959:
	s_or_b64 exec, exec, s[8:9]
	s_and_saveexec_b64 s[8:9], s[10:11]
	s_cbranch_execz .LBB7_1005
.LBB7_960:
	v_cmp_gt_i16_e32 vcc, 5, v8
	s_cbranch_vccnz .LBB7_965
; %bb.961:
	v_cmp_gt_i16_e32 vcc, 8, v8
	s_cbranch_vccnz .LBB7_966
; %bb.962:
	;; [unrolled: 3-line block ×3, first 2 shown]
	v_cmp_lt_i16_e32 vcc, 9, v8
	s_cbranch_vccz .LBB7_968
; %bb.964:
	global_load_dwordx2 v[6:7], v[0:1], off
	s_mov_b64 s[10:11], 0
	s_branch .LBB7_969
.LBB7_965:
                                        ; implicit-def: $vgpr6_vgpr7
	s_branch .LBB7_986
.LBB7_966:
                                        ; implicit-def: $vgpr6_vgpr7
	s_branch .LBB7_975
.LBB7_967:
	s_mov_b64 s[10:11], -1
                                        ; implicit-def: $vgpr6_vgpr7
	s_branch .LBB7_972
.LBB7_968:
	s_mov_b64 s[10:11], -1
                                        ; implicit-def: $vgpr6_vgpr7
.LBB7_969:
	s_andn2_b64 vcc, exec, s[10:11]
	s_cbranch_vccnz .LBB7_971
; %bb.970:
	global_load_dword v3, v[0:1], off
	s_waitcnt vmcnt(0)
	v_cvt_f64_f32_e32 v[6:7], v3
.LBB7_971:
	s_mov_b64 s[10:11], 0
.LBB7_972:
	s_andn2_b64 vcc, exec, s[10:11]
	s_cbranch_vccnz .LBB7_974
; %bb.973:
	global_load_dword v3, v[0:1], off
	s_waitcnt vmcnt(0)
	v_cvt_f32_f16_e32 v3, v3
	v_cvt_f64_f32_e32 v[6:7], v3
.LBB7_974:
	s_cbranch_execnz .LBB7_985
.LBB7_975:
	v_cmp_gt_i16_e32 vcc, 6, v8
	s_cbranch_vccnz .LBB7_978
; %bb.976:
	v_cmp_lt_i16_e32 vcc, 6, v8
	s_cbranch_vccz .LBB7_979
; %bb.977:
	global_load_dwordx2 v[6:7], v[0:1], off
	s_mov_b64 s[10:11], 0
	s_branch .LBB7_980
.LBB7_978:
	s_mov_b64 s[10:11], -1
                                        ; implicit-def: $vgpr6_vgpr7
	s_branch .LBB7_983
.LBB7_979:
	s_mov_b64 s[10:11], -1
                                        ; implicit-def: $vgpr6_vgpr7
.LBB7_980:
	s_andn2_b64 vcc, exec, s[10:11]
	s_cbranch_vccnz .LBB7_982
; %bb.981:
	global_load_dword v3, v[0:1], off
	s_waitcnt vmcnt(0)
	v_cvt_f64_f32_e32 v[6:7], v3
.LBB7_982:
	s_mov_b64 s[10:11], 0
.LBB7_983:
	s_andn2_b64 vcc, exec, s[10:11]
	s_cbranch_vccnz .LBB7_985
; %bb.984:
	global_load_ushort v3, v[0:1], off
	s_waitcnt vmcnt(0)
	v_cvt_f32_f16_e32 v3, v3
	v_cvt_f64_f32_e32 v[6:7], v3
.LBB7_985:
	s_cbranch_execnz .LBB7_1004
.LBB7_986:
	v_cmp_gt_i16_e32 vcc, 2, v8
	s_cbranch_vccnz .LBB7_990
; %bb.987:
	v_cmp_gt_i16_e32 vcc, 3, v8
	s_cbranch_vccnz .LBB7_991
; %bb.988:
	v_cmp_lt_i16_e32 vcc, 3, v8
	s_cbranch_vccz .LBB7_992
; %bb.989:
	global_load_dwordx2 v[4:5], v[0:1], off
	s_mov_b64 s[10:11], 0
	s_waitcnt vmcnt(0)
	v_cvt_f64_i32_e32 v[6:7], v5
	v_cvt_f64_u32_e32 v[4:5], v4
	v_ldexp_f64 v[6:7], v[6:7], 32
	v_add_f64 v[6:7], v[6:7], v[4:5]
	s_branch .LBB7_993
.LBB7_990:
                                        ; implicit-def: $vgpr6_vgpr7
	s_branch .LBB7_999
.LBB7_991:
	s_mov_b64 s[10:11], -1
                                        ; implicit-def: $vgpr6_vgpr7
	s_branch .LBB7_996
.LBB7_992:
	s_mov_b64 s[10:11], -1
                                        ; implicit-def: $vgpr6_vgpr7
.LBB7_993:
	s_andn2_b64 vcc, exec, s[10:11]
	s_cbranch_vccnz .LBB7_995
; %bb.994:
	global_load_dword v3, v[0:1], off
	s_waitcnt vmcnt(0)
	v_cvt_f64_i32_e32 v[6:7], v3
.LBB7_995:
	s_mov_b64 s[10:11], 0
.LBB7_996:
	s_andn2_b64 vcc, exec, s[10:11]
	s_cbranch_vccnz .LBB7_998
; %bb.997:
	global_load_sshort v3, v[0:1], off
	s_waitcnt vmcnt(0)
	v_cvt_f64_i32_e32 v[6:7], v3
.LBB7_998:
	s_cbranch_execnz .LBB7_1004
.LBB7_999:
	v_cmp_lt_i16_e32 vcc, 0, v8
	s_cbranch_vccz .LBB7_1001
; %bb.1000:
	global_load_sbyte v3, v[0:1], off
	s_mov_b64 s[10:11], 0
	s_waitcnt vmcnt(0)
	v_cvt_f64_i32_e32 v[6:7], v3
	s_branch .LBB7_1002
.LBB7_1001:
	s_mov_b64 s[10:11], -1
                                        ; implicit-def: $vgpr6_vgpr7
.LBB7_1002:
	s_andn2_b64 vcc, exec, s[10:11]
	s_cbranch_vccnz .LBB7_1004
; %bb.1003:
	global_load_ubyte v0, v[0:1], off
	s_waitcnt vmcnt(0)
	v_cvt_f64_u32_e32 v[6:7], v0
.LBB7_1004:
	s_or_b64 s[0:1], s[0:1], exec
.LBB7_1005:
	s_or_b64 exec, exec, s[8:9]
	s_mov_b64 s[12:13], 0
	s_mov_b64 s[10:11], 0
                                        ; implicit-def: $vgpr8
                                        ; implicit-def: $vgpr4_vgpr5
                                        ; implicit-def: $vgpr0_vgpr1
	s_and_saveexec_b64 s[8:9], s[0:1]
	s_cbranch_execz .LBB7_1092
; %bb.1006:
	s_waitcnt vmcnt(0)
	v_trunc_f64_e32 v[0:1], v[6:7]
	s_movk_i32 s0, 0xffe0
	v_ldexp_f64 v[4:5], v[0:1], s0
	v_floor_f64_e32 v[6:7], v[4:5]
	v_fmac_f64_e32 v[0:1], 0xc1f00000, v[6:7]
	v_cvt_i32_f64_e32 v5, v[6:7]
	v_cvt_u32_f64_e32 v4, v[0:1]
	v_cmp_lt_i64_e32 vcc, -1, v[4:5]
	v_pk_mov_b32 v[0:1], 0, 0
	s_and_saveexec_b64 s[0:1], vcc
	s_cbranch_execz .LBB7_1018
; %bb.1007:
	v_mov_b32_e32 v0, 0
	v_cmp_lt_i64_e32 vcc, 0, v[4:5]
	v_mov_b32_e32 v1, 0x3ff00000
	s_and_saveexec_b64 s[10:11], vcc
	s_cbranch_execz .LBB7_1017
; %bb.1008:
	v_cmp_ne_u64_e32 vcc, 1, v[4:5]
                                        ; implicit-def: $vgpr0_vgpr1
	s_and_saveexec_b64 s[12:13], vcc
	s_xor_b64 s[12:13], exec, s[12:13]
	s_cbranch_execz .LBB7_1014
; %bb.1009:
	s_mov_b64 s[14:15], 0x201
	v_mov_b32_e32 v0, 0
	v_cmp_gt_u64_e32 vcc, s[14:15], v[4:5]
	v_mov_b32_e32 v1, 0x7ff80000
	s_and_saveexec_b64 s[14:15], vcc
	s_cbranch_execz .LBB7_1013
; %bb.1010:
	v_mov_b32_e32 v6, 0
	s_mov_b64 s[18:19], 1
	s_mov_b64 s[16:17], 0
	v_pk_mov_b32 v[0:1], s[44:45], s[44:45] op_sel:[0,1]
	v_mov_b32_e32 v7, 0x3ff00000
.LBB7_1011:                             ; =>This Inner Loop Header: Depth=1
	v_cvt_f64_u32_e32 v[8:9], s19
	v_cvt_f64_u32_e32 v[10:11], s18
	s_add_u32 s18, s18, 1
	v_ldexp_f64 v[8:9], v[8:9], 32
	s_addc_u32 s19, s19, 0
	v_add_f64 v[8:9], v[8:9], v[10:11]
	v_cmp_eq_u64_e32 vcc, s[18:19], v[4:5]
	v_mul_f64 v[8:9], v[6:7], v[8:9]
	s_or_b64 s[16:17], vcc, s[16:17]
	v_pk_mov_b32 v[6:7], v[0:1], v[0:1] op_sel:[0,1]
	v_fma_f64 v[0:1], s[44:45], v[0:1], -v[8:9]
	s_andn2_b64 exec, exec, s[16:17]
	s_cbranch_execnz .LBB7_1011
; %bb.1012:
	s_or_b64 exec, exec, s[16:17]
.LBB7_1013:
	s_or_b64 exec, exec, s[14:15]
.LBB7_1014:
	s_andn2_saveexec_b64 s[12:13], s[12:13]
; %bb.1015:
	v_pk_mov_b32 v[0:1], s[44:45], s[44:45] op_sel:[0,1]
; %bb.1016:
	s_or_b64 exec, exec, s[12:13]
.LBB7_1017:
	s_or_b64 exec, exec, s[10:11]
.LBB7_1018:
	s_or_b64 exec, exec, s[0:1]
	v_mov_b32_e32 v3, s25
	v_add_co_u32_e32 v4, vcc, s24, v2
	v_mov_b32_e32 v2, 0xff
	v_addc_co_u32_e32 v5, vcc, 0, v3, vcc
	v_and_b32_e32 v8, s77, v2
	v_cmp_gt_i16_e32 vcc, 11, v8
	s_cbranch_vccnz .LBB7_1095
; %bb.1019:
	v_cmp_lt_i16_e32 vcc, 25, v8
	s_mov_b64 s[12:13], -1
	s_mov_b64 s[0:1], s[54:55]
	s_cbranch_vccz .LBB7_1052
; %bb.1020:
	v_cmp_lt_i16_e32 vcc, 28, v8
	s_mov_b64 s[10:11], -1
	s_mov_b64 s[0:1], s[54:55]
	s_cbranch_vccz .LBB7_1036
; %bb.1021:
	v_cmp_lt_i16_e32 vcc, 43, v8
	s_mov_b64 s[0:1], s[54:55]
	s_cbranch_vccz .LBB7_1032
; %bb.1022:
	v_cmp_lt_i16_e32 vcc, 45, v8
	s_mov_b64 s[0:1], s[54:55]
	s_cbranch_vccz .LBB7_1026
; %bb.1023:
	v_cmp_eq_u16_e32 vcc, 46, v8
	s_mov_b64 s[0:1], -1
	s_cbranch_vccz .LBB7_1025
; %bb.1024:
	v_cvt_f32_f64_e32 v2, v[0:1]
	v_bfe_u32 v3, v2, 16, 1
	s_movk_i32 s0, 0x7fff
	v_add3_u32 v3, v2, v3, s0
	v_lshrrev_b32_e32 v3, 16, v3
	v_mov_b32_e32 v6, 0x7fc0
	v_cmp_o_f32_e32 vcc, v2, v2
	v_cndmask_b32_e32 v2, v6, v3, vcc
	global_store_dword v[4:5], v2, off
	s_mov_b64 s[0:1], 0
.LBB7_1025:
	s_mov_b64 s[10:11], 0
.LBB7_1026:
	s_and_b64 vcc, exec, s[10:11]
	s_cbranch_vccz .LBB7_1031
; %bb.1027:
	v_cmp_eq_u16_e32 vcc, 44, v8
	s_mov_b64 s[0:1], -1
	s_cbranch_vccz .LBB7_1031
; %bb.1028:
	v_cvt_f32_f64_e32 v2, v[0:1]
	v_bfe_u32 v3, v2, 23, 8
	s_movk_i32 s0, 0xff
	v_cmp_ne_u32_e32 vcc, s0, v3
	v_mov_b32_e32 v6, 0xff
	s_and_saveexec_b64 s[10:11], vcc
; %bb.1029:
	s_mov_b32 s0, 0x3fffff
	v_lshrrev_b32_e32 v6, 23, v2
	v_and_b32_e32 v7, 0x400000, v2
	v_and_or_b32 v2, v2, s0, v3
	v_cmp_ne_u32_e32 vcc, 0, v7
	v_cmp_ne_u32_e64 s[0:1], 0, v2
	s_and_b64 s[0:1], vcc, s[0:1]
	v_cndmask_b32_e64 v2, 0, 1, s[0:1]
	v_add_u32_e32 v6, v6, v2
; %bb.1030:
	s_or_b64 exec, exec, s[10:11]
	s_mov_b64 s[0:1], 0
	global_store_byte v[4:5], v6, off
.LBB7_1031:
	s_mov_b64 s[10:11], 0
.LBB7_1032:
	s_and_b64 vcc, exec, s[10:11]
	s_cbranch_vccz .LBB7_1035
; %bb.1033:
	v_cmp_eq_u16_e32 vcc, 29, v8
	s_mov_b64 s[0:1], -1
	s_cbranch_vccz .LBB7_1035
; %bb.1034:
	v_trunc_f64_e32 v[2:3], v[0:1]
	s_movk_i32 s0, 0xffe0
	v_ldexp_f64 v[6:7], v[2:3], s0
	v_floor_f64_e32 v[6:7], v[6:7]
	v_fmac_f64_e32 v[2:3], 0xc1f00000, v[6:7]
	v_cvt_u32_f64_e32 v11, v[6:7]
	v_cvt_u32_f64_e32 v10, v[2:3]
	global_store_dwordx2 v[4:5], v[10:11], off
	s_mov_b64 s[0:1], 0
.LBB7_1035:
	s_mov_b64 s[10:11], 0
.LBB7_1036:
	s_and_b64 vcc, exec, s[10:11]
	s_cbranch_vccz .LBB7_1051
; %bb.1037:
	v_cmp_gt_i16_e32 vcc, 27, v8
	s_mov_b64 s[10:11], -1
	s_cbranch_vccnz .LBB7_1043
; %bb.1038:
	v_cmp_lt_i16_e32 vcc, 27, v8
	s_cbranch_vccz .LBB7_1040
; %bb.1039:
	v_cvt_u32_f64_e32 v2, v[0:1]
	s_mov_b64 s[10:11], 0
	global_store_dword v[4:5], v2, off
.LBB7_1040:
	s_andn2_b64 vcc, exec, s[10:11]
	s_cbranch_vccnz .LBB7_1042
; %bb.1041:
	v_cvt_u32_f64_e32 v2, v[0:1]
	global_store_short v[4:5], v2, off
.LBB7_1042:
	s_mov_b64 s[10:11], 0
.LBB7_1043:
	s_andn2_b64 vcc, exec, s[10:11]
	s_cbranch_vccnz .LBB7_1051
; %bb.1044:
	v_cvt_f32_f64_e32 v2, v[0:1]
	v_and_b32_e32 v3, 0x7fffffff, v2
	s_mov_b32 s10, 0x43800000
	v_cmp_gt_u32_e32 vcc, s10, v3
	v_mov_b32_e32 v6, 0x80
	s_and_saveexec_b64 s[10:11], vcc
	s_cbranch_execz .LBB7_1050
; %bb.1045:
	s_mov_b32 s12, 0x3bffffff
	v_cmp_lt_u32_e32 vcc, s12, v3
	s_mov_b64 s[12:13], 0
                                        ; implicit-def: $vgpr3
	s_and_saveexec_b64 s[14:15], vcc
	s_xor_b64 s[14:15], exec, s[14:15]
	s_cbranch_execz .LBB7_1208
; %bb.1046:
	v_bfe_u32 v3, v2, 20, 1
	s_mov_b32 s16, 0x487ffff
	v_add3_u32 v3, v2, v3, s16
	s_mov_b64 s[12:13], exec
	v_lshrrev_b32_e32 v3, 20, v3
	s_or_saveexec_b64 s[14:15], s[14:15]
                                        ; implicit-def: $sgpr16
	s_xor_b64 exec, exec, s[14:15]
	s_cbranch_execnz .LBB7_1209
.LBB7_1047:
	s_or_b64 exec, exec, s[14:15]
	v_mov_b32_e32 v6, s16
	s_and_saveexec_b64 s[14:15], s[12:13]
.LBB7_1048:
	v_lshrrev_b32_e32 v2, 24, v2
	s_movk_i32 s12, 0x80
	v_and_or_b32 v6, v2, s12, v3
.LBB7_1049:
	s_or_b64 exec, exec, s[14:15]
.LBB7_1050:
	s_or_b64 exec, exec, s[10:11]
	global_store_byte v[4:5], v6, off
.LBB7_1051:
	s_mov_b64 s[12:13], 0
.LBB7_1052:
	s_mov_b64 s[10:11], 0
	s_and_b64 vcc, exec, s[12:13]
	s_cbranch_vccz .LBB7_1096
; %bb.1053:
	v_cmp_lt_i16_e32 vcc, 22, v8
	s_mov_b64 s[12:13], -1
	s_cbranch_vccz .LBB7_1085
; %bb.1054:
	v_cmp_gt_i16_e32 vcc, 24, v8
	s_cbranch_vccnz .LBB7_1074
; %bb.1055:
	v_cmp_lt_i16_e32 vcc, 24, v8
	s_cbranch_vccz .LBB7_1063
; %bb.1056:
	v_cvt_f32_f64_e32 v2, v[0:1]
	v_and_b32_e32 v3, 0x7fffffff, v2
	s_mov_b32 s12, 0x47800000
	v_cmp_gt_u32_e32 vcc, s12, v3
	v_mov_b32_e32 v6, 0x80
	s_and_saveexec_b64 s[12:13], vcc
	s_cbranch_execz .LBB7_1062
; %bb.1057:
	s_mov_b32 s14, 0x37ffffff
	v_cmp_lt_u32_e32 vcc, s14, v3
	s_mov_b64 s[14:15], 0
                                        ; implicit-def: $vgpr3
	s_and_saveexec_b64 s[16:17], vcc
	s_xor_b64 s[16:17], exec, s[16:17]
	s_cbranch_execz .LBB7_1345
; %bb.1058:
	v_bfe_u32 v3, v2, 21, 1
	s_mov_b32 s18, 0x88fffff
	v_add3_u32 v3, v2, v3, s18
	s_mov_b64 s[14:15], exec
	v_lshrrev_b32_e32 v3, 21, v3
	s_or_saveexec_b64 s[16:17], s[16:17]
                                        ; implicit-def: $sgpr18
	s_xor_b64 exec, exec, s[16:17]
	s_cbranch_execnz .LBB7_1346
.LBB7_1059:
	s_or_b64 exec, exec, s[16:17]
	v_mov_b32_e32 v6, s18
	s_and_saveexec_b64 s[16:17], s[14:15]
.LBB7_1060:
	v_lshrrev_b32_e32 v2, 24, v2
	s_movk_i32 s14, 0x80
	v_and_or_b32 v6, v2, s14, v3
.LBB7_1061:
	s_or_b64 exec, exec, s[16:17]
.LBB7_1062:
	s_or_b64 exec, exec, s[12:13]
	s_mov_b64 s[12:13], 0
	global_store_byte v[4:5], v6, off
.LBB7_1063:
	s_and_b64 vcc, exec, s[12:13]
	s_cbranch_vccz .LBB7_1073
; %bb.1064:
	v_cvt_f32_f64_e32 v2, v[0:1]
	v_and_b32_e32 v6, 0x7fffffff, v2
	s_mov_b32 s12, 0x43f00000
	v_cmp_gt_u32_e32 vcc, s12, v6
                                        ; implicit-def: $vgpr3
	s_and_saveexec_b64 s[12:13], vcc
	s_xor_b64 s[12:13], exec, s[12:13]
	s_cbranch_execz .LBB7_1070
; %bb.1065:
	s_mov_b32 s14, 0x3c7fffff
	v_cmp_lt_u32_e32 vcc, s14, v6
                                        ; implicit-def: $vgpr3
	s_and_saveexec_b64 s[14:15], vcc
	s_xor_b64 s[14:15], exec, s[14:15]
; %bb.1066:
	v_bfe_u32 v3, v2, 20, 1
	s_mov_b32 s16, 0x407ffff
	v_add3_u32 v3, v2, v3, s16
	v_lshrrev_b32_e32 v6, 20, v3
	v_and_b32_e32 v3, 0xff00000, v3
	s_mov_b32 s16, 0x7f00000
	v_mov_b32_e32 v7, 0x7e
	v_cmp_ne_u32_e32 vcc, s16, v3
	v_cndmask_b32_e32 v3, v7, v6, vcc
; %bb.1067:
	s_andn2_saveexec_b64 s[14:15], s[14:15]
; %bb.1068:
	s_mov_b32 s16, 0x46800000
	v_add_f32_e64 v3, |v2|, s16
; %bb.1069:
	s_or_b64 exec, exec, s[14:15]
                                        ; implicit-def: $vgpr6
.LBB7_1070:
	s_andn2_saveexec_b64 s[12:13], s[12:13]
; %bb.1071:
	s_mov_b32 s14, 0x7f800000
	v_mov_b32_e32 v3, 0x7e
	v_mov_b32_e32 v7, 0x7f
	v_cmp_lt_u32_e32 vcc, s14, v6
	v_cndmask_b32_e32 v3, v3, v7, vcc
; %bb.1072:
	s_or_b64 exec, exec, s[12:13]
	v_lshrrev_b32_e32 v2, 24, v2
	s_movk_i32 s12, 0x80
	v_and_or_b32 v2, v2, s12, v3
	global_store_byte v[4:5], v2, off
.LBB7_1073:
	s_mov_b64 s[12:13], 0
.LBB7_1074:
	s_andn2_b64 vcc, exec, s[12:13]
	s_cbranch_vccnz .LBB7_1084
; %bb.1075:
	v_cvt_f32_f64_e32 v2, v[0:1]
	v_and_b32_e32 v6, 0x7fffffff, v2
	s_mov_b32 s12, 0x47800000
	v_cmp_gt_u32_e32 vcc, s12, v6
                                        ; implicit-def: $vgpr3
	s_and_saveexec_b64 s[12:13], vcc
	s_xor_b64 s[12:13], exec, s[12:13]
	s_cbranch_execz .LBB7_1081
; %bb.1076:
	s_mov_b32 s14, 0x387fffff
	v_cmp_lt_u32_e32 vcc, s14, v6
                                        ; implicit-def: $vgpr3
	s_and_saveexec_b64 s[14:15], vcc
	s_xor_b64 s[14:15], exec, s[14:15]
; %bb.1077:
	v_bfe_u32 v3, v2, 21, 1
	s_mov_b32 s16, 0x80fffff
	v_add3_u32 v3, v2, v3, s16
	v_lshrrev_b32_e32 v3, 21, v3
; %bb.1078:
	s_andn2_saveexec_b64 s[14:15], s[14:15]
; %bb.1079:
	s_mov_b32 s16, 0x43000000
	v_add_f32_e64 v3, |v2|, s16
; %bb.1080:
	s_or_b64 exec, exec, s[14:15]
                                        ; implicit-def: $vgpr6
.LBB7_1081:
	s_andn2_saveexec_b64 s[12:13], s[12:13]
; %bb.1082:
	s_mov_b32 s14, 0x7f800000
	v_mov_b32_e32 v3, 0x7c
	v_mov_b32_e32 v7, 0x7f
	v_cmp_lt_u32_e32 vcc, s14, v6
	v_cndmask_b32_e32 v3, v3, v7, vcc
; %bb.1083:
	s_or_b64 exec, exec, s[12:13]
	v_lshrrev_b32_e32 v2, 24, v2
	s_movk_i32 s12, 0x80
	v_and_or_b32 v2, v2, s12, v3
	global_store_byte v[4:5], v2, off
.LBB7_1084:
	s_mov_b64 s[12:13], 0
.LBB7_1085:
	s_andn2_b64 vcc, exec, s[12:13]
	s_mov_b64 s[12:13], 0
	s_cbranch_vccnz .LBB7_1097
; %bb.1086:
	v_cmp_lt_i16_e32 vcc, 14, v8
	s_mov_b64 s[14:15], -1
	s_cbranch_vccz .LBB7_1090
; %bb.1087:
	v_cmp_eq_u16_e32 vcc, 15, v8
	s_mov_b64 s[0:1], -1
	s_cbranch_vccz .LBB7_1089
; %bb.1088:
	v_cvt_f32_f64_e32 v2, v[0:1]
	v_bfe_u32 v3, v2, 16, 1
	s_movk_i32 s0, 0x7fff
	v_add3_u32 v3, v2, v3, s0
	v_lshrrev_b32_e32 v3, 16, v3
	v_mov_b32_e32 v6, 0x7fc0
	v_cmp_o_f32_e32 vcc, v2, v2
	v_cndmask_b32_e32 v2, v6, v3, vcc
	global_store_short v[4:5], v2, off
	s_mov_b64 s[0:1], 0
.LBB7_1089:
	s_mov_b64 s[14:15], 0
.LBB7_1090:
	s_and_b64 vcc, exec, s[14:15]
	s_cbranch_vccz .LBB7_1097
; %bb.1091:
	v_cmp_ne_u16_e32 vcc, 11, v8
	s_andn2_b64 s[0:1], s[0:1], exec
	s_and_b64 s[14:15], vcc, exec
	s_mov_b64 s[12:13], -1
	s_or_b64 s[0:1], s[0:1], s[14:15]
	s_branch .LBB7_1097
.LBB7_1092:
	s_or_b64 exec, exec, s[8:9]
	s_and_saveexec_b64 s[0:1], s[54:55]
	s_cbranch_execnz .LBB7_1098
.LBB7_1093:
	s_or_b64 exec, exec, s[0:1]
	s_and_saveexec_b64 s[0:1], s[12:13]
	s_xor_b64 s[0:1], exec, s[0:1]
	s_cbranch_execz .LBB7_1099
.LBB7_1094:
	v_cmp_neq_f64_e32 vcc, 0, v[0:1]
	v_cndmask_b32_e64 v2, 0, 1, vcc
	s_waitcnt vmcnt(0)
	global_store_byte v[4:5], v2, off
	s_or_b64 exec, exec, s[0:1]
	s_and_saveexec_b64 s[0:1], s[10:11]
	s_xor_b64 s[0:1], exec, s[0:1]
	s_cbranch_execz .LBB7_1137
	s_branch .LBB7_1100
.LBB7_1095:
	s_mov_b64 s[12:13], 0
	s_mov_b64 s[10:11], -1
	s_mov_b64 s[0:1], s[54:55]
	s_branch .LBB7_1097
.LBB7_1096:
	s_mov_b64 s[12:13], 0
.LBB7_1097:
	s_andn2_b64 s[14:15], s[54:55], exec
	s_and_b64 s[0:1], s[0:1], exec
	s_and_b64 s[10:11], s[10:11], exec
	;; [unrolled: 1-line block ×3, first 2 shown]
	s_or_b64 s[54:55], s[14:15], s[0:1]
	s_or_b64 exec, exec, s[8:9]
	s_and_saveexec_b64 s[0:1], s[54:55]
	s_cbranch_execz .LBB7_1093
.LBB7_1098:
	s_or_b64 s[2:3], s[2:3], exec
	s_andn2_b64 s[12:13], s[12:13], exec
	s_trap 2
	s_or_b64 exec, exec, s[0:1]
	s_and_saveexec_b64 s[0:1], s[12:13]
	s_xor_b64 s[0:1], exec, s[0:1]
	s_cbranch_execnz .LBB7_1094
.LBB7_1099:
	s_or_b64 exec, exec, s[0:1]
	s_and_saveexec_b64 s[0:1], s[10:11]
	s_xor_b64 s[0:1], exec, s[0:1]
	s_cbranch_execz .LBB7_1137
.LBB7_1100:
	v_cmp_gt_i16_e32 vcc, 5, v8
	s_mov_b64 s[8:9], -1
	s_cbranch_vccnz .LBB7_1121
; %bb.1101:
	v_cmp_gt_i16_e32 vcc, 8, v8
	s_cbranch_vccnz .LBB7_1111
; %bb.1102:
	v_cmp_gt_i16_e32 vcc, 9, v8
	s_cbranch_vccnz .LBB7_1108
; %bb.1103:
	v_cmp_lt_i16_e32 vcc, 9, v8
	s_cbranch_vccz .LBB7_1105
; %bb.1104:
	v_mov_b32_e32 v2, 0
	v_mov_b32_e32 v3, v2
	s_mov_b64 s[8:9], 0
	s_waitcnt vmcnt(0)
	global_store_dwordx4 v[4:5], v[0:3], off
.LBB7_1105:
	s_andn2_b64 vcc, exec, s[8:9]
	s_cbranch_vccnz .LBB7_1107
; %bb.1106:
	v_cvt_f32_f64_e32 v2, v[0:1]
	v_mov_b32_e32 v3, 0
	s_waitcnt vmcnt(0)
	global_store_dwordx2 v[4:5], v[2:3], off
.LBB7_1107:
	s_mov_b64 s[8:9], 0
.LBB7_1108:
	s_andn2_b64 vcc, exec, s[8:9]
	s_cbranch_vccnz .LBB7_1110
; %bb.1109:
	v_cvt_f32_f64_e32 v2, v[0:1]
	v_cvt_f16_f32_e32 v2, v2
	s_waitcnt vmcnt(0)
	global_store_dword v[4:5], v2, off
.LBB7_1110:
	s_mov_b64 s[8:9], 0
.LBB7_1111:
	s_andn2_b64 vcc, exec, s[8:9]
	s_cbranch_vccnz .LBB7_1120
; %bb.1112:
	v_cmp_gt_i16_e32 vcc, 6, v8
	s_mov_b64 s[8:9], -1
	s_cbranch_vccnz .LBB7_1118
; %bb.1113:
	v_cmp_lt_i16_e32 vcc, 6, v8
	s_cbranch_vccz .LBB7_1115
; %bb.1114:
	s_mov_b64 s[8:9], 0
	s_waitcnt vmcnt(0)
	global_store_dwordx2 v[4:5], v[0:1], off
.LBB7_1115:
	s_andn2_b64 vcc, exec, s[8:9]
	s_cbranch_vccnz .LBB7_1117
; %bb.1116:
	v_cvt_f32_f64_e32 v2, v[0:1]
	s_waitcnt vmcnt(0)
	global_store_dword v[4:5], v2, off
.LBB7_1117:
	s_mov_b64 s[8:9], 0
.LBB7_1118:
	s_andn2_b64 vcc, exec, s[8:9]
	s_cbranch_vccnz .LBB7_1120
; %bb.1119:
	v_cvt_f32_f64_e32 v2, v[0:1]
	v_cvt_f16_f32_e32 v2, v2
	s_waitcnt vmcnt(0)
	global_store_short v[4:5], v2, off
.LBB7_1120:
	s_mov_b64 s[8:9], 0
.LBB7_1121:
	s_andn2_b64 vcc, exec, s[8:9]
	s_cbranch_vccnz .LBB7_1137
; %bb.1122:
	v_cmp_gt_i16_e32 vcc, 2, v8
	s_mov_b64 s[8:9], -1
	s_cbranch_vccnz .LBB7_1132
; %bb.1123:
	v_cmp_gt_i16_e32 vcc, 3, v8
	s_cbranch_vccnz .LBB7_1129
; %bb.1124:
	v_cmp_lt_i16_e32 vcc, 3, v8
	s_cbranch_vccz .LBB7_1126
; %bb.1125:
	v_trunc_f64_e32 v[2:3], v[0:1]
	s_movk_i32 s8, 0xffe0
	s_waitcnt vmcnt(0)
	v_ldexp_f64 v[6:7], v[2:3], s8
	v_floor_f64_e32 v[6:7], v[6:7]
	v_fmac_f64_e32 v[2:3], 0xc1f00000, v[6:7]
	v_cvt_i32_f64_e32 v11, v[6:7]
	v_cvt_u32_f64_e32 v10, v[2:3]
	s_mov_b64 s[8:9], 0
	global_store_dwordx2 v[4:5], v[10:11], off
.LBB7_1126:
	s_andn2_b64 vcc, exec, s[8:9]
	s_cbranch_vccnz .LBB7_1128
; %bb.1127:
	v_cvt_i32_f64_e32 v2, v[0:1]
	s_waitcnt vmcnt(0)
	global_store_dword v[4:5], v2, off
.LBB7_1128:
	s_mov_b64 s[8:9], 0
.LBB7_1129:
	s_andn2_b64 vcc, exec, s[8:9]
	s_cbranch_vccnz .LBB7_1131
; %bb.1130:
	v_cvt_i32_f64_e32 v2, v[0:1]
	s_waitcnt vmcnt(0)
	global_store_short v[4:5], v2, off
.LBB7_1131:
	s_mov_b64 s[8:9], 0
.LBB7_1132:
	s_andn2_b64 vcc, exec, s[8:9]
	s_cbranch_vccnz .LBB7_1137
; %bb.1133:
	v_cmp_lt_i16_e32 vcc, 0, v8
	s_mov_b64 s[8:9], -1
	s_cbranch_vccz .LBB7_1135
; %bb.1134:
	v_cvt_i32_f64_e32 v2, v[0:1]
	s_mov_b64 s[8:9], 0
	s_waitcnt vmcnt(0)
	global_store_byte v[4:5], v2, off
.LBB7_1135:
	s_andn2_b64 vcc, exec, s[8:9]
	s_cbranch_vccnz .LBB7_1137
; %bb.1136:
	v_trunc_f64_e32 v[0:1], v[0:1]
	s_movk_i32 s8, 0xffe0
	v_ldexp_f64 v[2:3], v[0:1], s8
	v_floor_f64_e32 v[2:3], v[2:3]
	v_fmac_f64_e32 v[0:1], 0xc1f00000, v[2:3]
	v_cvt_u32_f64_e32 v0, v[0:1]
	s_waitcnt vmcnt(0)
	global_store_byte v[4:5], v0, off
.LBB7_1137:
	s_or_b64 exec, exec, s[0:1]
	s_and_b64 s[28:29], s[2:3], exec
                                        ; implicit-def: $vgpr16
                                        ; implicit-def: $vgpr9
.LBB7_1138:
	s_or_saveexec_b64 s[30:31], s[42:43]
	s_mov_b64 s[0:1], 0
                                        ; implicit-def: $vgpr0_vgpr1
                                        ; implicit-def: $sgpr16
                                        ; implicit-def: $vgpr12_vgpr13
	s_xor_b64 exec, exec, s[30:31]
	s_cbranch_execz .LBB7_1765
; %bb.1139:
	v_cndmask_b32_e64 v0, 0, 1, s[40:41]
	v_cmp_ne_u32_e64 s[0:1], 1, v0
	s_andn2_b64 vcc, exec, s[40:41]
	s_cbranch_vccnz .LBB7_1146
; %bb.1140:
	s_mov_b32 s2, 0
	s_cmp_lg_u32 s33, 0
	v_mov_b32_e32 v0, 0
	v_mov_b32_e32 v2, 0
	s_cbranch_scc0 .LBB7_1145
; %bb.1141:
	s_min_u32 s38, s76, 15
	s_add_i32 s38, s38, 1
	s_cmp_eq_u32 s76, 2
	s_cbranch_scc1 .LBB7_1147
; %bb.1142:
	s_add_u32 s6, s34, 0xc4
	s_addc_u32 s7, s35, 0
	s_and_b32 s2, s38, 28
	s_mov_b32 s3, 0
	v_mov_b32_e32 v2, 0
	s_mov_b64 s[36:37], s[34:35]
	v_mov_b32_e32 v1, v9
	v_mov_b32_e32 v0, 0
.LBB7_1143:                             ; =>This Inner Loop Header: Depth=1
	s_load_dwordx8 s[16:23], s[36:37], 0x4
	s_load_dwordx4 s[24:27], s[36:37], 0x24
	s_load_dwordx8 s[8:15], s[6:7], 0x0
	s_add_u32 s36, s36, 48
	s_addc_u32 s37, s37, 0
	s_waitcnt lgkmcnt(0)
	v_mul_hi_u32 v3, s17, v1
	v_add_u32_e32 v3, v1, v3
	v_lshrrev_b32_e32 v3, s18, v3
	s_waitcnt vmcnt(0)
	v_mul_lo_u32 v4, v3, s16
	v_mul_hi_u32 v5, s20, v3
	v_sub_u32_e32 v1, v1, v4
	v_add_u32_e32 v4, v3, v5
	v_lshrrev_b32_e32 v4, s21, v4
	v_mul_lo_u32 v6, v4, s19
	v_mul_hi_u32 v7, s23, v4
	v_sub_u32_e32 v3, v3, v6
	v_add_u32_e32 v6, v4, v7
	v_mul_lo_u32 v5, v1, s9
	v_mul_lo_u32 v1, v1, s8
	;; [unrolled: 1-line block ×4, first 2 shown]
	v_lshrrev_b32_e32 v6, s24, v6
	v_add3_u32 v2, v1, v2, v3
	v_mul_lo_u32 v1, v6, s22
	v_mul_hi_u32 v3, s26, v6
	v_sub_u32_e32 v1, v4, v1
	v_add_u32_e32 v3, v6, v3
	v_add3_u32 v0, v5, v0, v7
	v_mul_lo_u32 v4, v1, s12
	v_mul_lo_u32 v5, v1, s13
	v_lshrrev_b32_e32 v1, s27, v3
	s_add_i32 s3, s3, 4
	v_mul_lo_u32 v3, v1, s25
	s_add_u32 s6, s6, 32
	v_sub_u32_e32 v3, v6, v3
	s_addc_u32 s7, s7, 0
	v_mul_lo_u32 v6, v3, s14
	v_mul_lo_u32 v3, v3, s15
	s_cmp_lg_u32 s2, s3
	v_add3_u32 v0, v5, v0, v3
	v_add3_u32 v2, v4, v2, v6
	s_cbranch_scc1 .LBB7_1143
; %bb.1144:
	v_mov_b32_e32 v3, v0
	s_and_b32 s8, s38, 3
	s_cmp_eq_u32 s8, 0
	s_cbranch_scc0 .LBB7_1148
.LBB7_1145:
	s_cbranch_execz .LBB7_1151
	s_branch .LBB7_1153
.LBB7_1146:
                                        ; implicit-def: $vgpr0
                                        ; implicit-def: $vgpr2
	s_branch .LBB7_1151
.LBB7_1147:
	s_mov_b32 s3, s2
	v_pk_mov_b32 v[2:3], s[2:3], s[2:3] op_sel:[0,1]
                                        ; implicit-def: $vgpr0
	v_mov_b32_e32 v1, v9
	s_and_b32 s8, s38, 3
	s_cmp_eq_u32 s8, 0
	s_cbranch_scc1 .LBB7_1145
.LBB7_1148:
	s_lshl_b32 s3, s2, 3
	s_add_u32 s3, s3, s34
	s_addc_u32 s7, 0, s35
	s_add_u32 s6, s3, 0xc4
	s_addc_u32 s7, s7, 0
	s_mul_i32 s2, s2, 12
	s_add_u32 s2, s34, s2
	s_addc_u32 s3, 0, s35
.LBB7_1149:                             ; =>This Inner Loop Header: Depth=1
	s_load_dwordx2 s[10:11], s[2:3], 0x4
	s_load_dword s9, s[2:3], 0xc
	s_load_dwordx2 s[12:13], s[6:7], 0x0
	v_mov_b32_e32 v0, v3
	s_add_u32 s2, s2, 12
	s_waitcnt lgkmcnt(0)
	v_mul_hi_u32 v3, s11, v1
	v_add_u32_e32 v3, v1, v3
	v_lshrrev_b32_e32 v3, s9, v3
	s_addc_u32 s3, s3, 0
	s_waitcnt vmcnt(0)
	v_mul_lo_u32 v4, v3, s10
	s_add_u32 s6, s6, 8
	v_sub_u32_e32 v6, v1, v4
	v_mov_b32_e32 v1, v3
	s_addc_u32 s7, s7, 0
	s_add_i32 s8, s8, -1
	v_mad_u64_u32 v[4:5], s[10:11], v6, s13, v[0:1]
	v_mad_u64_u32 v[2:3], s[10:11], v6, s12, v[2:3]
	s_cmp_lg_u32 s8, 0
	v_mov_b32_e32 v3, v4
	s_cbranch_scc1 .LBB7_1149
; %bb.1150:
	v_mov_b32_e32 v0, v3
	s_cbranch_execnz .LBB7_1153
.LBB7_1151:
	s_load_dwordx4 s[8:11], s[34:35], 0x4
	s_load_dwordx2 s[2:3], s[34:35], 0xc4
	s_cmp_lt_u32 s33, 2
	s_waitcnt lgkmcnt(0)
	v_mul_hi_u32 v0, s9, v9
	v_add_u32_e32 v0, v9, v0
	v_lshrrev_b32_e32 v1, s10, v0
	v_mul_lo_u32 v0, v1, s8
	v_sub_u32_e32 v2, v9, v0
	v_mul_lo_u32 v0, v2, s3
	v_mul_lo_u32 v2, v2, s2
	s_cbranch_scc1 .LBB7_1153
; %bb.1152:
	s_load_dwordx4 s[8:11], s[34:35], 0x10
	s_load_dwordx2 s[2:3], s[34:35], 0xcc
	s_waitcnt lgkmcnt(0)
	v_mul_hi_u32 v3, s9, v1
	v_add_u32_e32 v3, v1, v3
	v_lshrrev_b32_e32 v3, s10, v3
	v_mul_lo_u32 v3, v3, s8
	v_sub_u32_e32 v1, v1, v3
	v_mad_u64_u32 v[2:3], s[6:7], v1, s2, v[2:3]
	v_mad_u64_u32 v[0:1], s[2:3], v1, s3, v[0:1]
.LBB7_1153:
	s_and_b64 vcc, exec, s[0:1]
	v_add_u32_e32 v1, 0x80, v9
	s_cbranch_vccnz .LBB7_1160
; %bb.1154:
	s_mov_b32 s2, 0
	s_cmp_lg_u32 s33, 0
	s_waitcnt vmcnt(0)
	v_mov_b32_e32 v4, 0
	v_mov_b32_e32 v6, 0
	s_cbranch_scc0 .LBB7_1159
; %bb.1155:
	s_min_u32 s38, s76, 15
	s_add_i32 s38, s38, 1
	s_cmp_eq_u32 s76, 2
	s_cbranch_scc1 .LBB7_1161
; %bb.1156:
	s_add_u32 s6, s34, 0xc4
	s_addc_u32 s7, s35, 0
	s_and_b32 s2, s38, 28
	s_mov_b32 s3, 0
	v_mov_b32_e32 v6, 0
	s_mov_b64 s[36:37], s[34:35]
	v_mov_b32_e32 v3, v1
	v_mov_b32_e32 v4, 0
.LBB7_1157:                             ; =>This Inner Loop Header: Depth=1
	s_load_dwordx8 s[16:23], s[36:37], 0x4
	s_load_dwordx4 s[24:27], s[36:37], 0x24
	s_load_dwordx8 s[8:15], s[6:7], 0x0
	s_add_u32 s36, s36, 48
	s_addc_u32 s37, s37, 0
	s_waitcnt lgkmcnt(0)
	v_mul_hi_u32 v5, s17, v3
	v_add_u32_e32 v5, v3, v5
	v_lshrrev_b32_e32 v5, s18, v5
	v_mul_lo_u32 v7, v5, s16
	v_mul_hi_u32 v8, s20, v5
	v_sub_u32_e32 v3, v3, v7
	v_add_u32_e32 v7, v5, v8
	v_lshrrev_b32_e32 v7, s21, v7
	v_mul_lo_u32 v10, v7, s19
	v_mul_hi_u32 v11, s23, v7
	v_sub_u32_e32 v5, v5, v10
	v_add_u32_e32 v10, v7, v11
	v_mul_lo_u32 v8, v3, s9
	v_mul_lo_u32 v3, v3, s8
	v_mul_lo_u32 v11, v5, s11
	v_mul_lo_u32 v5, v5, s10
	v_lshrrev_b32_e32 v10, s24, v10
	v_add3_u32 v5, v3, v6, v5
	v_mul_lo_u32 v3, v10, s22
	v_mul_hi_u32 v6, s26, v10
	v_sub_u32_e32 v3, v7, v3
	v_add_u32_e32 v6, v10, v6
	v_add3_u32 v4, v8, v4, v11
	v_mul_lo_u32 v7, v3, s12
	v_mul_lo_u32 v8, v3, s13
	v_lshrrev_b32_e32 v3, s27, v6
	s_add_i32 s3, s3, 4
	v_mul_lo_u32 v6, v3, s25
	s_add_u32 s6, s6, 32
	v_sub_u32_e32 v6, v10, v6
	s_addc_u32 s7, s7, 0
	v_mul_lo_u32 v10, v6, s14
	v_mul_lo_u32 v6, v6, s15
	s_cmp_lg_u32 s2, s3
	v_add3_u32 v4, v8, v4, v6
	v_add3_u32 v6, v7, v5, v10
	s_cbranch_scc1 .LBB7_1157
; %bb.1158:
	v_mov_b32_e32 v7, v4
	s_and_b32 s8, s38, 3
	s_cmp_eq_u32 s8, 0
	s_cbranch_scc0 .LBB7_1162
.LBB7_1159:
	s_cbranch_execz .LBB7_1165
	s_branch .LBB7_1167
.LBB7_1160:
                                        ; implicit-def: $vgpr4
                                        ; implicit-def: $vgpr6
	s_branch .LBB7_1165
.LBB7_1161:
	s_mov_b32 s3, s2
	v_pk_mov_b32 v[6:7], s[2:3], s[2:3] op_sel:[0,1]
                                        ; implicit-def: $vgpr4
	v_mov_b32_e32 v3, v1
	s_and_b32 s8, s38, 3
	s_cmp_eq_u32 s8, 0
	s_cbranch_scc1 .LBB7_1159
.LBB7_1162:
	s_lshl_b32 s3, s2, 3
	s_add_u32 s3, s3, s34
	s_addc_u32 s7, 0, s35
	s_add_u32 s6, s3, 0xc4
	s_addc_u32 s7, s7, 0
	s_mul_i32 s2, s2, 12
	s_add_u32 s2, s34, s2
	s_addc_u32 s3, 0, s35
.LBB7_1163:                             ; =>This Inner Loop Header: Depth=1
	s_load_dwordx2 s[10:11], s[2:3], 0x4
	s_load_dword s9, s[2:3], 0xc
	s_load_dwordx2 s[12:13], s[6:7], 0x0
	s_add_u32 s2, s2, 12
	v_mov_b32_e32 v4, v7
	s_waitcnt lgkmcnt(0)
	v_mul_hi_u32 v5, s11, v3
	v_add_u32_e32 v5, v3, v5
	v_lshrrev_b32_e32 v5, s9, v5
	s_addc_u32 s3, s3, 0
	v_mul_lo_u32 v7, v5, s10
	s_add_u32 s6, s6, 8
	v_sub_u32_e32 v7, v3, v7
	s_addc_u32 s7, s7, 0
	s_add_i32 s8, s8, -1
	v_mov_b32_e32 v3, v5
	v_mad_u64_u32 v[4:5], s[10:11], v7, s13, v[4:5]
	v_mad_u64_u32 v[6:7], s[10:11], v7, s12, v[6:7]
	s_cmp_lg_u32 s8, 0
	v_mov_b32_e32 v7, v4
	s_cbranch_scc1 .LBB7_1163
; %bb.1164:
	v_mov_b32_e32 v4, v7
	s_cbranch_execnz .LBB7_1167
.LBB7_1165:
	s_load_dwordx4 s[8:11], s[34:35], 0x4
	s_load_dwordx2 s[2:3], s[34:35], 0xc4
	s_cmp_lt_u32 s33, 2
	s_waitcnt lgkmcnt(0)
	v_mul_hi_u32 v3, s9, v1
	v_add_u32_e32 v3, v1, v3
	v_lshrrev_b32_e32 v3, s10, v3
	s_waitcnt vmcnt(0)
	v_mul_lo_u32 v4, v3, s8
	v_sub_u32_e32 v1, v1, v4
	v_mul_lo_u32 v4, v1, s3
	v_mul_lo_u32 v6, v1, s2
	s_cbranch_scc1 .LBB7_1167
; %bb.1166:
	s_load_dwordx4 s[8:11], s[34:35], 0x10
	s_load_dwordx2 s[2:3], s[34:35], 0xcc
	s_waitcnt lgkmcnt(0)
	v_mul_hi_u32 v1, s9, v3
	v_add_u32_e32 v1, v3, v1
	v_lshrrev_b32_e32 v1, s10, v1
	v_mul_lo_u32 v1, v1, s8
	v_sub_u32_e32 v1, v3, v1
	v_mad_u64_u32 v[6:7], s[6:7], v1, s2, v[6:7]
	v_mad_u64_u32 v[4:5], s[2:3], v1, s3, v[4:5]
.LBB7_1167:
	s_and_b64 vcc, exec, s[0:1]
	v_add_u32_e32 v1, 0x100, v9
	s_cbranch_vccnz .LBB7_1174
; %bb.1168:
	s_mov_b32 s2, 0
	s_cmp_lg_u32 s33, 0
	v_mov_b32_e32 v8, 0
	v_mov_b32_e32 v10, 0
	s_cbranch_scc0 .LBB7_1173
; %bb.1169:
	s_min_u32 s38, s76, 15
	s_add_i32 s38, s38, 1
	s_cmp_eq_u32 s76, 2
	s_cbranch_scc1 .LBB7_1175
; %bb.1170:
	s_add_u32 s6, s34, 0xc4
	s_addc_u32 s7, s35, 0
	s_and_b32 s2, s38, 28
	s_mov_b32 s3, 0
	v_mov_b32_e32 v10, 0
	s_mov_b64 s[36:37], s[34:35]
	v_mov_b32_e32 v3, v1
	v_mov_b32_e32 v8, 0
.LBB7_1171:                             ; =>This Inner Loop Header: Depth=1
	s_load_dwordx8 s[16:23], s[36:37], 0x4
	s_load_dwordx4 s[24:27], s[36:37], 0x24
	s_load_dwordx8 s[8:15], s[6:7], 0x0
	s_add_u32 s36, s36, 48
	s_addc_u32 s37, s37, 0
	s_waitcnt vmcnt(0) lgkmcnt(0)
	v_mul_hi_u32 v5, s17, v3
	v_add_u32_e32 v5, v3, v5
	v_lshrrev_b32_e32 v5, s18, v5
	v_mul_lo_u32 v7, v5, s16
	v_mul_hi_u32 v9, s20, v5
	v_sub_u32_e32 v3, v3, v7
	v_add_u32_e32 v7, v5, v9
	v_lshrrev_b32_e32 v7, s21, v7
	v_mul_lo_u32 v11, v7, s19
	v_mul_hi_u32 v12, s23, v7
	v_sub_u32_e32 v5, v5, v11
	v_add_u32_e32 v11, v7, v12
	v_mul_lo_u32 v9, v3, s9
	v_mul_lo_u32 v3, v3, s8
	;; [unrolled: 1-line block ×4, first 2 shown]
	v_lshrrev_b32_e32 v11, s24, v11
	v_add3_u32 v5, v3, v10, v5
	v_add3_u32 v8, v9, v8, v12
	v_mul_lo_u32 v3, v11, s22
	v_mul_hi_u32 v9, s26, v11
	v_sub_u32_e32 v3, v7, v3
	v_add_u32_e32 v7, v11, v9
	v_mul_lo_u32 v9, v3, s12
	v_mul_lo_u32 v10, v3, s13
	v_lshrrev_b32_e32 v3, s27, v7
	s_add_i32 s3, s3, 4
	v_mul_lo_u32 v7, v3, s25
	s_add_u32 s6, s6, 32
	v_sub_u32_e32 v7, v11, v7
	s_addc_u32 s7, s7, 0
	v_mul_lo_u32 v11, v7, s14
	v_mul_lo_u32 v7, v7, s15
	s_cmp_lg_u32 s2, s3
	v_add3_u32 v8, v10, v8, v7
	v_add3_u32 v10, v9, v5, v11
	s_cbranch_scc1 .LBB7_1171
; %bb.1172:
	v_mov_b32_e32 v11, v8
	s_and_b32 s8, s38, 3
	s_cmp_eq_u32 s8, 0
	s_cbranch_scc0 .LBB7_1176
.LBB7_1173:
	s_cbranch_execz .LBB7_1179
	s_branch .LBB7_1181
.LBB7_1174:
                                        ; implicit-def: $vgpr8
                                        ; implicit-def: $vgpr10
	s_branch .LBB7_1179
.LBB7_1175:
	s_mov_b32 s3, s2
	v_pk_mov_b32 v[10:11], s[2:3], s[2:3] op_sel:[0,1]
                                        ; implicit-def: $vgpr8
	v_mov_b32_e32 v3, v1
	s_and_b32 s8, s38, 3
	s_cmp_eq_u32 s8, 0
	s_cbranch_scc1 .LBB7_1173
.LBB7_1176:
	s_lshl_b32 s3, s2, 3
	s_add_u32 s3, s3, s34
	s_addc_u32 s7, 0, s35
	s_add_u32 s6, s3, 0xc4
	s_addc_u32 s7, s7, 0
	s_mul_i32 s2, s2, 12
	s_add_u32 s2, s34, s2
	s_addc_u32 s3, 0, s35
.LBB7_1177:                             ; =>This Inner Loop Header: Depth=1
	s_load_dwordx2 s[10:11], s[2:3], 0x4
	s_load_dword s9, s[2:3], 0xc
	s_load_dwordx2 s[12:13], s[6:7], 0x0
	s_add_u32 s2, s2, 12
	s_addc_u32 s3, s3, 0
	s_waitcnt vmcnt(0) lgkmcnt(0)
	v_mul_hi_u32 v5, s11, v3
	v_add_u32_e32 v5, v3, v5
	v_lshrrev_b32_e32 v5, s9, v5
	v_mul_lo_u32 v7, v5, s10
	v_mov_b32_e32 v8, v11
	s_add_u32 s6, s6, 8
	v_sub_u32_e32 v7, v3, v7
	s_addc_u32 s7, s7, 0
	s_add_i32 s8, s8, -1
	v_mad_u64_u32 v[8:9], s[10:11], v7, s13, v[8:9]
	v_mad_u64_u32 v[10:11], s[10:11], v7, s12, v[10:11]
	s_cmp_lg_u32 s8, 0
	v_mov_b32_e32 v3, v5
	v_mov_b32_e32 v11, v8
	s_cbranch_scc1 .LBB7_1177
; %bb.1178:
	v_mov_b32_e32 v8, v11
	s_cbranch_execnz .LBB7_1181
.LBB7_1179:
	s_load_dwordx4 s[8:11], s[34:35], 0x4
	s_load_dwordx2 s[2:3], s[34:35], 0xc4
	s_cmp_lt_u32 s33, 2
	s_waitcnt lgkmcnt(0)
	v_mul_hi_u32 v3, s9, v1
	v_add_u32_e32 v3, v1, v3
	v_lshrrev_b32_e32 v3, s10, v3
	s_waitcnt vmcnt(0)
	v_mul_lo_u32 v5, v3, s8
	v_sub_u32_e32 v1, v1, v5
	v_mul_lo_u32 v8, v1, s3
	v_mul_lo_u32 v10, v1, s2
	s_cbranch_scc1 .LBB7_1181
; %bb.1180:
	s_load_dwordx4 s[8:11], s[34:35], 0x10
	s_load_dwordx2 s[2:3], s[34:35], 0xcc
	s_waitcnt lgkmcnt(0)
	v_mul_hi_u32 v1, s9, v3
	v_add_u32_e32 v1, v3, v1
	v_lshrrev_b32_e32 v1, s10, v1
	v_mul_lo_u32 v1, v1, s8
	v_sub_u32_e32 v1, v3, v1
	v_mad_u64_u32 v[10:11], s[6:7], v1, s2, v[10:11]
	v_mad_u64_u32 v[8:9], s[2:3], v1, s3, v[8:9]
.LBB7_1181:
	s_and_b64 vcc, exec, s[0:1]
	s_cbranch_vccnz .LBB7_1188
; %bb.1182:
	s_mov_b32 s6, 0
	s_cmp_lg_u32 s33, 0
	v_mov_b32_e32 v12, 0
	v_mov_b32_e32 v14, 0
	s_cbranch_scc0 .LBB7_1187
; %bb.1183:
	s_min_u32 s36, s76, 15
	s_add_i32 s36, s36, 1
	s_cmp_eq_u32 s76, 2
	s_cbranch_scc1 .LBB7_1189
; %bb.1184:
	s_add_u32 s24, s34, 0xc4
	s_addc_u32 s25, s35, 0
	s_and_b32 s6, s36, 28
	s_mov_b32 s7, 0
	v_mov_b32_e32 v14, 0
	s_mov_b64 s[26:27], s[34:35]
	v_mov_b32_e32 v1, v16
	v_mov_b32_e32 v12, 0
.LBB7_1185:                             ; =>This Inner Loop Header: Depth=1
	s_load_dwordx8 s[16:23], s[26:27], 0x4
	s_load_dwordx4 s[0:3], s[26:27], 0x24
	s_load_dwordx8 s[8:15], s[24:25], 0x0
	s_add_u32 s26, s26, 48
	s_addc_u32 s27, s27, 0
	s_waitcnt lgkmcnt(0)
	v_mul_hi_u32 v3, s17, v1
	v_add_u32_e32 v3, v1, v3
	v_lshrrev_b32_e32 v3, s18, v3
	s_waitcnt vmcnt(0)
	v_mul_lo_u32 v5, v3, s16
	v_mul_hi_u32 v7, s20, v3
	v_sub_u32_e32 v1, v1, v5
	v_add_u32_e32 v5, v3, v7
	v_lshrrev_b32_e32 v5, s21, v5
	v_mul_lo_u32 v9, v5, s19
	v_mul_hi_u32 v11, s23, v5
	v_sub_u32_e32 v3, v3, v9
	v_add_u32_e32 v9, v5, v11
	v_mul_lo_u32 v7, v1, s9
	v_mul_lo_u32 v1, v1, s8
	;; [unrolled: 1-line block ×4, first 2 shown]
	v_lshrrev_b32_e32 v9, s0, v9
	v_add3_u32 v3, v1, v14, v3
	v_add3_u32 v7, v7, v12, v11
	v_mul_lo_u32 v1, v9, s22
	v_mul_hi_u32 v11, s2, v9
	v_sub_u32_e32 v1, v5, v1
	v_add_u32_e32 v5, v9, v11
	v_mul_lo_u32 v11, v1, s12
	v_mul_lo_u32 v12, v1, s13
	v_lshrrev_b32_e32 v1, s3, v5
	s_add_i32 s7, s7, 4
	v_mul_lo_u32 v5, v1, s1
	s_add_u32 s24, s24, 32
	v_sub_u32_e32 v5, v9, v5
	s_addc_u32 s25, s25, 0
	v_mul_lo_u32 v9, v5, s14
	v_mul_lo_u32 v5, v5, s15
	s_cmp_lg_u32 s6, s7
	v_add3_u32 v12, v12, v7, v5
	v_add3_u32 v14, v11, v3, v9
	s_cbranch_scc1 .LBB7_1185
; %bb.1186:
	v_mov_b32_e32 v15, v12
	s_and_b32 s7, s36, 3
	s_cmp_eq_u32 s7, 0
	s_cbranch_scc0 .LBB7_1190
.LBB7_1187:
	s_cbranch_execz .LBB7_1193
	s_branch .LBB7_1195
.LBB7_1188:
                                        ; implicit-def: $vgpr12
                                        ; implicit-def: $vgpr14
	s_branch .LBB7_1193
.LBB7_1189:
	s_mov_b32 s7, s6
	v_pk_mov_b32 v[14:15], s[6:7], s[6:7] op_sel:[0,1]
                                        ; implicit-def: $vgpr12
	v_mov_b32_e32 v1, v16
	s_and_b32 s7, s36, 3
	s_cmp_eq_u32 s7, 0
	s_cbranch_scc1 .LBB7_1187
.LBB7_1190:
	s_lshl_b32 s0, s6, 3
	s_add_u32 s0, s0, s34
	s_addc_u32 s1, 0, s35
	s_add_u32 s0, s0, 0xc4
	s_addc_u32 s1, s1, 0
	s_mul_i32 s2, s6, 12
	s_add_u32 s2, s34, s2
	s_addc_u32 s3, 0, s35
.LBB7_1191:                             ; =>This Inner Loop Header: Depth=1
	s_load_dwordx2 s[8:9], s[2:3], 0x4
	s_load_dword s6, s[2:3], 0xc
	s_load_dwordx2 s[10:11], s[0:1], 0x0
	s_add_u32 s2, s2, 12
	s_addc_u32 s3, s3, 0
	s_waitcnt lgkmcnt(0)
	v_mul_hi_u32 v3, s9, v1
	v_add_u32_e32 v3, v1, v3
	v_lshrrev_b32_e32 v3, s6, v3
	s_waitcnt vmcnt(0)
	v_mul_lo_u32 v5, v3, s8
	v_mov_b32_e32 v12, v15
	s_add_u32 s0, s0, 8
	v_sub_u32_e32 v5, v1, v5
	s_addc_u32 s1, s1, 0
	s_add_i32 s7, s7, -1
	v_mad_u64_u32 v[12:13], s[8:9], v5, s11, v[12:13]
	v_mad_u64_u32 v[14:15], s[8:9], v5, s10, v[14:15]
	s_cmp_lg_u32 s7, 0
	v_mov_b32_e32 v1, v3
	v_mov_b32_e32 v15, v12
	s_cbranch_scc1 .LBB7_1191
; %bb.1192:
	v_mov_b32_e32 v12, v15
	s_cbranch_execnz .LBB7_1195
.LBB7_1193:
	s_load_dwordx4 s[0:3], s[34:35], 0x4
	s_load_dwordx2 s[6:7], s[34:35], 0xc4
	s_cmp_lt_u32 s33, 2
	s_waitcnt lgkmcnt(0)
	v_mul_hi_u32 v1, s1, v16
	v_add_u32_e32 v1, v16, v1
	v_lshrrev_b32_e32 v1, s2, v1
	v_mul_lo_u32 v3, v1, s0
	v_sub_u32_e32 v3, v16, v3
	v_mul_lo_u32 v12, v3, s7
	v_mul_lo_u32 v14, v3, s6
	s_cbranch_scc1 .LBB7_1195
; %bb.1194:
	s_load_dwordx4 s[0:3], s[34:35], 0x10
	s_load_dwordx2 s[6:7], s[34:35], 0xcc
	s_waitcnt lgkmcnt(0)
	v_mul_hi_u32 v3, s1, v1
	v_add_u32_e32 v3, v1, v3
	v_lshrrev_b32_e32 v3, s2, v3
	v_mul_lo_u32 v3, v3, s0
	v_sub_u32_e32 v1, v1, v3
	v_mad_u64_u32 v[14:15], s[0:1], v1, s6, v[14:15]
	v_mad_u64_u32 v[12:13], s[0:1], v1, s7, v[12:13]
.LBB7_1195:
	s_load_dword s0, s[4:5], 0x170
	s_load_dwordx4 s[8:11], s[34:35], 0x148
	v_mov_b32_e32 v3, 11
	s_waitcnt lgkmcnt(0)
	s_lshr_b32 s20, s0, 8
	v_mov_b32_e32 v1, s11
	v_add_co_u32_e32 v0, vcc, s10, v0
	v_addc_co_u32_e32 v1, vcc, 0, v1, vcc
	v_cmp_lt_i16_sdwa s[0:1], s20, v3 src0_sel:BYTE_0 src1_sel:DWORD
	s_and_b64 vcc, exec, s[0:1]
	s_cbranch_vccnz .LBB7_1202
; %bb.1196:
	v_mov_b32_e32 v3, 25
	v_cmp_gt_i16_sdwa s[0:1], s20, v3 src0_sel:BYTE_0 src1_sel:DWORD
	s_mov_b64 s[4:5], 0
	s_and_b64 vcc, exec, s[0:1]
	s_cbranch_vccz .LBB7_1204
; %bb.1197:
	v_mov_b32_e32 v3, 28
	v_cmp_gt_i16_sdwa s[0:1], s20, v3 src0_sel:BYTE_0 src1_sel:DWORD
	s_and_b64 vcc, exec, s[0:1]
	s_cbranch_vccz .LBB7_1205
; %bb.1198:
	v_mov_b32_e32 v3, 43
	v_cmp_gt_i16_sdwa s[0:1], s20, v3 src0_sel:BYTE_0 src1_sel:DWORD
	;; [unrolled: 5-line block ×3, first 2 shown]
	s_and_b64 vcc, exec, s[0:1]
	s_cbranch_vccz .LBB7_1207
; %bb.1200:
	v_mov_b32_e32 v3, 46
	v_cmp_eq_u16_sdwa s[0:1], s20, v3 src0_sel:BYTE_0 src1_sel:DWORD
	s_mov_b64 s[2:3], 0
	s_and_b64 vcc, exec, s[0:1]
	s_cbranch_vccz .LBB7_1210
; %bb.1201:
	global_load_dword v3, v[0:1], off
	s_mov_b64 s[0:1], 0
	s_mov_b64 s[6:7], -1
	s_waitcnt vmcnt(0)
	v_lshlrev_b32_e32 v3, 16, v3
	v_cvt_f64_f32_e32 v[16:17], v3
	s_branch .LBB7_1211
.LBB7_1202:
	s_mov_b64 s[6:7], 0
                                        ; implicit-def: $vgpr16_vgpr17
	s_mov_b64 s[2:3], s[28:29]
	s_cbranch_execnz .LBB7_1274
.LBB7_1203:
	s_andn2_b64 vcc, exec, s[6:7]
	s_cbranch_vccz .LBB7_1319
	s_branch .LBB7_1762
.LBB7_1204:
	s_mov_b64 s[6:7], 0
	s_mov_b64 s[0:1], 0
                                        ; implicit-def: $vgpr16_vgpr17
	s_cbranch_execnz .LBB7_1239
	s_branch .LBB7_1270
.LBB7_1205:
	s_mov_b64 s[2:3], -1
	s_mov_b64 s[6:7], 0
	s_mov_b64 s[0:1], 0
                                        ; implicit-def: $vgpr16_vgpr17
	s_branch .LBB7_1220
.LBB7_1206:
	s_mov_b64 s[6:7], 0
	s_mov_b64 s[0:1], 0
                                        ; implicit-def: $vgpr16_vgpr17
	s_cbranch_execnz .LBB7_1216
	s_branch .LBB7_1219
.LBB7_1207:
	s_mov_b64 s[2:3], -1
	s_mov_b64 s[6:7], 0
	s_mov_b64 s[0:1], 0
                                        ; implicit-def: $vgpr16_vgpr17
	s_branch .LBB7_1211
.LBB7_1208:
	s_or_saveexec_b64 s[14:15], s[14:15]
                                        ; implicit-def: $sgpr16
	s_xor_b64 exec, exec, s[14:15]
	s_cbranch_execz .LBB7_1047
.LBB7_1209:
	s_mov_b32 s16, 0x46000000
	v_add_f32_e64 v3, |v2|, s16
	v_and_b32_e32 v3, 0xff, v3
	v_cmp_ne_u32_e32 vcc, 0, v3
	s_andn2_b64 s[12:13], s[12:13], exec
	s_and_b64 s[18:19], vcc, exec
	s_mov_b32 s16, 0
	s_or_b64 s[12:13], s[12:13], s[18:19]
	s_or_b64 exec, exec, s[14:15]
	v_mov_b32_e32 v6, s16
	s_and_saveexec_b64 s[14:15], s[12:13]
	s_cbranch_execnz .LBB7_1048
	s_branch .LBB7_1049
.LBB7_1210:
	s_mov_b64 s[0:1], -1
                                        ; implicit-def: $vgpr16_vgpr17
	s_mov_b64 s[6:7], 0
.LBB7_1211:
	s_and_b64 vcc, exec, s[2:3]
	s_cbranch_vccz .LBB7_1214
; %bb.1212:
	v_mov_b32_e32 v3, 44
	v_cmp_eq_u16_sdwa s[0:1], s20, v3 src0_sel:BYTE_0 src1_sel:DWORD
	s_and_b64 vcc, exec, s[0:1]
	s_cbranch_vccz .LBB7_1215
; %bb.1213:
	global_load_ubyte v3, v[0:1], off
	s_movk_i32 s2, 0xff
	s_waitcnt vmcnt(1)
	v_bfrev_b32_e32 v5, 4
	v_mov_b32_e32 v7, 0x7ff80000
	v_bfrev_b32_e32 v9, 28
	s_mov_b64 s[0:1], 0
	s_mov_b64 s[6:7], -1
	s_waitcnt vmcnt(0)
	v_lshlrev_b32_e32 v11, 23, v3
	v_cvt_f64_f32_e32 v[16:17], v11
	v_cmp_ne_u32_e32 vcc, s2, v3
	v_cndmask_b32_e32 v5, v5, v16, vcc
	v_cndmask_b32_e32 v7, v7, v17, vcc
	v_cmp_ne_u32_e32 vcc, 0, v3
	v_cndmask_b32_e32 v17, v9, v7, vcc
	v_cndmask_b32_e32 v16, 0, v5, vcc
.LBB7_1214:
	s_branch .LBB7_1219
.LBB7_1215:
	s_mov_b64 s[0:1], -1
                                        ; implicit-def: $vgpr16_vgpr17
	s_branch .LBB7_1219
.LBB7_1216:
	v_mov_b32_e32 v3, 29
	v_cmp_eq_u16_sdwa s[0:1], s20, v3 src0_sel:BYTE_0 src1_sel:DWORD
	s_and_b64 vcc, exec, s[0:1]
	s_cbranch_vccz .LBB7_1218
; %bb.1217:
	global_load_dwordx2 v[16:17], v[0:1], off
	s_mov_b64 s[0:1], 0
	s_mov_b64 s[6:7], -1
	s_mov_b64 s[2:3], 0
	s_waitcnt vmcnt(0)
	v_cvt_f64_u32_e32 v[18:19], v17
	v_cvt_f64_u32_e32 v[16:17], v16
	v_ldexp_f64 v[18:19], v[18:19], 32
	v_add_f64 v[16:17], v[18:19], v[16:17]
	s_branch .LBB7_1220
.LBB7_1218:
	s_mov_b64 s[0:1], -1
                                        ; implicit-def: $vgpr16_vgpr17
.LBB7_1219:
	s_mov_b64 s[2:3], 0
.LBB7_1220:
	s_and_b64 vcc, exec, s[2:3]
	s_cbranch_vccz .LBB7_1238
; %bb.1221:
	v_mov_b32_e32 v3, 27
	v_cmp_lt_i16_sdwa s[2:3], s20, v3 src0_sel:BYTE_0 src1_sel:DWORD
	s_and_b64 vcc, exec, s[2:3]
	s_cbranch_vccnz .LBB7_1224
; %bb.1222:
	v_cmp_gt_i16_sdwa s[2:3], s20, v3 src0_sel:BYTE_0 src1_sel:DWORD
	s_and_b64 vcc, exec, s[2:3]
	s_cbranch_vccz .LBB7_1225
; %bb.1223:
	global_load_dword v3, v[0:1], off
	s_mov_b64 s[2:3], 0
	s_waitcnt vmcnt(0)
	v_cvt_f64_u32_e32 v[16:17], v3
	s_branch .LBB7_1226
.LBB7_1224:
	s_mov_b64 s[2:3], -1
                                        ; implicit-def: $vgpr16_vgpr17
	s_branch .LBB7_1229
.LBB7_1225:
	s_mov_b64 s[2:3], -1
                                        ; implicit-def: $vgpr16_vgpr17
.LBB7_1226:
	s_andn2_b64 vcc, exec, s[2:3]
	s_cbranch_vccnz .LBB7_1228
; %bb.1227:
	global_load_ushort v3, v[0:1], off
	s_waitcnt vmcnt(0)
	v_cvt_f64_u32_e32 v[16:17], v3
.LBB7_1228:
	s_mov_b64 s[2:3], 0
.LBB7_1229:
	s_andn2_b64 vcc, exec, s[2:3]
	s_cbranch_vccnz .LBB7_1237
; %bb.1230:
	global_load_ubyte v3, v[0:1], off
	s_movk_i32 s2, 0x7f
                                        ; implicit-def: $sgpr6_sgpr7
	s_waitcnt vmcnt(0)
	v_cmp_lt_i16_e32 vcc, s2, v3
	s_mov_b64 s[2:3], 0
	s_and_saveexec_b64 s[12:13], vcc
	s_xor_b64 s[12:13], exec, s[12:13]
	s_cbranch_execz .LBB7_1250
; %bb.1231:
	s_movk_i32 s2, 0x80
	v_cmp_eq_u16_e32 vcc, s2, v3
	s_mov_b64 s[14:15], -1
                                        ; implicit-def: $sgpr6_sgpr7
	s_and_saveexec_b64 s[2:3], vcc
; %bb.1232:
	s_mov_b32 s7, 0x7ff80000
	s_brev_b32 s6, 4
	s_xor_b64 s[14:15], exec, -1
; %bb.1233:
	s_or_b64 exec, exec, s[2:3]
	s_and_b64 s[2:3], s[14:15], exec
	s_or_saveexec_b64 s[12:13], s[12:13]
	v_pk_mov_b32 v[16:17], s[6:7], s[6:7] op_sel:[0,1]
	s_xor_b64 exec, exec, s[12:13]
	s_cbranch_execnz .LBB7_1251
.LBB7_1234:
	s_or_b64 exec, exec, s[12:13]
	s_and_saveexec_b64 s[6:7], s[2:3]
	s_cbranch_execz .LBB7_1236
.LBB7_1235:
	v_lshlrev_b32_e32 v5, 24, v3
	v_and_b32_e32 v3, 0xffff, v3
	v_and_b32_e32 v7, 7, v3
	v_ffbh_u32_e32 v11, v7
	v_min_u32_e32 v11, 32, v11
	v_subrev_u32_e32 v13, 28, v11
	v_bfe_u32 v9, v3, 3, 4
	v_lshlrev_b32_e32 v3, v13, v3
	v_sub_u32_e32 v11, 29, v11
	v_and_b32_e32 v3, 7, v3
	v_cmp_eq_u32_e32 vcc, 0, v9
	v_cndmask_b32_e32 v9, v9, v11, vcc
	v_cndmask_b32_e32 v3, v7, v3, vcc
	v_mov_b32_e32 v7, 0x3b800000
	v_lshlrev_b32_e32 v3, 20, v3
	v_and_b32_e32 v5, 0x80000000, v5
	v_lshl_add_u32 v7, v9, 23, v7
	v_or3_b32 v3, v5, v7, v3
	v_cvt_f64_f32_e32 v[16:17], v3
.LBB7_1236:
	s_or_b64 exec, exec, s[6:7]
.LBB7_1237:
	s_mov_b64 s[6:7], -1
.LBB7_1238:
	s_branch .LBB7_1270
.LBB7_1239:
	v_mov_b32_e32 v3, 22
	v_cmp_gt_i16_sdwa s[2:3], s20, v3 src0_sel:BYTE_0 src1_sel:DWORD
	s_and_b64 vcc, exec, s[2:3]
	s_cbranch_vccz .LBB7_1249
; %bb.1240:
	v_mov_b32_e32 v3, 24
	v_cmp_lt_i16_sdwa s[2:3], s20, v3 src0_sel:BYTE_0 src1_sel:DWORD
	s_and_b64 vcc, exec, s[2:3]
	s_cbranch_vccnz .LBB7_1252
; %bb.1241:
	v_cmp_gt_i16_sdwa s[2:3], s20, v3 src0_sel:BYTE_0 src1_sel:DWORD
	s_and_b64 vcc, exec, s[2:3]
	s_cbranch_vccz .LBB7_1253
; %bb.1242:
	global_load_ubyte v3, v[0:1], off
	s_movk_i32 s2, 0x7f
                                        ; implicit-def: $sgpr4_sgpr5
	s_waitcnt vmcnt(0)
	v_cmp_lt_i16_e32 vcc, s2, v3
	s_mov_b64 s[2:3], 0
	s_and_saveexec_b64 s[6:7], vcc
	s_xor_b64 s[6:7], exec, s[6:7]
	s_cbranch_execz .LBB7_1264
; %bb.1243:
	s_movk_i32 s2, 0x80
	v_cmp_eq_u16_e32 vcc, s2, v3
	s_mov_b64 s[12:13], -1
                                        ; implicit-def: $sgpr4_sgpr5
	s_and_saveexec_b64 s[2:3], vcc
; %bb.1244:
	s_mov_b32 s5, 0x7ff80000
	s_brev_b32 s4, 4
	s_xor_b64 s[12:13], exec, -1
; %bb.1245:
	s_or_b64 exec, exec, s[2:3]
	s_and_b64 s[2:3], s[12:13], exec
	s_or_saveexec_b64 s[6:7], s[6:7]
	v_pk_mov_b32 v[16:17], s[4:5], s[4:5] op_sel:[0,1]
	s_xor_b64 exec, exec, s[6:7]
	s_cbranch_execnz .LBB7_1265
.LBB7_1246:
	s_or_b64 exec, exec, s[6:7]
	s_and_saveexec_b64 s[4:5], s[2:3]
	s_cbranch_execz .LBB7_1248
.LBB7_1247:
	v_lshlrev_b32_e32 v5, 24, v3
	v_and_b32_e32 v3, 0xffff, v3
	v_and_b32_e32 v7, 3, v3
	v_ffbh_u32_e32 v11, v7
	v_min_u32_e32 v11, 32, v11
	v_subrev_u32_e32 v13, 29, v11
	v_bfe_u32 v9, v3, 2, 5
	v_lshlrev_b32_e32 v3, v13, v3
	v_sub_u32_e32 v11, 30, v11
	v_and_b32_e32 v3, 3, v3
	v_cmp_eq_u32_e32 vcc, 0, v9
	v_cndmask_b32_e32 v9, v9, v11, vcc
	v_cndmask_b32_e32 v3, v7, v3, vcc
	v_mov_b32_e32 v7, 0x37800000
	v_lshlrev_b32_e32 v3, 21, v3
	v_and_b32_e32 v5, 0x80000000, v5
	v_lshl_add_u32 v7, v9, 23, v7
	v_or3_b32 v3, v5, v7, v3
	v_cvt_f64_f32_e32 v[16:17], v3
.LBB7_1248:
	s_or_b64 exec, exec, s[4:5]
	s_mov_b64 s[2:3], 0
	s_branch .LBB7_1254
.LBB7_1249:
                                        ; implicit-def: $vgpr16_vgpr17
	s_mov_b64 s[4:5], 0
	s_branch .LBB7_1260
.LBB7_1250:
	s_or_saveexec_b64 s[12:13], s[12:13]
	v_pk_mov_b32 v[16:17], s[6:7], s[6:7] op_sel:[0,1]
	s_xor_b64 exec, exec, s[12:13]
	s_cbranch_execz .LBB7_1234
.LBB7_1251:
	v_cmp_ne_u16_e32 vcc, 0, v3
	s_andn2_b64 s[2:3], s[2:3], exec
	s_and_b64 s[6:7], vcc, exec
	v_pk_mov_b32 v[16:17], 0, 0
	s_or_b64 s[2:3], s[2:3], s[6:7]
	s_or_b64 exec, exec, s[12:13]
	s_and_saveexec_b64 s[6:7], s[2:3]
	s_cbranch_execnz .LBB7_1235
	s_branch .LBB7_1236
.LBB7_1252:
	s_mov_b64 s[2:3], -1
                                        ; implicit-def: $vgpr16_vgpr17
	s_branch .LBB7_1257
.LBB7_1253:
	s_mov_b64 s[2:3], -1
                                        ; implicit-def: $vgpr16_vgpr17
.LBB7_1254:
	s_and_b64 vcc, exec, s[2:3]
	s_cbranch_vccz .LBB7_1256
; %bb.1255:
	global_load_ubyte v3, v[0:1], off
	s_mov_b32 s2, 0x7f800000
	s_waitcnt vmcnt(0)
	v_lshlrev_b32_e32 v3, 24, v3
	v_and_b32_e32 v5, 0x7f000000, v3
	v_ffbh_u32_e32 v7, v5
	v_min_u32_e32 v7, 32, v7
	v_sub_u32_e64 v7, v7, 4 clamp
	v_lshlrev_b32_e32 v11, v7, v5
	v_lshlrev_b32_e32 v7, 23, v7
	v_lshrrev_b32_e32 v11, 4, v11
	v_add_u32_e32 v9, 0x1000000, v5
	v_sub_u32_e32 v7, v11, v7
	v_ashrrev_i32_e32 v9, 8, v9
	v_add_u32_e32 v7, 0x3c000000, v7
	v_and_or_b32 v7, v9, s2, v7
	v_cmp_ne_u32_e32 vcc, 0, v5
	v_cndmask_b32_e32 v5, 0, v7, vcc
	s_brev_b32 s2, 1
	v_and_or_b32 v3, v3, s2, v5
	v_cvt_f64_f32_e32 v[16:17], v3
.LBB7_1256:
	s_mov_b64 s[2:3], 0
.LBB7_1257:
	s_andn2_b64 vcc, exec, s[2:3]
	s_cbranch_vccnz .LBB7_1259
; %bb.1258:
	global_load_ubyte v3, v[0:1], off
	s_movk_i32 s2, 0x7f00
	s_brev_b32 s3, 16
	s_waitcnt vmcnt(0)
	v_lshlrev_b16_e32 v5, 8, v3
	v_lshlrev_b32_e32 v3, 25, v3
	v_lshrrev_b32_e32 v7, 4, v3
	v_and_or_b32 v9, v5, s2, 0.5
	v_or_b32_e32 v7, 0x70000000, v7
	v_add_f32_e32 v9, -0.5, v9
	v_mul_f32_e32 v7, 0x7800000, v7
	v_cmp_gt_u32_e32 vcc, s3, v3
	v_bfe_i32 v5, v5, 0, 16
	v_cndmask_b32_e32 v3, v7, v9, vcc
	s_brev_b32 s2, 1
	v_and_or_b32 v3, v5, s2, v3
	v_cvt_f64_f32_e32 v[16:17], v3
.LBB7_1259:
	s_mov_b64 s[6:7], -1
	s_mov_b64 s[4:5], 0
	s_cbranch_execnz .LBB7_1270
.LBB7_1260:
	v_mov_b32_e32 v3, 14
	v_cmp_gt_i16_sdwa s[2:3], s20, v3 src0_sel:BYTE_0 src1_sel:DWORD
	s_and_b64 vcc, exec, s[2:3]
	s_cbranch_vccz .LBB7_1263
; %bb.1261:
	v_mov_b32_e32 v3, 15
	v_cmp_eq_u16_sdwa s[0:1], s20, v3 src0_sel:BYTE_0 src1_sel:DWORD
	s_and_b64 vcc, exec, s[0:1]
	s_cbranch_vccz .LBB7_1266
; %bb.1262:
	global_load_ushort v3, v[0:1], off
	s_mov_b64 s[0:1], 0
	s_mov_b64 s[6:7], -1
	s_waitcnt vmcnt(0)
	v_lshlrev_b32_e32 v3, 16, v3
	v_cvt_f64_f32_e32 v[16:17], v3
	s_branch .LBB7_1267
.LBB7_1263:
	s_mov_b64 s[2:3], -1
                                        ; implicit-def: $vgpr16_vgpr17
	s_branch .LBB7_1268
.LBB7_1264:
	s_or_saveexec_b64 s[6:7], s[6:7]
	v_pk_mov_b32 v[16:17], s[4:5], s[4:5] op_sel:[0,1]
	s_xor_b64 exec, exec, s[6:7]
	s_cbranch_execz .LBB7_1246
.LBB7_1265:
	v_cmp_ne_u16_e32 vcc, 0, v3
	s_andn2_b64 s[2:3], s[2:3], exec
	s_and_b64 s[4:5], vcc, exec
	v_pk_mov_b32 v[16:17], 0, 0
	s_or_b64 s[2:3], s[2:3], s[4:5]
	s_or_b64 exec, exec, s[6:7]
	s_and_saveexec_b64 s[4:5], s[2:3]
	s_cbranch_execnz .LBB7_1247
	s_branch .LBB7_1248
.LBB7_1266:
	s_mov_b64 s[0:1], -1
                                        ; implicit-def: $vgpr16_vgpr17
.LBB7_1267:
	s_mov_b64 s[2:3], 0
.LBB7_1268:
	s_and_b64 vcc, exec, s[2:3]
	s_cbranch_vccz .LBB7_1270
; %bb.1269:
	v_mov_b32_e32 v3, 11
	v_cmp_ne_u16_sdwa s[0:1], s20, v3 src0_sel:BYTE_0 src1_sel:DWORD
	s_mov_b64 s[4:5], -1
                                        ; implicit-def: $vgpr16_vgpr17
.LBB7_1270:
	s_and_b64 vcc, exec, s[0:1]
	s_mov_b64 s[2:3], s[28:29]
	s_cbranch_vccnz .LBB7_1343
; %bb.1271:
	s_andn2_b64 vcc, exec, s[4:5]
	s_cbranch_vccnz .LBB7_1273
.LBB7_1272:
	global_load_ubyte v3, v[0:1], off
	s_waitcnt vmcnt(1)
	v_mov_b32_e32 v5, 0x3ff00000
	v_mov_b32_e32 v16, 0
	s_mov_b64 s[6:7], -1
	s_waitcnt vmcnt(0)
	v_cmp_ne_u16_e32 vcc, 0, v3
	v_cndmask_b32_e32 v17, 0, v5, vcc
.LBB7_1273:
	s_branch .LBB7_1203
.LBB7_1274:
	v_mov_b32_e32 v3, 5
	v_cmp_lt_i16_sdwa s[0:1], s20, v3 src0_sel:BYTE_0 src1_sel:DWORD
	s_and_b64 vcc, exec, s[0:1]
	s_cbranch_vccnz .LBB7_1279
; %bb.1275:
	v_mov_b32_e32 v3, 8
	v_cmp_lt_i16_sdwa s[0:1], s20, v3 src0_sel:BYTE_0 src1_sel:DWORD
	s_and_b64 vcc, exec, s[0:1]
	s_cbranch_vccnz .LBB7_1280
; %bb.1276:
	;; [unrolled: 5-line block ×3, first 2 shown]
	v_cmp_gt_i16_sdwa s[0:1], s20, v3 src0_sel:BYTE_0 src1_sel:DWORD
	s_and_b64 vcc, exec, s[0:1]
	s_cbranch_vccz .LBB7_1282
; %bb.1278:
	global_load_dwordx2 v[16:17], v[0:1], off
	s_mov_b64 s[0:1], 0
	s_branch .LBB7_1283
.LBB7_1279:
                                        ; implicit-def: $vgpr16_vgpr17
	s_branch .LBB7_1300
.LBB7_1280:
                                        ; implicit-def: $vgpr16_vgpr17
	s_branch .LBB7_1289
.LBB7_1281:
	s_mov_b64 s[0:1], -1
                                        ; implicit-def: $vgpr16_vgpr17
	s_branch .LBB7_1286
.LBB7_1282:
	s_mov_b64 s[0:1], -1
                                        ; implicit-def: $vgpr16_vgpr17
.LBB7_1283:
	s_andn2_b64 vcc, exec, s[0:1]
	s_cbranch_vccnz .LBB7_1285
; %bb.1284:
	global_load_dword v3, v[0:1], off
	s_waitcnt vmcnt(0)
	v_cvt_f64_f32_e32 v[16:17], v3
.LBB7_1285:
	s_mov_b64 s[0:1], 0
.LBB7_1286:
	s_andn2_b64 vcc, exec, s[0:1]
	s_cbranch_vccnz .LBB7_1288
; %bb.1287:
	global_load_dword v3, v[0:1], off
	s_waitcnt vmcnt(0)
	v_cvt_f32_f16_e32 v3, v3
	v_cvt_f64_f32_e32 v[16:17], v3
.LBB7_1288:
	s_cbranch_execnz .LBB7_1299
.LBB7_1289:
	v_mov_b32_e32 v3, 6
	v_cmp_lt_i16_sdwa s[0:1], s20, v3 src0_sel:BYTE_0 src1_sel:DWORD
	s_and_b64 vcc, exec, s[0:1]
	s_cbranch_vccnz .LBB7_1292
; %bb.1290:
	v_cmp_gt_i16_sdwa s[0:1], s20, v3 src0_sel:BYTE_0 src1_sel:DWORD
	s_and_b64 vcc, exec, s[0:1]
	s_cbranch_vccz .LBB7_1293
; %bb.1291:
	global_load_dwordx2 v[16:17], v[0:1], off
	s_mov_b64 s[0:1], 0
	s_branch .LBB7_1294
.LBB7_1292:
	s_mov_b64 s[0:1], -1
                                        ; implicit-def: $vgpr16_vgpr17
	s_branch .LBB7_1297
.LBB7_1293:
	s_mov_b64 s[0:1], -1
                                        ; implicit-def: $vgpr16_vgpr17
.LBB7_1294:
	s_andn2_b64 vcc, exec, s[0:1]
	s_cbranch_vccnz .LBB7_1296
; %bb.1295:
	global_load_dword v3, v[0:1], off
	s_waitcnt vmcnt(0)
	v_cvt_f64_f32_e32 v[16:17], v3
.LBB7_1296:
	s_mov_b64 s[0:1], 0
.LBB7_1297:
	s_andn2_b64 vcc, exec, s[0:1]
	s_cbranch_vccnz .LBB7_1299
; %bb.1298:
	global_load_ushort v3, v[0:1], off
	s_waitcnt vmcnt(0)
	v_cvt_f32_f16_e32 v3, v3
	v_cvt_f64_f32_e32 v[16:17], v3
.LBB7_1299:
	s_cbranch_execnz .LBB7_1318
.LBB7_1300:
	v_mov_b32_e32 v3, 2
	v_cmp_lt_i16_sdwa s[0:1], s20, v3 src0_sel:BYTE_0 src1_sel:DWORD
	s_and_b64 vcc, exec, s[0:1]
	s_cbranch_vccnz .LBB7_1304
; %bb.1301:
	v_mov_b32_e32 v3, 3
	v_cmp_lt_i16_sdwa s[0:1], s20, v3 src0_sel:BYTE_0 src1_sel:DWORD
	s_and_b64 vcc, exec, s[0:1]
	s_cbranch_vccnz .LBB7_1305
; %bb.1302:
	v_cmp_gt_i16_sdwa s[0:1], s20, v3 src0_sel:BYTE_0 src1_sel:DWORD
	s_and_b64 vcc, exec, s[0:1]
	s_cbranch_vccz .LBB7_1306
; %bb.1303:
	global_load_dwordx2 v[16:17], v[0:1], off
	s_mov_b64 s[0:1], 0
	s_waitcnt vmcnt(0)
	v_cvt_f64_i32_e32 v[18:19], v17
	v_cvt_f64_u32_e32 v[16:17], v16
	v_ldexp_f64 v[18:19], v[18:19], 32
	v_add_f64 v[16:17], v[18:19], v[16:17]
	s_branch .LBB7_1307
.LBB7_1304:
                                        ; implicit-def: $vgpr16_vgpr17
	s_branch .LBB7_1313
.LBB7_1305:
	s_mov_b64 s[0:1], -1
                                        ; implicit-def: $vgpr16_vgpr17
	s_branch .LBB7_1310
.LBB7_1306:
	s_mov_b64 s[0:1], -1
                                        ; implicit-def: $vgpr16_vgpr17
.LBB7_1307:
	s_andn2_b64 vcc, exec, s[0:1]
	s_cbranch_vccnz .LBB7_1309
; %bb.1308:
	global_load_dword v3, v[0:1], off
	s_waitcnt vmcnt(0)
	v_cvt_f64_i32_e32 v[16:17], v3
.LBB7_1309:
	s_mov_b64 s[0:1], 0
.LBB7_1310:
	s_andn2_b64 vcc, exec, s[0:1]
	s_cbranch_vccnz .LBB7_1312
; %bb.1311:
	global_load_sshort v3, v[0:1], off
	s_waitcnt vmcnt(0)
	v_cvt_f64_i32_e32 v[16:17], v3
.LBB7_1312:
	s_cbranch_execnz .LBB7_1318
.LBB7_1313:
	v_mov_b32_e32 v3, 0
	v_cmp_gt_i16_sdwa s[0:1], s20, v3 src0_sel:BYTE_0 src1_sel:DWORD
	s_and_b64 vcc, exec, s[0:1]
	s_cbranch_vccz .LBB7_1315
; %bb.1314:
	global_load_sbyte v3, v[0:1], off
	s_mov_b64 s[0:1], 0
	s_waitcnt vmcnt(0)
	v_cvt_f64_i32_e32 v[16:17], v3
	s_branch .LBB7_1316
.LBB7_1315:
	s_mov_b64 s[0:1], -1
                                        ; implicit-def: $vgpr16_vgpr17
.LBB7_1316:
	s_andn2_b64 vcc, exec, s[0:1]
	s_cbranch_vccnz .LBB7_1318
; %bb.1317:
	global_load_ubyte v0, v[0:1], off
	s_waitcnt vmcnt(0)
	v_cvt_f64_u32_e32 v[16:17], v0
.LBB7_1318:
.LBB7_1319:
	s_waitcnt vmcnt(0)
	v_trunc_f64_e32 v[0:1], v[16:17]
	s_movk_i32 s4, 0xffe0
	s_load_dwordx2 s[0:1], s[34:35], 0x160
	v_ldexp_f64 v[16:17], v[0:1], s4
	v_floor_f64_e32 v[18:19], v[16:17]
	v_fmac_f64_e32 v[0:1], 0xc1f00000, v[18:19]
	v_cvt_i32_f64_e32 v17, v[18:19]
	v_cvt_u32_f64_e32 v16, v[0:1]
	v_cmp_lt_i64_e32 vcc, -1, v[16:17]
	v_pk_mov_b32 v[0:1], 0, 0
	s_and_saveexec_b64 s[4:5], vcc
	s_cbranch_execz .LBB7_1331
; %bb.1320:
	v_mov_b32_e32 v0, 0
	v_cmp_lt_i64_e32 vcc, 0, v[16:17]
	v_mov_b32_e32 v1, 0x3ff00000
	s_and_saveexec_b64 s[6:7], vcc
	s_cbranch_execz .LBB7_1330
; %bb.1321:
	v_cmp_ne_u64_e32 vcc, 1, v[16:17]
                                        ; implicit-def: $vgpr0_vgpr1
	s_and_saveexec_b64 s[12:13], vcc
	s_xor_b64 s[12:13], exec, s[12:13]
	s_cbranch_execz .LBB7_1327
; %bb.1322:
	s_mov_b64 s[14:15], 0x201
	v_mov_b32_e32 v0, 0
	v_cmp_gt_u64_e32 vcc, s[14:15], v[16:17]
	v_mov_b32_e32 v1, 0x7ff80000
	s_and_saveexec_b64 s[14:15], vcc
	s_cbranch_execz .LBB7_1326
; %bb.1323:
	v_mov_b32_e32 v18, 0
	s_mov_b64 s[18:19], 1
	s_mov_b64 s[16:17], 0
	s_waitcnt lgkmcnt(0)
	v_pk_mov_b32 v[0:1], s[0:1], s[0:1] op_sel:[0,1]
	v_mov_b32_e32 v19, 0x3ff00000
.LBB7_1324:                             ; =>This Inner Loop Header: Depth=1
	v_cvt_f64_u32_e32 v[20:21], s19
	v_cvt_f64_u32_e32 v[22:23], s18
	s_add_u32 s18, s18, 1
	v_ldexp_f64 v[20:21], v[20:21], 32
	s_addc_u32 s19, s19, 0
	v_add_f64 v[20:21], v[20:21], v[22:23]
	v_cmp_eq_u64_e32 vcc, s[18:19], v[16:17]
	v_mul_f64 v[20:21], v[18:19], v[20:21]
	s_or_b64 s[16:17], vcc, s[16:17]
	v_pk_mov_b32 v[18:19], v[0:1], v[0:1] op_sel:[0,1]
	v_fma_f64 v[0:1], s[0:1], v[0:1], -v[20:21]
	s_andn2_b64 exec, exec, s[16:17]
	s_cbranch_execnz .LBB7_1324
; %bb.1325:
	s_or_b64 exec, exec, s[16:17]
.LBB7_1326:
	s_or_b64 exec, exec, s[14:15]
.LBB7_1327:
	s_andn2_saveexec_b64 s[12:13], s[12:13]
	s_cbranch_execz .LBB7_1329
; %bb.1328:
	s_waitcnt lgkmcnt(0)
	v_pk_mov_b32 v[0:1], s[0:1], s[0:1] op_sel:[0,1]
.LBB7_1329:
	s_or_b64 exec, exec, s[12:13]
.LBB7_1330:
	s_or_b64 exec, exec, s[6:7]
.LBB7_1331:
	s_or_b64 exec, exec, s[4:5]
	v_mov_b32_e32 v3, s11
	v_add_co_u32_e32 v4, vcc, s10, v4
	v_addc_co_u32_e32 v5, vcc, 0, v3, vcc
	v_mov_b32_e32 v3, 11
	v_cmp_lt_i16_sdwa s[4:5], s20, v3 src0_sel:BYTE_0 src1_sel:DWORD
	s_and_b64 vcc, exec, s[4:5]
	s_cbranch_vccnz .LBB7_1338
; %bb.1332:
	v_mov_b32_e32 v3, 25
	v_cmp_gt_i16_sdwa s[4:5], s20, v3 src0_sel:BYTE_0 src1_sel:DWORD
	s_mov_b64 s[6:7], 0
	s_and_b64 vcc, exec, s[4:5]
	s_cbranch_vccz .LBB7_1340
; %bb.1333:
	v_mov_b32_e32 v3, 28
	v_cmp_gt_i16_sdwa s[4:5], s20, v3 src0_sel:BYTE_0 src1_sel:DWORD
	s_and_b64 vcc, exec, s[4:5]
	s_cbranch_vccz .LBB7_1341
; %bb.1334:
	v_mov_b32_e32 v3, 43
	v_cmp_gt_i16_sdwa s[4:5], s20, v3 src0_sel:BYTE_0 src1_sel:DWORD
	;; [unrolled: 5-line block ×3, first 2 shown]
	s_and_b64 vcc, exec, s[4:5]
	s_cbranch_vccz .LBB7_1344
; %bb.1336:
	v_mov_b32_e32 v3, 46
	v_cmp_eq_u16_sdwa s[4:5], s20, v3 src0_sel:BYTE_0 src1_sel:DWORD
	s_mov_b64 s[14:15], 0
	s_and_b64 vcc, exec, s[4:5]
	s_cbranch_vccz .LBB7_1347
; %bb.1337:
	global_load_dword v3, v[4:5], off
	s_mov_b64 s[4:5], 0
	s_mov_b64 s[12:13], -1
	s_waitcnt vmcnt(0)
	v_lshlrev_b32_e32 v3, 16, v3
	v_cvt_f64_f32_e32 v[16:17], v3
	s_branch .LBB7_1348
.LBB7_1338:
	s_mov_b64 s[12:13], 0
                                        ; implicit-def: $vgpr16_vgpr17
	s_cbranch_execnz .LBB7_1413
.LBB7_1339:
	s_andn2_b64 vcc, exec, s[12:13]
	s_cbranch_vccnz .LBB7_1762
	s_branch .LBB7_1460
.LBB7_1340:
	s_mov_b64 s[12:13], 0
	s_mov_b64 s[4:5], 0
                                        ; implicit-def: $vgpr16_vgpr17
	s_cbranch_execnz .LBB7_1377
	s_branch .LBB7_1409
.LBB7_1341:
	s_mov_b64 s[14:15], -1
	s_mov_b64 s[12:13], 0
	s_mov_b64 s[4:5], 0
                                        ; implicit-def: $vgpr16_vgpr17
	s_branch .LBB7_1358
.LBB7_1342:
	s_mov_b64 s[14:15], -1
	s_mov_b64 s[12:13], 0
	s_mov_b64 s[4:5], 0
                                        ; implicit-def: $vgpr16_vgpr17
	s_branch .LBB7_1353
.LBB7_1343:
	s_or_b64 s[2:3], s[28:29], exec
	s_trap 2
                                        ; implicit-def: $vgpr16_vgpr17
	s_cbranch_execz .LBB7_1272
	s_branch .LBB7_1273
.LBB7_1344:
	s_mov_b64 s[14:15], -1
	s_mov_b64 s[12:13], 0
	s_mov_b64 s[4:5], 0
                                        ; implicit-def: $vgpr16_vgpr17
	s_branch .LBB7_1348
.LBB7_1345:
	s_or_saveexec_b64 s[16:17], s[16:17]
                                        ; implicit-def: $sgpr18
	s_xor_b64 exec, exec, s[16:17]
	s_cbranch_execz .LBB7_1059
.LBB7_1346:
	s_mov_b32 s18, 0x42800000
	v_add_f32_e64 v3, |v2|, s18
	v_and_b32_e32 v3, 0xff, v3
	v_cmp_ne_u32_e32 vcc, 0, v3
	s_andn2_b64 s[14:15], s[14:15], exec
	s_and_b64 s[20:21], vcc, exec
	s_mov_b32 s18, 0
	s_or_b64 s[14:15], s[14:15], s[20:21]
	s_or_b64 exec, exec, s[16:17]
	v_mov_b32_e32 v6, s18
	s_and_saveexec_b64 s[16:17], s[14:15]
	s_cbranch_execnz .LBB7_1060
	s_branch .LBB7_1061
.LBB7_1347:
	s_mov_b64 s[4:5], -1
                                        ; implicit-def: $vgpr16_vgpr17
	s_mov_b64 s[12:13], 0
.LBB7_1348:
	s_and_b64 vcc, exec, s[14:15]
	s_cbranch_vccz .LBB7_1352
; %bb.1349:
	v_mov_b32_e32 v3, 44
	v_cmp_eq_u16_sdwa s[4:5], s20, v3 src0_sel:BYTE_0 src1_sel:DWORD
	s_and_b64 vcc, exec, s[4:5]
	s_cbranch_vccz .LBB7_1351
; %bb.1350:
	global_load_ubyte v3, v[4:5], off
	s_movk_i32 s12, 0xff
	v_bfrev_b32_e32 v7, 4
	v_mov_b32_e32 v9, 0x7ff80000
	v_bfrev_b32_e32 v11, 28
	s_mov_b64 s[4:5], 0
	s_waitcnt vmcnt(0)
	v_lshlrev_b32_e32 v13, 23, v3
	v_cvt_f64_f32_e32 v[16:17], v13
	v_cmp_ne_u32_e32 vcc, s12, v3
	v_cndmask_b32_e32 v7, v7, v16, vcc
	v_cndmask_b32_e32 v9, v9, v17, vcc
	v_cmp_ne_u32_e32 vcc, 0, v3
	v_cndmask_b32_e32 v17, v11, v9, vcc
	v_cndmask_b32_e32 v16, 0, v7, vcc
	s_mov_b64 s[12:13], -1
	s_branch .LBB7_1352
.LBB7_1351:
	s_mov_b64 s[4:5], -1
                                        ; implicit-def: $vgpr16_vgpr17
.LBB7_1352:
	s_mov_b64 s[14:15], 0
.LBB7_1353:
	s_and_b64 vcc, exec, s[14:15]
	s_cbranch_vccz .LBB7_1357
; %bb.1354:
	v_mov_b32_e32 v3, 29
	v_cmp_eq_u16_sdwa s[4:5], s20, v3 src0_sel:BYTE_0 src1_sel:DWORD
	s_and_b64 vcc, exec, s[4:5]
	s_cbranch_vccz .LBB7_1356
; %bb.1355:
	global_load_dwordx2 v[16:17], v[4:5], off
	s_mov_b64 s[4:5], 0
	s_mov_b64 s[12:13], -1
	s_mov_b64 s[14:15], 0
	s_waitcnt vmcnt(0)
	v_cvt_f64_u32_e32 v[18:19], v17
	v_cvt_f64_u32_e32 v[16:17], v16
	v_ldexp_f64 v[18:19], v[18:19], 32
	v_add_f64 v[16:17], v[18:19], v[16:17]
	s_branch .LBB7_1358
.LBB7_1356:
	s_mov_b64 s[4:5], -1
                                        ; implicit-def: $vgpr16_vgpr17
.LBB7_1357:
	s_mov_b64 s[14:15], 0
.LBB7_1358:
	s_and_b64 vcc, exec, s[14:15]
	s_cbranch_vccz .LBB7_1376
; %bb.1359:
	v_mov_b32_e32 v3, 27
	v_cmp_lt_i16_sdwa s[12:13], s20, v3 src0_sel:BYTE_0 src1_sel:DWORD
	s_and_b64 vcc, exec, s[12:13]
	s_cbranch_vccnz .LBB7_1362
; %bb.1360:
	v_cmp_gt_i16_sdwa s[12:13], s20, v3 src0_sel:BYTE_0 src1_sel:DWORD
	s_and_b64 vcc, exec, s[12:13]
	s_cbranch_vccz .LBB7_1363
; %bb.1361:
	global_load_dword v3, v[4:5], off
	s_mov_b64 s[12:13], 0
	s_waitcnt vmcnt(0)
	v_cvt_f64_u32_e32 v[16:17], v3
	s_branch .LBB7_1364
.LBB7_1362:
	s_mov_b64 s[12:13], -1
                                        ; implicit-def: $vgpr16_vgpr17
	s_branch .LBB7_1367
.LBB7_1363:
	s_mov_b64 s[12:13], -1
                                        ; implicit-def: $vgpr16_vgpr17
.LBB7_1364:
	s_andn2_b64 vcc, exec, s[12:13]
	s_cbranch_vccnz .LBB7_1366
; %bb.1365:
	global_load_ushort v3, v[4:5], off
	s_waitcnt vmcnt(0)
	v_cvt_f64_u32_e32 v[16:17], v3
.LBB7_1366:
	s_mov_b64 s[12:13], 0
.LBB7_1367:
	s_andn2_b64 vcc, exec, s[12:13]
	s_cbranch_vccnz .LBB7_1375
; %bb.1368:
	global_load_ubyte v3, v[4:5], off
	s_movk_i32 s12, 0x7f
                                        ; implicit-def: $sgpr14_sgpr15
	s_waitcnt vmcnt(0)
	v_cmp_lt_i16_e32 vcc, s12, v3
	s_mov_b64 s[12:13], 0
	s_and_saveexec_b64 s[16:17], vcc
	s_xor_b64 s[16:17], exec, s[16:17]
	s_cbranch_execz .LBB7_1388
; %bb.1369:
	s_movk_i32 s12, 0x80
	v_cmp_eq_u16_e32 vcc, s12, v3
	s_mov_b64 s[18:19], -1
                                        ; implicit-def: $sgpr14_sgpr15
	s_and_saveexec_b64 s[12:13], vcc
; %bb.1370:
	s_mov_b32 s15, 0x7ff80000
	s_brev_b32 s14, 4
	s_xor_b64 s[18:19], exec, -1
; %bb.1371:
	s_or_b64 exec, exec, s[12:13]
	s_and_b64 s[12:13], s[18:19], exec
	s_or_saveexec_b64 s[16:17], s[16:17]
	v_pk_mov_b32 v[16:17], s[14:15], s[14:15] op_sel:[0,1]
	s_xor_b64 exec, exec, s[16:17]
	s_cbranch_execnz .LBB7_1389
.LBB7_1372:
	s_or_b64 exec, exec, s[16:17]
	s_and_saveexec_b64 s[14:15], s[12:13]
	s_cbranch_execz .LBB7_1374
.LBB7_1373:
	v_lshlrev_b32_e32 v7, 24, v3
	v_and_b32_e32 v3, 0xffff, v3
	v_and_b32_e32 v9, 7, v3
	v_ffbh_u32_e32 v13, v9
	v_min_u32_e32 v13, 32, v13
	v_subrev_u32_e32 v15, 28, v13
	v_bfe_u32 v11, v3, 3, 4
	v_lshlrev_b32_e32 v3, v15, v3
	v_sub_u32_e32 v13, 29, v13
	v_and_b32_e32 v3, 7, v3
	v_cmp_eq_u32_e32 vcc, 0, v11
	v_cndmask_b32_e32 v11, v11, v13, vcc
	v_cndmask_b32_e32 v3, v9, v3, vcc
	v_mov_b32_e32 v9, 0x3b800000
	v_lshlrev_b32_e32 v3, 20, v3
	v_and_b32_e32 v7, 0x80000000, v7
	v_lshl_add_u32 v9, v11, 23, v9
	v_or3_b32 v3, v7, v9, v3
	v_cvt_f64_f32_e32 v[16:17], v3
.LBB7_1374:
	s_or_b64 exec, exec, s[14:15]
.LBB7_1375:
	s_mov_b64 s[12:13], -1
.LBB7_1376:
	s_branch .LBB7_1409
.LBB7_1377:
	v_mov_b32_e32 v3, 22
	v_cmp_gt_i16_sdwa s[6:7], s20, v3 src0_sel:BYTE_0 src1_sel:DWORD
	s_and_b64 vcc, exec, s[6:7]
	s_cbranch_vccz .LBB7_1387
; %bb.1378:
	v_mov_b32_e32 v3, 24
	v_cmp_lt_i16_sdwa s[6:7], s20, v3 src0_sel:BYTE_0 src1_sel:DWORD
	s_and_b64 vcc, exec, s[6:7]
	s_cbranch_vccnz .LBB7_1390
; %bb.1379:
	v_cmp_gt_i16_sdwa s[6:7], s20, v3 src0_sel:BYTE_0 src1_sel:DWORD
	s_and_b64 vcc, exec, s[6:7]
	s_cbranch_vccz .LBB7_1391
; %bb.1380:
	global_load_ubyte v3, v[4:5], off
	s_movk_i32 s6, 0x7f
                                        ; implicit-def: $sgpr12_sgpr13
	s_waitcnt vmcnt(0)
	v_cmp_lt_i16_e32 vcc, s6, v3
	s_mov_b64 s[6:7], 0
	s_and_saveexec_b64 s[14:15], vcc
	s_xor_b64 s[14:15], exec, s[14:15]
	s_cbranch_execz .LBB7_1403
; %bb.1381:
	s_movk_i32 s6, 0x80
	v_cmp_eq_u16_e32 vcc, s6, v3
	s_mov_b64 s[16:17], -1
                                        ; implicit-def: $sgpr12_sgpr13
	s_and_saveexec_b64 s[6:7], vcc
; %bb.1382:
	s_mov_b32 s13, 0x7ff80000
	s_brev_b32 s12, 4
	s_xor_b64 s[16:17], exec, -1
; %bb.1383:
	s_or_b64 exec, exec, s[6:7]
	s_and_b64 s[6:7], s[16:17], exec
	s_or_saveexec_b64 s[14:15], s[14:15]
	v_pk_mov_b32 v[16:17], s[12:13], s[12:13] op_sel:[0,1]
	s_xor_b64 exec, exec, s[14:15]
	s_cbranch_execnz .LBB7_1404
.LBB7_1384:
	s_or_b64 exec, exec, s[14:15]
	s_and_saveexec_b64 s[12:13], s[6:7]
	s_cbranch_execz .LBB7_1386
.LBB7_1385:
	v_lshlrev_b32_e32 v7, 24, v3
	v_and_b32_e32 v3, 0xffff, v3
	v_and_b32_e32 v9, 3, v3
	v_ffbh_u32_e32 v13, v9
	v_min_u32_e32 v13, 32, v13
	v_subrev_u32_e32 v15, 29, v13
	v_bfe_u32 v11, v3, 2, 5
	v_lshlrev_b32_e32 v3, v15, v3
	v_sub_u32_e32 v13, 30, v13
	v_and_b32_e32 v3, 3, v3
	v_cmp_eq_u32_e32 vcc, 0, v11
	v_cndmask_b32_e32 v11, v11, v13, vcc
	v_cndmask_b32_e32 v3, v9, v3, vcc
	v_mov_b32_e32 v9, 0x37800000
	v_lshlrev_b32_e32 v3, 21, v3
	v_and_b32_e32 v7, 0x80000000, v7
	v_lshl_add_u32 v9, v11, 23, v9
	v_or3_b32 v3, v7, v9, v3
	v_cvt_f64_f32_e32 v[16:17], v3
.LBB7_1386:
	s_or_b64 exec, exec, s[12:13]
	s_mov_b64 s[6:7], 0
	s_branch .LBB7_1392
.LBB7_1387:
	s_mov_b64 s[6:7], -1
                                        ; implicit-def: $vgpr16_vgpr17
	s_branch .LBB7_1398
.LBB7_1388:
	s_or_saveexec_b64 s[16:17], s[16:17]
	v_pk_mov_b32 v[16:17], s[14:15], s[14:15] op_sel:[0,1]
	s_xor_b64 exec, exec, s[16:17]
	s_cbranch_execz .LBB7_1372
.LBB7_1389:
	v_cmp_ne_u16_e32 vcc, 0, v3
	s_andn2_b64 s[12:13], s[12:13], exec
	s_and_b64 s[14:15], vcc, exec
	v_pk_mov_b32 v[16:17], 0, 0
	s_or_b64 s[12:13], s[12:13], s[14:15]
	s_or_b64 exec, exec, s[16:17]
	s_and_saveexec_b64 s[14:15], s[12:13]
	s_cbranch_execnz .LBB7_1373
	s_branch .LBB7_1374
.LBB7_1390:
	s_mov_b64 s[6:7], -1
                                        ; implicit-def: $vgpr16_vgpr17
	s_branch .LBB7_1395
.LBB7_1391:
	s_mov_b64 s[6:7], -1
                                        ; implicit-def: $vgpr16_vgpr17
.LBB7_1392:
	s_and_b64 vcc, exec, s[6:7]
	s_cbranch_vccz .LBB7_1394
; %bb.1393:
	global_load_ubyte v3, v[4:5], off
	s_mov_b32 s6, 0x7f800000
	s_waitcnt vmcnt(0)
	v_lshlrev_b32_e32 v3, 24, v3
	v_and_b32_e32 v7, 0x7f000000, v3
	v_ffbh_u32_e32 v9, v7
	v_min_u32_e32 v9, 32, v9
	v_sub_u32_e64 v9, v9, 4 clamp
	v_lshlrev_b32_e32 v13, v9, v7
	v_lshlrev_b32_e32 v9, 23, v9
	v_lshrrev_b32_e32 v13, 4, v13
	v_add_u32_e32 v11, 0x1000000, v7
	v_sub_u32_e32 v9, v13, v9
	v_ashrrev_i32_e32 v11, 8, v11
	v_add_u32_e32 v9, 0x3c000000, v9
	v_and_or_b32 v9, v11, s6, v9
	v_cmp_ne_u32_e32 vcc, 0, v7
	v_cndmask_b32_e32 v7, 0, v9, vcc
	s_brev_b32 s6, 1
	v_and_or_b32 v3, v3, s6, v7
	v_cvt_f64_f32_e32 v[16:17], v3
.LBB7_1394:
	s_mov_b64 s[6:7], 0
.LBB7_1395:
	s_andn2_b64 vcc, exec, s[6:7]
	s_cbranch_vccnz .LBB7_1397
; %bb.1396:
	global_load_ubyte v3, v[4:5], off
	s_movk_i32 s6, 0x7f00
	s_brev_b32 s7, 16
	s_waitcnt vmcnt(0)
	v_lshlrev_b16_e32 v7, 8, v3
	v_lshlrev_b32_e32 v3, 25, v3
	v_lshrrev_b32_e32 v9, 4, v3
	v_and_or_b32 v11, v7, s6, 0.5
	v_or_b32_e32 v9, 0x70000000, v9
	v_add_f32_e32 v11, -0.5, v11
	v_mul_f32_e32 v9, 0x7800000, v9
	v_cmp_gt_u32_e32 vcc, s7, v3
	v_bfe_i32 v7, v7, 0, 16
	v_cndmask_b32_e32 v3, v9, v11, vcc
	s_brev_b32 s6, 1
	v_and_or_b32 v3, v7, s6, v3
	v_cvt_f64_f32_e32 v[16:17], v3
.LBB7_1397:
	s_mov_b64 s[6:7], 0
	s_mov_b64 s[12:13], -1
.LBB7_1398:
	s_andn2_b64 vcc, exec, s[6:7]
	s_mov_b64 s[6:7], 0
	s_cbranch_vccnz .LBB7_1409
; %bb.1399:
	v_mov_b32_e32 v3, 14
	v_cmp_gt_i16_sdwa s[6:7], s20, v3 src0_sel:BYTE_0 src1_sel:DWORD
	s_and_b64 vcc, exec, s[6:7]
	s_cbranch_vccz .LBB7_1402
; %bb.1400:
	v_mov_b32_e32 v3, 15
	v_cmp_eq_u16_sdwa s[4:5], s20, v3 src0_sel:BYTE_0 src1_sel:DWORD
	s_and_b64 vcc, exec, s[4:5]
	s_cbranch_vccz .LBB7_1405
; %bb.1401:
	global_load_ushort v3, v[4:5], off
	s_mov_b64 s[4:5], 0
	s_mov_b64 s[12:13], -1
	s_waitcnt vmcnt(0)
	v_lshlrev_b32_e32 v3, 16, v3
	v_cvt_f64_f32_e32 v[16:17], v3
	s_branch .LBB7_1406
.LBB7_1402:
	s_mov_b64 s[14:15], -1
                                        ; implicit-def: $vgpr16_vgpr17
	s_branch .LBB7_1407
.LBB7_1403:
	s_or_saveexec_b64 s[14:15], s[14:15]
	v_pk_mov_b32 v[16:17], s[12:13], s[12:13] op_sel:[0,1]
	s_xor_b64 exec, exec, s[14:15]
	s_cbranch_execz .LBB7_1384
.LBB7_1404:
	v_cmp_ne_u16_e32 vcc, 0, v3
	s_andn2_b64 s[6:7], s[6:7], exec
	s_and_b64 s[12:13], vcc, exec
	v_pk_mov_b32 v[16:17], 0, 0
	s_or_b64 s[6:7], s[6:7], s[12:13]
	s_or_b64 exec, exec, s[14:15]
	s_and_saveexec_b64 s[12:13], s[6:7]
	s_cbranch_execnz .LBB7_1385
	s_branch .LBB7_1386
.LBB7_1405:
	s_mov_b64 s[4:5], -1
                                        ; implicit-def: $vgpr16_vgpr17
.LBB7_1406:
	s_mov_b64 s[14:15], 0
.LBB7_1407:
	s_mov_b64 s[6:7], 0
	s_and_b64 vcc, exec, s[14:15]
	s_cbranch_vccz .LBB7_1409
; %bb.1408:
	v_mov_b32_e32 v3, 11
	v_cmp_ne_u16_sdwa s[4:5], s20, v3 src0_sel:BYTE_0 src1_sel:DWORD
	s_mov_b64 s[6:7], -1
                                        ; implicit-def: $vgpr16_vgpr17
.LBB7_1409:
	s_and_b64 vcc, exec, s[4:5]
	s_cbranch_vccnz .LBB7_1484
; %bb.1410:
	s_andn2_b64 vcc, exec, s[6:7]
	s_cbranch_vccnz .LBB7_1412
.LBB7_1411:
	global_load_ubyte v3, v[4:5], off
	v_mov_b32_e32 v7, 0x3ff00000
	v_mov_b32_e32 v16, 0
	s_mov_b64 s[12:13], -1
	s_waitcnt vmcnt(0)
	v_cmp_ne_u16_e32 vcc, 0, v3
	v_cndmask_b32_e32 v17, 0, v7, vcc
.LBB7_1412:
	s_branch .LBB7_1339
.LBB7_1413:
	v_mov_b32_e32 v3, 5
	v_cmp_lt_i16_sdwa s[4:5], s20, v3 src0_sel:BYTE_0 src1_sel:DWORD
	s_and_b64 vcc, exec, s[4:5]
	s_cbranch_vccnz .LBB7_1418
; %bb.1414:
	v_mov_b32_e32 v3, 8
	v_cmp_lt_i16_sdwa s[4:5], s20, v3 src0_sel:BYTE_0 src1_sel:DWORD
	s_and_b64 vcc, exec, s[4:5]
	s_cbranch_vccnz .LBB7_1419
; %bb.1415:
	;; [unrolled: 5-line block ×3, first 2 shown]
	v_cmp_gt_i16_sdwa s[4:5], s20, v3 src0_sel:BYTE_0 src1_sel:DWORD
	s_and_b64 vcc, exec, s[4:5]
	s_cbranch_vccz .LBB7_1421
; %bb.1417:
	global_load_dwordx2 v[16:17], v[4:5], off
	s_mov_b64 s[4:5], 0
	s_branch .LBB7_1422
.LBB7_1418:
                                        ; implicit-def: $vgpr16_vgpr17
	s_branch .LBB7_1440
.LBB7_1419:
	s_mov_b64 s[4:5], -1
                                        ; implicit-def: $vgpr16_vgpr17
	s_branch .LBB7_1428
.LBB7_1420:
	s_mov_b64 s[4:5], -1
                                        ; implicit-def: $vgpr16_vgpr17
	s_branch .LBB7_1425
.LBB7_1421:
	s_mov_b64 s[4:5], -1
                                        ; implicit-def: $vgpr16_vgpr17
.LBB7_1422:
	s_andn2_b64 vcc, exec, s[4:5]
	s_cbranch_vccnz .LBB7_1424
; %bb.1423:
	global_load_dword v3, v[4:5], off
	s_waitcnt vmcnt(0)
	v_cvt_f64_f32_e32 v[16:17], v3
.LBB7_1424:
	s_mov_b64 s[4:5], 0
.LBB7_1425:
	s_andn2_b64 vcc, exec, s[4:5]
	s_cbranch_vccnz .LBB7_1427
; %bb.1426:
	global_load_dword v3, v[4:5], off
	s_waitcnt vmcnt(0)
	v_cvt_f32_f16_e32 v3, v3
	v_cvt_f64_f32_e32 v[16:17], v3
.LBB7_1427:
	s_mov_b64 s[4:5], 0
.LBB7_1428:
	s_andn2_b64 vcc, exec, s[4:5]
	s_cbranch_vccnz .LBB7_1439
; %bb.1429:
	v_mov_b32_e32 v3, 6
	v_cmp_lt_i16_sdwa s[4:5], s20, v3 src0_sel:BYTE_0 src1_sel:DWORD
	s_and_b64 vcc, exec, s[4:5]
	s_cbranch_vccnz .LBB7_1432
; %bb.1430:
	v_cmp_gt_i16_sdwa s[4:5], s20, v3 src0_sel:BYTE_0 src1_sel:DWORD
	s_and_b64 vcc, exec, s[4:5]
	s_cbranch_vccz .LBB7_1433
; %bb.1431:
	global_load_dwordx2 v[16:17], v[4:5], off
	s_mov_b64 s[4:5], 0
	s_branch .LBB7_1434
.LBB7_1432:
	s_mov_b64 s[4:5], -1
                                        ; implicit-def: $vgpr16_vgpr17
	s_branch .LBB7_1437
.LBB7_1433:
	s_mov_b64 s[4:5], -1
                                        ; implicit-def: $vgpr16_vgpr17
.LBB7_1434:
	s_andn2_b64 vcc, exec, s[4:5]
	s_cbranch_vccnz .LBB7_1436
; %bb.1435:
	global_load_dword v3, v[4:5], off
	s_waitcnt vmcnt(0)
	v_cvt_f64_f32_e32 v[16:17], v3
.LBB7_1436:
	s_mov_b64 s[4:5], 0
.LBB7_1437:
	s_andn2_b64 vcc, exec, s[4:5]
	s_cbranch_vccnz .LBB7_1439
; %bb.1438:
	global_load_ushort v3, v[4:5], off
	s_waitcnt vmcnt(0)
	v_cvt_f32_f16_e32 v3, v3
	v_cvt_f64_f32_e32 v[16:17], v3
.LBB7_1439:
	s_cbranch_execnz .LBB7_1459
.LBB7_1440:
	v_mov_b32_e32 v3, 2
	v_cmp_lt_i16_sdwa s[4:5], s20, v3 src0_sel:BYTE_0 src1_sel:DWORD
	s_and_b64 vcc, exec, s[4:5]
	s_cbranch_vccnz .LBB7_1444
; %bb.1441:
	v_mov_b32_e32 v3, 3
	v_cmp_lt_i16_sdwa s[4:5], s20, v3 src0_sel:BYTE_0 src1_sel:DWORD
	s_and_b64 vcc, exec, s[4:5]
	s_cbranch_vccnz .LBB7_1445
; %bb.1442:
	v_cmp_gt_i16_sdwa s[4:5], s20, v3 src0_sel:BYTE_0 src1_sel:DWORD
	s_and_b64 vcc, exec, s[4:5]
	s_cbranch_vccz .LBB7_1446
; %bb.1443:
	global_load_dwordx2 v[16:17], v[4:5], off
	s_mov_b64 s[4:5], 0
	s_waitcnt vmcnt(0)
	v_cvt_f64_i32_e32 v[18:19], v17
	v_cvt_f64_u32_e32 v[16:17], v16
	v_ldexp_f64 v[18:19], v[18:19], 32
	v_add_f64 v[16:17], v[18:19], v[16:17]
	s_branch .LBB7_1447
.LBB7_1444:
	s_mov_b64 s[4:5], -1
                                        ; implicit-def: $vgpr16_vgpr17
	s_branch .LBB7_1453
.LBB7_1445:
	s_mov_b64 s[4:5], -1
                                        ; implicit-def: $vgpr16_vgpr17
	s_branch .LBB7_1450
.LBB7_1446:
	s_mov_b64 s[4:5], -1
                                        ; implicit-def: $vgpr16_vgpr17
.LBB7_1447:
	s_andn2_b64 vcc, exec, s[4:5]
	s_cbranch_vccnz .LBB7_1449
; %bb.1448:
	global_load_dword v3, v[4:5], off
	s_waitcnt vmcnt(0)
	v_cvt_f64_i32_e32 v[16:17], v3
.LBB7_1449:
	s_mov_b64 s[4:5], 0
.LBB7_1450:
	s_andn2_b64 vcc, exec, s[4:5]
	s_cbranch_vccnz .LBB7_1452
; %bb.1451:
	global_load_sshort v3, v[4:5], off
	s_waitcnt vmcnt(0)
	v_cvt_f64_i32_e32 v[16:17], v3
.LBB7_1452:
	s_mov_b64 s[4:5], 0
.LBB7_1453:
	s_andn2_b64 vcc, exec, s[4:5]
	s_cbranch_vccnz .LBB7_1459
; %bb.1454:
	v_mov_b32_e32 v3, 0
	v_cmp_gt_i16_sdwa s[4:5], s20, v3 src0_sel:BYTE_0 src1_sel:DWORD
	s_and_b64 vcc, exec, s[4:5]
	s_cbranch_vccz .LBB7_1456
; %bb.1455:
	global_load_sbyte v3, v[4:5], off
	s_mov_b64 s[4:5], 0
	s_waitcnt vmcnt(0)
	v_cvt_f64_i32_e32 v[16:17], v3
	s_branch .LBB7_1457
.LBB7_1456:
	s_mov_b64 s[4:5], -1
                                        ; implicit-def: $vgpr16_vgpr17
.LBB7_1457:
	s_andn2_b64 vcc, exec, s[4:5]
	s_cbranch_vccnz .LBB7_1459
; %bb.1458:
	global_load_ubyte v3, v[4:5], off
	s_waitcnt vmcnt(0)
	v_cvt_f64_u32_e32 v[16:17], v3
.LBB7_1459:
.LBB7_1460:
	s_waitcnt vmcnt(0)
	v_trunc_f64_e32 v[4:5], v[16:17]
	s_movk_i32 s4, 0xffe0
	v_ldexp_f64 v[16:17], v[4:5], s4
	v_floor_f64_e32 v[18:19], v[16:17]
	v_fmac_f64_e32 v[4:5], 0xc1f00000, v[18:19]
	v_cvt_i32_f64_e32 v17, v[18:19]
	v_cvt_u32_f64_e32 v16, v[4:5]
	v_cmp_lt_i64_e32 vcc, -1, v[16:17]
	v_pk_mov_b32 v[4:5], 0, 0
	s_and_saveexec_b64 s[4:5], vcc
	s_cbranch_execz .LBB7_1472
; %bb.1461:
	v_mov_b32_e32 v4, 0
	v_cmp_lt_i64_e32 vcc, 0, v[16:17]
	v_mov_b32_e32 v5, 0x3ff00000
	s_and_saveexec_b64 s[6:7], vcc
	s_cbranch_execz .LBB7_1471
; %bb.1462:
	v_cmp_ne_u64_e32 vcc, 1, v[16:17]
                                        ; implicit-def: $vgpr4_vgpr5
	s_and_saveexec_b64 s[12:13], vcc
	s_xor_b64 s[12:13], exec, s[12:13]
	s_cbranch_execz .LBB7_1468
; %bb.1463:
	s_mov_b64 s[14:15], 0x201
	v_mov_b32_e32 v4, 0
	v_cmp_gt_u64_e32 vcc, s[14:15], v[16:17]
	v_mov_b32_e32 v5, 0x7ff80000
	s_and_saveexec_b64 s[14:15], vcc
	s_cbranch_execz .LBB7_1467
; %bb.1464:
	v_mov_b32_e32 v18, 0
	s_mov_b64 s[18:19], 1
	s_mov_b64 s[16:17], 0
	s_waitcnt lgkmcnt(0)
	v_pk_mov_b32 v[4:5], s[0:1], s[0:1] op_sel:[0,1]
	v_mov_b32_e32 v19, 0x3ff00000
.LBB7_1465:                             ; =>This Inner Loop Header: Depth=1
	v_cvt_f64_u32_e32 v[20:21], s19
	v_cvt_f64_u32_e32 v[22:23], s18
	s_add_u32 s18, s18, 1
	v_ldexp_f64 v[20:21], v[20:21], 32
	s_addc_u32 s19, s19, 0
	v_add_f64 v[20:21], v[20:21], v[22:23]
	v_cmp_eq_u64_e32 vcc, s[18:19], v[16:17]
	v_mul_f64 v[20:21], v[18:19], v[20:21]
	s_or_b64 s[16:17], vcc, s[16:17]
	v_pk_mov_b32 v[18:19], v[4:5], v[4:5] op_sel:[0,1]
	v_fma_f64 v[4:5], s[0:1], v[4:5], -v[20:21]
	s_andn2_b64 exec, exec, s[16:17]
	s_cbranch_execnz .LBB7_1465
; %bb.1466:
	s_or_b64 exec, exec, s[16:17]
.LBB7_1467:
	s_or_b64 exec, exec, s[14:15]
.LBB7_1468:
	s_andn2_saveexec_b64 s[12:13], s[12:13]
	s_cbranch_execz .LBB7_1470
; %bb.1469:
	s_waitcnt lgkmcnt(0)
	v_pk_mov_b32 v[4:5], s[0:1], s[0:1] op_sel:[0,1]
.LBB7_1470:
	s_or_b64 exec, exec, s[12:13]
.LBB7_1471:
	s_or_b64 exec, exec, s[6:7]
.LBB7_1472:
	s_or_b64 exec, exec, s[4:5]
	v_mov_b32_e32 v3, s11
	v_add_co_u32_e32 v8, vcc, s10, v8
	v_addc_co_u32_e32 v9, vcc, 0, v3, vcc
	v_mov_b32_e32 v3, 11
	v_cmp_lt_i16_sdwa s[4:5], s20, v3 src0_sel:BYTE_0 src1_sel:DWORD
	s_and_b64 vcc, exec, s[4:5]
	s_cbranch_vccnz .LBB7_1479
; %bb.1473:
	v_mov_b32_e32 v3, 25
	v_cmp_gt_i16_sdwa s[4:5], s20, v3 src0_sel:BYTE_0 src1_sel:DWORD
	s_mov_b64 s[6:7], 0
	s_and_b64 vcc, exec, s[4:5]
	s_cbranch_vccz .LBB7_1481
; %bb.1474:
	v_mov_b32_e32 v3, 28
	v_cmp_gt_i16_sdwa s[4:5], s20, v3 src0_sel:BYTE_0 src1_sel:DWORD
	s_and_b64 vcc, exec, s[4:5]
	s_cbranch_vccz .LBB7_1482
; %bb.1475:
	v_mov_b32_e32 v3, 43
	v_cmp_gt_i16_sdwa s[4:5], s20, v3 src0_sel:BYTE_0 src1_sel:DWORD
	;; [unrolled: 5-line block ×3, first 2 shown]
	s_and_b64 vcc, exec, s[4:5]
	s_cbranch_vccz .LBB7_1485
; %bb.1477:
	v_mov_b32_e32 v3, 46
	v_cmp_eq_u16_sdwa s[4:5], s20, v3 src0_sel:BYTE_0 src1_sel:DWORD
	s_mov_b64 s[14:15], 0
	s_and_b64 vcc, exec, s[4:5]
	s_cbranch_vccz .LBB7_1486
; %bb.1478:
	global_load_dword v3, v[8:9], off
	s_mov_b64 s[4:5], 0
	s_mov_b64 s[12:13], -1
	s_waitcnt vmcnt(0)
	v_lshlrev_b32_e32 v3, 16, v3
	v_cvt_f64_f32_e32 v[16:17], v3
	s_branch .LBB7_1487
.LBB7_1479:
	s_mov_b64 s[12:13], 0
                                        ; implicit-def: $vgpr16_vgpr17
	s_cbranch_execnz .LBB7_1553
.LBB7_1480:
	s_andn2_b64 vcc, exec, s[12:13]
	s_cbranch_vccnz .LBB7_1762
	s_branch .LBB7_1601
.LBB7_1481:
	s_mov_b64 s[14:15], -1
	s_mov_b64 s[12:13], 0
	s_mov_b64 s[4:5], 0
                                        ; implicit-def: $vgpr16_vgpr17
	s_branch .LBB7_1516
.LBB7_1482:
	s_mov_b64 s[14:15], -1
	s_mov_b64 s[12:13], 0
	s_mov_b64 s[4:5], 0
                                        ; implicit-def: $vgpr16_vgpr17
	s_branch .LBB7_1497
.LBB7_1483:
	s_mov_b64 s[14:15], -1
	s_mov_b64 s[12:13], 0
	s_mov_b64 s[4:5], 0
                                        ; implicit-def: $vgpr16_vgpr17
	s_branch .LBB7_1492
.LBB7_1484:
	s_trap 2
	s_or_b64 s[2:3], s[2:3], exec
                                        ; implicit-def: $vgpr16_vgpr17
	s_cbranch_execz .LBB7_1411
	s_branch .LBB7_1412
.LBB7_1485:
	s_mov_b64 s[14:15], -1
	s_mov_b64 s[12:13], 0
	s_mov_b64 s[4:5], 0
                                        ; implicit-def: $vgpr16_vgpr17
	s_branch .LBB7_1487
.LBB7_1486:
	s_mov_b64 s[4:5], -1
                                        ; implicit-def: $vgpr16_vgpr17
	s_mov_b64 s[12:13], 0
.LBB7_1487:
	s_and_b64 vcc, exec, s[14:15]
	s_cbranch_vccz .LBB7_1491
; %bb.1488:
	v_mov_b32_e32 v3, 44
	v_cmp_eq_u16_sdwa s[4:5], s20, v3 src0_sel:BYTE_0 src1_sel:DWORD
	s_and_b64 vcc, exec, s[4:5]
	s_cbranch_vccz .LBB7_1490
; %bb.1489:
	global_load_ubyte v3, v[8:9], off
	s_movk_i32 s12, 0xff
	v_bfrev_b32_e32 v7, 4
	v_mov_b32_e32 v11, 0x7ff80000
	v_bfrev_b32_e32 v13, 28
	s_mov_b64 s[4:5], 0
	s_waitcnt vmcnt(0)
	v_lshlrev_b32_e32 v15, 23, v3
	v_cvt_f64_f32_e32 v[16:17], v15
	v_cmp_ne_u32_e32 vcc, s12, v3
	v_cndmask_b32_e32 v7, v7, v16, vcc
	v_cndmask_b32_e32 v11, v11, v17, vcc
	v_cmp_ne_u32_e32 vcc, 0, v3
	v_cndmask_b32_e32 v17, v13, v11, vcc
	v_cndmask_b32_e32 v16, 0, v7, vcc
	s_mov_b64 s[12:13], -1
	s_branch .LBB7_1491
.LBB7_1490:
	s_mov_b64 s[4:5], -1
                                        ; implicit-def: $vgpr16_vgpr17
.LBB7_1491:
	s_mov_b64 s[14:15], 0
.LBB7_1492:
	s_and_b64 vcc, exec, s[14:15]
	s_cbranch_vccz .LBB7_1496
; %bb.1493:
	v_mov_b32_e32 v3, 29
	v_cmp_eq_u16_sdwa s[4:5], s20, v3 src0_sel:BYTE_0 src1_sel:DWORD
	s_and_b64 vcc, exec, s[4:5]
	s_cbranch_vccz .LBB7_1495
; %bb.1494:
	global_load_dwordx2 v[16:17], v[8:9], off
	s_mov_b64 s[4:5], 0
	s_mov_b64 s[12:13], -1
	s_mov_b64 s[14:15], 0
	s_waitcnt vmcnt(0)
	v_cvt_f64_u32_e32 v[18:19], v17
	v_cvt_f64_u32_e32 v[16:17], v16
	v_ldexp_f64 v[18:19], v[18:19], 32
	v_add_f64 v[16:17], v[18:19], v[16:17]
	s_branch .LBB7_1497
.LBB7_1495:
	s_mov_b64 s[4:5], -1
                                        ; implicit-def: $vgpr16_vgpr17
.LBB7_1496:
	s_mov_b64 s[14:15], 0
.LBB7_1497:
	s_and_b64 vcc, exec, s[14:15]
	s_cbranch_vccz .LBB7_1515
; %bb.1498:
	v_mov_b32_e32 v3, 27
	v_cmp_lt_i16_sdwa s[12:13], s20, v3 src0_sel:BYTE_0 src1_sel:DWORD
	s_and_b64 vcc, exec, s[12:13]
	s_cbranch_vccnz .LBB7_1501
; %bb.1499:
	v_cmp_gt_i16_sdwa s[12:13], s20, v3 src0_sel:BYTE_0 src1_sel:DWORD
	s_and_b64 vcc, exec, s[12:13]
	s_cbranch_vccz .LBB7_1502
; %bb.1500:
	global_load_dword v3, v[8:9], off
	s_mov_b64 s[12:13], 0
	s_waitcnt vmcnt(0)
	v_cvt_f64_u32_e32 v[16:17], v3
	s_branch .LBB7_1503
.LBB7_1501:
	s_mov_b64 s[12:13], -1
                                        ; implicit-def: $vgpr16_vgpr17
	s_branch .LBB7_1506
.LBB7_1502:
	s_mov_b64 s[12:13], -1
                                        ; implicit-def: $vgpr16_vgpr17
.LBB7_1503:
	s_andn2_b64 vcc, exec, s[12:13]
	s_cbranch_vccnz .LBB7_1505
; %bb.1504:
	global_load_ushort v3, v[8:9], off
	s_waitcnt vmcnt(0)
	v_cvt_f64_u32_e32 v[16:17], v3
.LBB7_1505:
	s_mov_b64 s[12:13], 0
.LBB7_1506:
	s_andn2_b64 vcc, exec, s[12:13]
	s_cbranch_vccnz .LBB7_1514
; %bb.1507:
	global_load_ubyte v3, v[8:9], off
	s_movk_i32 s12, 0x7f
                                        ; implicit-def: $sgpr14_sgpr15
	s_waitcnt vmcnt(0)
	v_cmp_lt_i16_e32 vcc, s12, v3
	s_mov_b64 s[12:13], 0
	s_and_saveexec_b64 s[16:17], vcc
	s_xor_b64 s[16:17], exec, s[16:17]
	s_cbranch_execz .LBB7_1528
; %bb.1508:
	s_movk_i32 s12, 0x80
	v_cmp_eq_u16_e32 vcc, s12, v3
	s_mov_b64 s[18:19], -1
                                        ; implicit-def: $sgpr14_sgpr15
	s_and_saveexec_b64 s[12:13], vcc
; %bb.1509:
	s_mov_b32 s15, 0x7ff80000
	s_brev_b32 s14, 4
	s_xor_b64 s[18:19], exec, -1
; %bb.1510:
	s_or_b64 exec, exec, s[12:13]
	s_and_b64 s[12:13], s[18:19], exec
	s_or_saveexec_b64 s[16:17], s[16:17]
	v_pk_mov_b32 v[16:17], s[14:15], s[14:15] op_sel:[0,1]
	s_xor_b64 exec, exec, s[16:17]
	s_cbranch_execnz .LBB7_1529
.LBB7_1511:
	s_or_b64 exec, exec, s[16:17]
	s_and_saveexec_b64 s[14:15], s[12:13]
	s_cbranch_execz .LBB7_1513
.LBB7_1512:
	v_lshlrev_b32_e32 v7, 24, v3
	v_and_b32_e32 v3, 0xffff, v3
	v_and_b32_e32 v11, 7, v3
	v_ffbh_u32_e32 v15, v11
	v_min_u32_e32 v15, 32, v15
	v_subrev_u32_e32 v16, 28, v15
	v_bfe_u32 v13, v3, 3, 4
	v_lshlrev_b32_e32 v3, v16, v3
	v_sub_u32_e32 v15, 29, v15
	v_and_b32_e32 v3, 7, v3
	v_cmp_eq_u32_e32 vcc, 0, v13
	v_cndmask_b32_e32 v13, v13, v15, vcc
	v_cndmask_b32_e32 v3, v11, v3, vcc
	v_mov_b32_e32 v11, 0x3b800000
	v_lshlrev_b32_e32 v3, 20, v3
	v_and_b32_e32 v7, 0x80000000, v7
	v_lshl_add_u32 v11, v13, 23, v11
	v_or3_b32 v3, v7, v11, v3
	v_cvt_f64_f32_e32 v[16:17], v3
.LBB7_1513:
	s_or_b64 exec, exec, s[14:15]
.LBB7_1514:
	s_mov_b64 s[12:13], -1
.LBB7_1515:
	s_mov_b64 s[14:15], 0
.LBB7_1516:
	s_and_b64 vcc, exec, s[14:15]
	s_cbranch_vccz .LBB7_1549
; %bb.1517:
	v_mov_b32_e32 v3, 22
	v_cmp_gt_i16_sdwa s[6:7], s20, v3 src0_sel:BYTE_0 src1_sel:DWORD
	s_and_b64 vcc, exec, s[6:7]
	s_cbranch_vccz .LBB7_1527
; %bb.1518:
	v_mov_b32_e32 v3, 24
	v_cmp_lt_i16_sdwa s[6:7], s20, v3 src0_sel:BYTE_0 src1_sel:DWORD
	s_and_b64 vcc, exec, s[6:7]
	s_cbranch_vccnz .LBB7_1530
; %bb.1519:
	v_cmp_gt_i16_sdwa s[6:7], s20, v3 src0_sel:BYTE_0 src1_sel:DWORD
	s_and_b64 vcc, exec, s[6:7]
	s_cbranch_vccz .LBB7_1531
; %bb.1520:
	global_load_ubyte v3, v[8:9], off
	s_movk_i32 s6, 0x7f
                                        ; implicit-def: $sgpr12_sgpr13
	s_waitcnt vmcnt(0)
	v_cmp_lt_i16_e32 vcc, s6, v3
	s_mov_b64 s[6:7], 0
	s_and_saveexec_b64 s[14:15], vcc
	s_xor_b64 s[14:15], exec, s[14:15]
	s_cbranch_execz .LBB7_1543
; %bb.1521:
	s_movk_i32 s6, 0x80
	v_cmp_eq_u16_e32 vcc, s6, v3
	s_mov_b64 s[16:17], -1
                                        ; implicit-def: $sgpr12_sgpr13
	s_and_saveexec_b64 s[6:7], vcc
; %bb.1522:
	s_mov_b32 s13, 0x7ff80000
	s_brev_b32 s12, 4
	s_xor_b64 s[16:17], exec, -1
; %bb.1523:
	s_or_b64 exec, exec, s[6:7]
	s_and_b64 s[6:7], s[16:17], exec
	s_or_saveexec_b64 s[14:15], s[14:15]
	v_pk_mov_b32 v[16:17], s[12:13], s[12:13] op_sel:[0,1]
	s_xor_b64 exec, exec, s[14:15]
	s_cbranch_execnz .LBB7_1544
.LBB7_1524:
	s_or_b64 exec, exec, s[14:15]
	s_and_saveexec_b64 s[12:13], s[6:7]
	s_cbranch_execz .LBB7_1526
.LBB7_1525:
	v_lshlrev_b32_e32 v7, 24, v3
	v_and_b32_e32 v3, 0xffff, v3
	v_and_b32_e32 v11, 3, v3
	v_ffbh_u32_e32 v15, v11
	v_min_u32_e32 v15, 32, v15
	v_subrev_u32_e32 v16, 29, v15
	v_bfe_u32 v13, v3, 2, 5
	v_lshlrev_b32_e32 v3, v16, v3
	v_sub_u32_e32 v15, 30, v15
	v_and_b32_e32 v3, 3, v3
	v_cmp_eq_u32_e32 vcc, 0, v13
	v_cndmask_b32_e32 v13, v13, v15, vcc
	v_cndmask_b32_e32 v3, v11, v3, vcc
	v_mov_b32_e32 v11, 0x37800000
	v_lshlrev_b32_e32 v3, 21, v3
	v_and_b32_e32 v7, 0x80000000, v7
	v_lshl_add_u32 v11, v13, 23, v11
	v_or3_b32 v3, v7, v11, v3
	v_cvt_f64_f32_e32 v[16:17], v3
.LBB7_1526:
	s_or_b64 exec, exec, s[12:13]
	s_mov_b64 s[6:7], 0
	s_branch .LBB7_1532
.LBB7_1527:
	s_mov_b64 s[6:7], -1
                                        ; implicit-def: $vgpr16_vgpr17
	s_branch .LBB7_1538
.LBB7_1528:
	s_or_saveexec_b64 s[16:17], s[16:17]
	v_pk_mov_b32 v[16:17], s[14:15], s[14:15] op_sel:[0,1]
	s_xor_b64 exec, exec, s[16:17]
	s_cbranch_execz .LBB7_1511
.LBB7_1529:
	v_cmp_ne_u16_e32 vcc, 0, v3
	s_andn2_b64 s[12:13], s[12:13], exec
	s_and_b64 s[14:15], vcc, exec
	v_pk_mov_b32 v[16:17], 0, 0
	s_or_b64 s[12:13], s[12:13], s[14:15]
	s_or_b64 exec, exec, s[16:17]
	s_and_saveexec_b64 s[14:15], s[12:13]
	s_cbranch_execnz .LBB7_1512
	s_branch .LBB7_1513
.LBB7_1530:
	s_mov_b64 s[6:7], -1
                                        ; implicit-def: $vgpr16_vgpr17
	s_branch .LBB7_1535
.LBB7_1531:
	s_mov_b64 s[6:7], -1
                                        ; implicit-def: $vgpr16_vgpr17
.LBB7_1532:
	s_and_b64 vcc, exec, s[6:7]
	s_cbranch_vccz .LBB7_1534
; %bb.1533:
	global_load_ubyte v3, v[8:9], off
	s_mov_b32 s6, 0x7f800000
	s_waitcnt vmcnt(0)
	v_lshlrev_b32_e32 v3, 24, v3
	v_and_b32_e32 v7, 0x7f000000, v3
	v_ffbh_u32_e32 v11, v7
	v_min_u32_e32 v11, 32, v11
	v_sub_u32_e64 v11, v11, 4 clamp
	v_lshlrev_b32_e32 v15, v11, v7
	v_lshlrev_b32_e32 v11, 23, v11
	v_lshrrev_b32_e32 v15, 4, v15
	v_add_u32_e32 v13, 0x1000000, v7
	v_sub_u32_e32 v11, v15, v11
	v_ashrrev_i32_e32 v13, 8, v13
	v_add_u32_e32 v11, 0x3c000000, v11
	v_and_or_b32 v11, v13, s6, v11
	v_cmp_ne_u32_e32 vcc, 0, v7
	v_cndmask_b32_e32 v7, 0, v11, vcc
	s_brev_b32 s6, 1
	v_and_or_b32 v3, v3, s6, v7
	v_cvt_f64_f32_e32 v[16:17], v3
.LBB7_1534:
	s_mov_b64 s[6:7], 0
.LBB7_1535:
	s_andn2_b64 vcc, exec, s[6:7]
	s_cbranch_vccnz .LBB7_1537
; %bb.1536:
	global_load_ubyte v3, v[8:9], off
	s_movk_i32 s6, 0x7f00
	s_brev_b32 s7, 16
	s_waitcnt vmcnt(0)
	v_lshlrev_b16_e32 v7, 8, v3
	v_lshlrev_b32_e32 v3, 25, v3
	v_lshrrev_b32_e32 v11, 4, v3
	v_and_or_b32 v13, v7, s6, 0.5
	v_or_b32_e32 v11, 0x70000000, v11
	v_add_f32_e32 v13, -0.5, v13
	v_mul_f32_e32 v11, 0x7800000, v11
	v_cmp_gt_u32_e32 vcc, s7, v3
	v_bfe_i32 v7, v7, 0, 16
	v_cndmask_b32_e32 v3, v11, v13, vcc
	s_brev_b32 s6, 1
	v_and_or_b32 v3, v7, s6, v3
	v_cvt_f64_f32_e32 v[16:17], v3
.LBB7_1537:
	s_mov_b64 s[6:7], 0
	s_mov_b64 s[12:13], -1
.LBB7_1538:
	s_andn2_b64 vcc, exec, s[6:7]
	s_mov_b64 s[6:7], 0
	s_cbranch_vccnz .LBB7_1549
; %bb.1539:
	v_mov_b32_e32 v3, 14
	v_cmp_gt_i16_sdwa s[6:7], s20, v3 src0_sel:BYTE_0 src1_sel:DWORD
	s_and_b64 vcc, exec, s[6:7]
	s_cbranch_vccz .LBB7_1542
; %bb.1540:
	v_mov_b32_e32 v3, 15
	v_cmp_eq_u16_sdwa s[4:5], s20, v3 src0_sel:BYTE_0 src1_sel:DWORD
	s_and_b64 vcc, exec, s[4:5]
	s_cbranch_vccz .LBB7_1545
; %bb.1541:
	global_load_ushort v3, v[8:9], off
	s_mov_b64 s[4:5], 0
	s_mov_b64 s[12:13], -1
	s_waitcnt vmcnt(0)
	v_lshlrev_b32_e32 v3, 16, v3
	v_cvt_f64_f32_e32 v[16:17], v3
	s_branch .LBB7_1546
.LBB7_1542:
	s_mov_b64 s[14:15], -1
                                        ; implicit-def: $vgpr16_vgpr17
	s_branch .LBB7_1547
.LBB7_1543:
	s_or_saveexec_b64 s[14:15], s[14:15]
	v_pk_mov_b32 v[16:17], s[12:13], s[12:13] op_sel:[0,1]
	s_xor_b64 exec, exec, s[14:15]
	s_cbranch_execz .LBB7_1524
.LBB7_1544:
	v_cmp_ne_u16_e32 vcc, 0, v3
	s_andn2_b64 s[6:7], s[6:7], exec
	s_and_b64 s[12:13], vcc, exec
	v_pk_mov_b32 v[16:17], 0, 0
	s_or_b64 s[6:7], s[6:7], s[12:13]
	s_or_b64 exec, exec, s[14:15]
	s_and_saveexec_b64 s[12:13], s[6:7]
	s_cbranch_execnz .LBB7_1525
	s_branch .LBB7_1526
.LBB7_1545:
	s_mov_b64 s[4:5], -1
                                        ; implicit-def: $vgpr16_vgpr17
.LBB7_1546:
	s_mov_b64 s[14:15], 0
.LBB7_1547:
	s_mov_b64 s[6:7], 0
	s_and_b64 vcc, exec, s[14:15]
	s_cbranch_vccz .LBB7_1549
; %bb.1548:
	v_mov_b32_e32 v3, 11
	v_cmp_ne_u16_sdwa s[4:5], s20, v3 src0_sel:BYTE_0 src1_sel:DWORD
	s_mov_b64 s[6:7], -1
                                        ; implicit-def: $vgpr16_vgpr17
.LBB7_1549:
	s_and_b64 vcc, exec, s[4:5]
	s_cbranch_vccnz .LBB7_1624
; %bb.1550:
	s_andn2_b64 vcc, exec, s[6:7]
	s_cbranch_vccnz .LBB7_1552
.LBB7_1551:
	global_load_ubyte v3, v[8:9], off
	v_mov_b32_e32 v7, 0x3ff00000
	v_mov_b32_e32 v16, 0
	s_mov_b64 s[12:13], -1
	s_waitcnt vmcnt(0)
	v_cmp_ne_u16_e32 vcc, 0, v3
	v_cndmask_b32_e32 v17, 0, v7, vcc
.LBB7_1552:
	s_branch .LBB7_1480
.LBB7_1553:
	v_mov_b32_e32 v3, 5
	v_cmp_lt_i16_sdwa s[4:5], s20, v3 src0_sel:BYTE_0 src1_sel:DWORD
	s_and_b64 vcc, exec, s[4:5]
	s_cbranch_vccnz .LBB7_1558
; %bb.1554:
	v_mov_b32_e32 v3, 8
	v_cmp_lt_i16_sdwa s[4:5], s20, v3 src0_sel:BYTE_0 src1_sel:DWORD
	s_and_b64 vcc, exec, s[4:5]
	s_cbranch_vccnz .LBB7_1559
; %bb.1555:
	;; [unrolled: 5-line block ×3, first 2 shown]
	v_cmp_gt_i16_sdwa s[4:5], s20, v3 src0_sel:BYTE_0 src1_sel:DWORD
	s_and_b64 vcc, exec, s[4:5]
	s_cbranch_vccz .LBB7_1561
; %bb.1557:
	global_load_dwordx2 v[16:17], v[8:9], off
	s_mov_b64 s[4:5], 0
	s_branch .LBB7_1562
.LBB7_1558:
	s_mov_b64 s[4:5], -1
                                        ; implicit-def: $vgpr16_vgpr17
	s_branch .LBB7_1580
.LBB7_1559:
	s_mov_b64 s[4:5], -1
                                        ; implicit-def: $vgpr16_vgpr17
	s_branch .LBB7_1568
.LBB7_1560:
	s_mov_b64 s[4:5], -1
                                        ; implicit-def: $vgpr16_vgpr17
	s_branch .LBB7_1565
.LBB7_1561:
	s_mov_b64 s[4:5], -1
                                        ; implicit-def: $vgpr16_vgpr17
.LBB7_1562:
	s_andn2_b64 vcc, exec, s[4:5]
	s_cbranch_vccnz .LBB7_1564
; %bb.1563:
	global_load_dword v3, v[8:9], off
	s_waitcnt vmcnt(0)
	v_cvt_f64_f32_e32 v[16:17], v3
.LBB7_1564:
	s_mov_b64 s[4:5], 0
.LBB7_1565:
	s_andn2_b64 vcc, exec, s[4:5]
	s_cbranch_vccnz .LBB7_1567
; %bb.1566:
	global_load_dword v3, v[8:9], off
	s_waitcnt vmcnt(0)
	v_cvt_f32_f16_e32 v3, v3
	v_cvt_f64_f32_e32 v[16:17], v3
.LBB7_1567:
	s_mov_b64 s[4:5], 0
.LBB7_1568:
	s_andn2_b64 vcc, exec, s[4:5]
	s_cbranch_vccnz .LBB7_1579
; %bb.1569:
	v_mov_b32_e32 v3, 6
	v_cmp_lt_i16_sdwa s[4:5], s20, v3 src0_sel:BYTE_0 src1_sel:DWORD
	s_and_b64 vcc, exec, s[4:5]
	s_cbranch_vccnz .LBB7_1572
; %bb.1570:
	v_cmp_gt_i16_sdwa s[4:5], s20, v3 src0_sel:BYTE_0 src1_sel:DWORD
	s_and_b64 vcc, exec, s[4:5]
	s_cbranch_vccz .LBB7_1573
; %bb.1571:
	global_load_dwordx2 v[16:17], v[8:9], off
	s_mov_b64 s[4:5], 0
	s_branch .LBB7_1574
.LBB7_1572:
	s_mov_b64 s[4:5], -1
                                        ; implicit-def: $vgpr16_vgpr17
	s_branch .LBB7_1577
.LBB7_1573:
	s_mov_b64 s[4:5], -1
                                        ; implicit-def: $vgpr16_vgpr17
.LBB7_1574:
	s_andn2_b64 vcc, exec, s[4:5]
	s_cbranch_vccnz .LBB7_1576
; %bb.1575:
	global_load_dword v3, v[8:9], off
	s_waitcnt vmcnt(0)
	v_cvt_f64_f32_e32 v[16:17], v3
.LBB7_1576:
	s_mov_b64 s[4:5], 0
.LBB7_1577:
	s_andn2_b64 vcc, exec, s[4:5]
	s_cbranch_vccnz .LBB7_1579
; %bb.1578:
	global_load_ushort v3, v[8:9], off
	s_waitcnt vmcnt(0)
	v_cvt_f32_f16_e32 v3, v3
	v_cvt_f64_f32_e32 v[16:17], v3
.LBB7_1579:
	s_mov_b64 s[4:5], 0
.LBB7_1580:
	s_andn2_b64 vcc, exec, s[4:5]
	s_cbranch_vccnz .LBB7_1600
; %bb.1581:
	v_mov_b32_e32 v3, 2
	v_cmp_lt_i16_sdwa s[4:5], s20, v3 src0_sel:BYTE_0 src1_sel:DWORD
	s_and_b64 vcc, exec, s[4:5]
	s_cbranch_vccnz .LBB7_1585
; %bb.1582:
	v_mov_b32_e32 v3, 3
	v_cmp_lt_i16_sdwa s[4:5], s20, v3 src0_sel:BYTE_0 src1_sel:DWORD
	s_and_b64 vcc, exec, s[4:5]
	s_cbranch_vccnz .LBB7_1586
; %bb.1583:
	v_cmp_gt_i16_sdwa s[4:5], s20, v3 src0_sel:BYTE_0 src1_sel:DWORD
	s_and_b64 vcc, exec, s[4:5]
	s_cbranch_vccz .LBB7_1587
; %bb.1584:
	global_load_dwordx2 v[16:17], v[8:9], off
	s_mov_b64 s[4:5], 0
	s_waitcnt vmcnt(0)
	v_cvt_f64_i32_e32 v[18:19], v17
	v_cvt_f64_u32_e32 v[16:17], v16
	v_ldexp_f64 v[18:19], v[18:19], 32
	v_add_f64 v[16:17], v[18:19], v[16:17]
	s_branch .LBB7_1588
.LBB7_1585:
	s_mov_b64 s[4:5], -1
                                        ; implicit-def: $vgpr16_vgpr17
	s_branch .LBB7_1594
.LBB7_1586:
	s_mov_b64 s[4:5], -1
                                        ; implicit-def: $vgpr16_vgpr17
	s_branch .LBB7_1591
.LBB7_1587:
	s_mov_b64 s[4:5], -1
                                        ; implicit-def: $vgpr16_vgpr17
.LBB7_1588:
	s_andn2_b64 vcc, exec, s[4:5]
	s_cbranch_vccnz .LBB7_1590
; %bb.1589:
	global_load_dword v3, v[8:9], off
	s_waitcnt vmcnt(0)
	v_cvt_f64_i32_e32 v[16:17], v3
.LBB7_1590:
	s_mov_b64 s[4:5], 0
.LBB7_1591:
	s_andn2_b64 vcc, exec, s[4:5]
	s_cbranch_vccnz .LBB7_1593
; %bb.1592:
	global_load_sshort v3, v[8:9], off
	s_waitcnt vmcnt(0)
	v_cvt_f64_i32_e32 v[16:17], v3
.LBB7_1593:
	s_mov_b64 s[4:5], 0
.LBB7_1594:
	s_andn2_b64 vcc, exec, s[4:5]
	s_cbranch_vccnz .LBB7_1600
; %bb.1595:
	v_mov_b32_e32 v3, 0
	v_cmp_gt_i16_sdwa s[4:5], s20, v3 src0_sel:BYTE_0 src1_sel:DWORD
	s_and_b64 vcc, exec, s[4:5]
	s_cbranch_vccz .LBB7_1597
; %bb.1596:
	global_load_sbyte v3, v[8:9], off
	s_mov_b64 s[4:5], 0
	s_waitcnt vmcnt(0)
	v_cvt_f64_i32_e32 v[16:17], v3
	s_branch .LBB7_1598
.LBB7_1597:
	s_mov_b64 s[4:5], -1
                                        ; implicit-def: $vgpr16_vgpr17
.LBB7_1598:
	s_andn2_b64 vcc, exec, s[4:5]
	s_cbranch_vccnz .LBB7_1600
; %bb.1599:
	global_load_ubyte v3, v[8:9], off
	s_waitcnt vmcnt(0)
	v_cvt_f64_u32_e32 v[16:17], v3
.LBB7_1600:
.LBB7_1601:
	s_waitcnt vmcnt(0)
	v_trunc_f64_e32 v[8:9], v[16:17]
	s_movk_i32 s4, 0xffe0
	v_ldexp_f64 v[16:17], v[8:9], s4
	v_floor_f64_e32 v[18:19], v[16:17]
	v_fmac_f64_e32 v[8:9], 0xc1f00000, v[18:19]
	v_cvt_i32_f64_e32 v17, v[18:19]
	v_cvt_u32_f64_e32 v16, v[8:9]
	v_cmp_lt_i64_e32 vcc, -1, v[16:17]
	v_pk_mov_b32 v[8:9], 0, 0
	s_and_saveexec_b64 s[4:5], vcc
	s_cbranch_execz .LBB7_1613
; %bb.1602:
	v_mov_b32_e32 v8, 0
	v_cmp_lt_i64_e32 vcc, 0, v[16:17]
	v_mov_b32_e32 v9, 0x3ff00000
	s_and_saveexec_b64 s[6:7], vcc
	s_cbranch_execz .LBB7_1612
; %bb.1603:
	v_cmp_ne_u64_e32 vcc, 1, v[16:17]
                                        ; implicit-def: $vgpr8_vgpr9
	s_and_saveexec_b64 s[12:13], vcc
	s_xor_b64 s[12:13], exec, s[12:13]
	s_cbranch_execz .LBB7_1609
; %bb.1604:
	s_mov_b64 s[14:15], 0x201
	v_mov_b32_e32 v8, 0
	v_cmp_gt_u64_e32 vcc, s[14:15], v[16:17]
	v_mov_b32_e32 v9, 0x7ff80000
	s_and_saveexec_b64 s[14:15], vcc
	s_cbranch_execz .LBB7_1608
; %bb.1605:
	v_mov_b32_e32 v18, 0
	s_mov_b64 s[18:19], 1
	s_mov_b64 s[16:17], 0
	s_waitcnt lgkmcnt(0)
	v_pk_mov_b32 v[8:9], s[0:1], s[0:1] op_sel:[0,1]
	v_mov_b32_e32 v19, 0x3ff00000
.LBB7_1606:                             ; =>This Inner Loop Header: Depth=1
	v_cvt_f64_u32_e32 v[20:21], s19
	v_cvt_f64_u32_e32 v[22:23], s18
	s_add_u32 s18, s18, 1
	v_ldexp_f64 v[20:21], v[20:21], 32
	s_addc_u32 s19, s19, 0
	v_add_f64 v[20:21], v[20:21], v[22:23]
	v_cmp_eq_u64_e32 vcc, s[18:19], v[16:17]
	v_mul_f64 v[20:21], v[18:19], v[20:21]
	s_or_b64 s[16:17], vcc, s[16:17]
	v_pk_mov_b32 v[18:19], v[8:9], v[8:9] op_sel:[0,1]
	v_fma_f64 v[8:9], s[0:1], v[8:9], -v[20:21]
	s_andn2_b64 exec, exec, s[16:17]
	s_cbranch_execnz .LBB7_1606
; %bb.1607:
	s_or_b64 exec, exec, s[16:17]
.LBB7_1608:
	s_or_b64 exec, exec, s[14:15]
.LBB7_1609:
	s_andn2_saveexec_b64 s[12:13], s[12:13]
	s_cbranch_execz .LBB7_1611
; %bb.1610:
	s_waitcnt lgkmcnt(0)
	v_pk_mov_b32 v[8:9], s[0:1], s[0:1] op_sel:[0,1]
.LBB7_1611:
	s_or_b64 exec, exec, s[12:13]
.LBB7_1612:
	s_or_b64 exec, exec, s[6:7]
.LBB7_1613:
	s_or_b64 exec, exec, s[4:5]
	v_mov_b32_e32 v3, s11
	v_add_co_u32_e32 v12, vcc, s10, v12
	v_addc_co_u32_e32 v13, vcc, 0, v3, vcc
	v_mov_b32_e32 v3, 11
	v_cmp_lt_i16_sdwa s[4:5], s20, v3 src0_sel:BYTE_0 src1_sel:DWORD
	s_and_b64 vcc, exec, s[4:5]
	s_cbranch_vccnz .LBB7_1620
; %bb.1614:
	v_mov_b32_e32 v3, 25
	v_cmp_gt_i16_sdwa s[4:5], s20, v3 src0_sel:BYTE_0 src1_sel:DWORD
	s_mov_b64 s[6:7], 0
	s_and_b64 vcc, exec, s[4:5]
	s_cbranch_vccz .LBB7_1621
; %bb.1615:
	v_mov_b32_e32 v3, 28
	v_cmp_gt_i16_sdwa s[4:5], s20, v3 src0_sel:BYTE_0 src1_sel:DWORD
	s_and_b64 vcc, exec, s[4:5]
	s_cbranch_vccz .LBB7_1622
; %bb.1616:
	v_mov_b32_e32 v3, 43
	v_cmp_gt_i16_sdwa s[4:5], s20, v3 src0_sel:BYTE_0 src1_sel:DWORD
	;; [unrolled: 5-line block ×3, first 2 shown]
	s_and_b64 vcc, exec, s[4:5]
	s_cbranch_vccz .LBB7_1625
; %bb.1618:
	v_mov_b32_e32 v3, 46
	v_cmp_eq_u16_sdwa s[4:5], s20, v3 src0_sel:BYTE_0 src1_sel:DWORD
	s_mov_b64 s[12:13], 0
	s_and_b64 vcc, exec, s[4:5]
	s_cbranch_vccz .LBB7_1626
; %bb.1619:
	global_load_dword v3, v[12:13], off
	s_mov_b64 s[4:5], 0
	s_mov_b64 s[10:11], -1
	s_waitcnt vmcnt(0)
	v_lshlrev_b32_e32 v3, 16, v3
	v_cvt_f64_f32_e32 v[16:17], v3
	s_branch .LBB7_1627
.LBB7_1620:
	s_mov_b64 s[4:5], -1
	s_mov_b64 s[10:11], 0
                                        ; implicit-def: $vgpr16_vgpr17
	s_branch .LBB7_1693
.LBB7_1621:
	s_mov_b64 s[12:13], -1
	s_mov_b64 s[10:11], 0
	s_mov_b64 s[4:5], 0
                                        ; implicit-def: $vgpr16_vgpr17
	s_branch .LBB7_1656
.LBB7_1622:
	s_mov_b64 s[12:13], -1
	s_mov_b64 s[10:11], 0
	s_mov_b64 s[4:5], 0
                                        ; implicit-def: $vgpr16_vgpr17
	s_branch .LBB7_1637
.LBB7_1623:
	s_mov_b64 s[12:13], -1
	s_mov_b64 s[10:11], 0
	s_mov_b64 s[4:5], 0
                                        ; implicit-def: $vgpr16_vgpr17
	s_branch .LBB7_1632
.LBB7_1624:
	s_trap 2
	s_or_b64 s[2:3], s[2:3], exec
                                        ; implicit-def: $vgpr16_vgpr17
	s_cbranch_execz .LBB7_1551
	s_branch .LBB7_1552
.LBB7_1625:
	s_mov_b64 s[12:13], -1
	s_mov_b64 s[10:11], 0
	s_mov_b64 s[4:5], 0
                                        ; implicit-def: $vgpr16_vgpr17
	s_branch .LBB7_1627
.LBB7_1626:
	s_mov_b64 s[4:5], -1
                                        ; implicit-def: $vgpr16_vgpr17
	s_mov_b64 s[10:11], 0
.LBB7_1627:
	s_and_b64 vcc, exec, s[12:13]
	s_cbranch_vccz .LBB7_1631
; %bb.1628:
	v_mov_b32_e32 v3, 44
	v_cmp_eq_u16_sdwa s[4:5], s20, v3 src0_sel:BYTE_0 src1_sel:DWORD
	s_and_b64 vcc, exec, s[4:5]
	s_cbranch_vccz .LBB7_1630
; %bb.1629:
	global_load_ubyte v3, v[12:13], off
	s_movk_i32 s10, 0xff
	v_bfrev_b32_e32 v7, 4
	v_mov_b32_e32 v11, 0x7ff80000
	v_bfrev_b32_e32 v15, 28
	s_mov_b64 s[4:5], 0
	s_waitcnt vmcnt(0)
	v_lshlrev_b32_e32 v16, 23, v3
	v_cvt_f64_f32_e32 v[16:17], v16
	v_cmp_ne_u32_e32 vcc, s10, v3
	v_cndmask_b32_e32 v7, v7, v16, vcc
	v_cndmask_b32_e32 v11, v11, v17, vcc
	v_cmp_ne_u32_e32 vcc, 0, v3
	v_cndmask_b32_e32 v17, v15, v11, vcc
	v_cndmask_b32_e32 v16, 0, v7, vcc
	s_mov_b64 s[10:11], -1
	s_branch .LBB7_1631
.LBB7_1630:
	s_mov_b64 s[4:5], -1
                                        ; implicit-def: $vgpr16_vgpr17
.LBB7_1631:
	s_mov_b64 s[12:13], 0
.LBB7_1632:
	s_and_b64 vcc, exec, s[12:13]
	s_cbranch_vccz .LBB7_1636
; %bb.1633:
	v_mov_b32_e32 v3, 29
	v_cmp_eq_u16_sdwa s[4:5], s20, v3 src0_sel:BYTE_0 src1_sel:DWORD
	s_and_b64 vcc, exec, s[4:5]
	s_cbranch_vccz .LBB7_1635
; %bb.1634:
	global_load_dwordx2 v[16:17], v[12:13], off
	s_mov_b64 s[4:5], 0
	s_mov_b64 s[10:11], -1
	s_mov_b64 s[12:13], 0
	s_waitcnt vmcnt(0)
	v_cvt_f64_u32_e32 v[18:19], v17
	v_cvt_f64_u32_e32 v[16:17], v16
	v_ldexp_f64 v[18:19], v[18:19], 32
	v_add_f64 v[16:17], v[18:19], v[16:17]
	s_branch .LBB7_1637
.LBB7_1635:
	s_mov_b64 s[4:5], -1
                                        ; implicit-def: $vgpr16_vgpr17
.LBB7_1636:
	s_mov_b64 s[12:13], 0
.LBB7_1637:
	s_and_b64 vcc, exec, s[12:13]
	s_cbranch_vccz .LBB7_1655
; %bb.1638:
	v_mov_b32_e32 v3, 27
	v_cmp_lt_i16_sdwa s[10:11], s20, v3 src0_sel:BYTE_0 src1_sel:DWORD
	s_and_b64 vcc, exec, s[10:11]
	s_cbranch_vccnz .LBB7_1641
; %bb.1639:
	v_cmp_gt_i16_sdwa s[10:11], s20, v3 src0_sel:BYTE_0 src1_sel:DWORD
	s_and_b64 vcc, exec, s[10:11]
	s_cbranch_vccz .LBB7_1642
; %bb.1640:
	global_load_dword v3, v[12:13], off
	s_mov_b64 s[10:11], 0
	s_waitcnt vmcnt(0)
	v_cvt_f64_u32_e32 v[16:17], v3
	s_branch .LBB7_1643
.LBB7_1641:
	s_mov_b64 s[10:11], -1
                                        ; implicit-def: $vgpr16_vgpr17
	s_branch .LBB7_1646
.LBB7_1642:
	s_mov_b64 s[10:11], -1
                                        ; implicit-def: $vgpr16_vgpr17
.LBB7_1643:
	s_andn2_b64 vcc, exec, s[10:11]
	s_cbranch_vccnz .LBB7_1645
; %bb.1644:
	global_load_ushort v3, v[12:13], off
	s_waitcnt vmcnt(0)
	v_cvt_f64_u32_e32 v[16:17], v3
.LBB7_1645:
	s_mov_b64 s[10:11], 0
.LBB7_1646:
	s_andn2_b64 vcc, exec, s[10:11]
	s_cbranch_vccnz .LBB7_1654
; %bb.1647:
	global_load_ubyte v3, v[12:13], off
	s_movk_i32 s10, 0x7f
                                        ; implicit-def: $sgpr12_sgpr13
	s_waitcnt vmcnt(0)
	v_cmp_lt_i16_e32 vcc, s10, v3
	s_mov_b64 s[10:11], 0
	s_and_saveexec_b64 s[14:15], vcc
	s_xor_b64 s[14:15], exec, s[14:15]
	s_cbranch_execz .LBB7_1668
; %bb.1648:
	s_movk_i32 s10, 0x80
	v_cmp_eq_u16_e32 vcc, s10, v3
	s_mov_b64 s[16:17], -1
                                        ; implicit-def: $sgpr12_sgpr13
	s_and_saveexec_b64 s[10:11], vcc
; %bb.1649:
	s_mov_b32 s13, 0x7ff80000
	s_brev_b32 s12, 4
	s_xor_b64 s[16:17], exec, -1
; %bb.1650:
	s_or_b64 exec, exec, s[10:11]
	s_and_b64 s[10:11], s[16:17], exec
	s_or_saveexec_b64 s[14:15], s[14:15]
	v_pk_mov_b32 v[16:17], s[12:13], s[12:13] op_sel:[0,1]
	s_xor_b64 exec, exec, s[14:15]
	s_cbranch_execnz .LBB7_1669
.LBB7_1651:
	s_or_b64 exec, exec, s[14:15]
	s_and_saveexec_b64 s[12:13], s[10:11]
	s_cbranch_execz .LBB7_1653
.LBB7_1652:
	v_lshlrev_b32_e32 v7, 24, v3
	v_and_b32_e32 v3, 0xffff, v3
	v_and_b32_e32 v11, 7, v3
	v_ffbh_u32_e32 v16, v11
	v_min_u32_e32 v16, 32, v16
	v_subrev_u32_e32 v17, 28, v16
	v_bfe_u32 v15, v3, 3, 4
	v_lshlrev_b32_e32 v3, v17, v3
	v_sub_u32_e32 v16, 29, v16
	v_and_b32_e32 v3, 7, v3
	v_cmp_eq_u32_e32 vcc, 0, v15
	v_cndmask_b32_e32 v15, v15, v16, vcc
	v_cndmask_b32_e32 v3, v11, v3, vcc
	v_mov_b32_e32 v11, 0x3b800000
	v_lshlrev_b32_e32 v3, 20, v3
	v_and_b32_e32 v7, 0x80000000, v7
	v_lshl_add_u32 v11, v15, 23, v11
	v_or3_b32 v3, v7, v11, v3
	v_cvt_f64_f32_e32 v[16:17], v3
.LBB7_1653:
	s_or_b64 exec, exec, s[12:13]
.LBB7_1654:
	s_mov_b64 s[10:11], -1
.LBB7_1655:
	s_mov_b64 s[12:13], 0
.LBB7_1656:
	s_and_b64 vcc, exec, s[12:13]
	s_cbranch_vccz .LBB7_1689
; %bb.1657:
	v_mov_b32_e32 v3, 22
	v_cmp_gt_i16_sdwa s[6:7], s20, v3 src0_sel:BYTE_0 src1_sel:DWORD
	s_and_b64 vcc, exec, s[6:7]
	s_cbranch_vccz .LBB7_1667
; %bb.1658:
	v_mov_b32_e32 v3, 24
	v_cmp_lt_i16_sdwa s[6:7], s20, v3 src0_sel:BYTE_0 src1_sel:DWORD
	s_and_b64 vcc, exec, s[6:7]
	s_cbranch_vccnz .LBB7_1670
; %bb.1659:
	v_cmp_gt_i16_sdwa s[6:7], s20, v3 src0_sel:BYTE_0 src1_sel:DWORD
	s_and_b64 vcc, exec, s[6:7]
	s_cbranch_vccz .LBB7_1671
; %bb.1660:
	global_load_ubyte v3, v[12:13], off
	s_movk_i32 s6, 0x7f
                                        ; implicit-def: $sgpr10_sgpr11
	s_waitcnt vmcnt(0)
	v_cmp_lt_i16_e32 vcc, s6, v3
	s_mov_b64 s[6:7], 0
	s_and_saveexec_b64 s[12:13], vcc
	s_xor_b64 s[12:13], exec, s[12:13]
	s_cbranch_execz .LBB7_1683
; %bb.1661:
	s_movk_i32 s6, 0x80
	v_cmp_eq_u16_e32 vcc, s6, v3
	s_mov_b64 s[14:15], -1
                                        ; implicit-def: $sgpr10_sgpr11
	s_and_saveexec_b64 s[6:7], vcc
; %bb.1662:
	s_mov_b32 s11, 0x7ff80000
	s_brev_b32 s10, 4
	s_xor_b64 s[14:15], exec, -1
; %bb.1663:
	s_or_b64 exec, exec, s[6:7]
	s_and_b64 s[6:7], s[14:15], exec
	s_or_saveexec_b64 s[12:13], s[12:13]
	v_pk_mov_b32 v[16:17], s[10:11], s[10:11] op_sel:[0,1]
	s_xor_b64 exec, exec, s[12:13]
	s_cbranch_execnz .LBB7_1684
.LBB7_1664:
	s_or_b64 exec, exec, s[12:13]
	s_and_saveexec_b64 s[10:11], s[6:7]
	s_cbranch_execz .LBB7_1666
.LBB7_1665:
	v_lshlrev_b32_e32 v7, 24, v3
	v_and_b32_e32 v3, 0xffff, v3
	v_and_b32_e32 v11, 3, v3
	v_ffbh_u32_e32 v16, v11
	v_min_u32_e32 v16, 32, v16
	v_subrev_u32_e32 v17, 29, v16
	v_bfe_u32 v15, v3, 2, 5
	v_lshlrev_b32_e32 v3, v17, v3
	v_sub_u32_e32 v16, 30, v16
	v_and_b32_e32 v3, 3, v3
	v_cmp_eq_u32_e32 vcc, 0, v15
	v_cndmask_b32_e32 v15, v15, v16, vcc
	v_cndmask_b32_e32 v3, v11, v3, vcc
	v_mov_b32_e32 v11, 0x37800000
	v_lshlrev_b32_e32 v3, 21, v3
	v_and_b32_e32 v7, 0x80000000, v7
	v_lshl_add_u32 v11, v15, 23, v11
	v_or3_b32 v3, v7, v11, v3
	v_cvt_f64_f32_e32 v[16:17], v3
.LBB7_1666:
	s_or_b64 exec, exec, s[10:11]
	s_mov_b64 s[6:7], 0
	s_branch .LBB7_1672
.LBB7_1667:
	s_mov_b64 s[6:7], -1
                                        ; implicit-def: $vgpr16_vgpr17
	s_branch .LBB7_1678
.LBB7_1668:
	s_or_saveexec_b64 s[14:15], s[14:15]
	v_pk_mov_b32 v[16:17], s[12:13], s[12:13] op_sel:[0,1]
	s_xor_b64 exec, exec, s[14:15]
	s_cbranch_execz .LBB7_1651
.LBB7_1669:
	v_cmp_ne_u16_e32 vcc, 0, v3
	s_andn2_b64 s[10:11], s[10:11], exec
	s_and_b64 s[12:13], vcc, exec
	v_pk_mov_b32 v[16:17], 0, 0
	s_or_b64 s[10:11], s[10:11], s[12:13]
	s_or_b64 exec, exec, s[14:15]
	s_and_saveexec_b64 s[12:13], s[10:11]
	s_cbranch_execnz .LBB7_1652
	s_branch .LBB7_1653
.LBB7_1670:
	s_mov_b64 s[6:7], -1
                                        ; implicit-def: $vgpr16_vgpr17
	s_branch .LBB7_1675
.LBB7_1671:
	s_mov_b64 s[6:7], -1
                                        ; implicit-def: $vgpr16_vgpr17
.LBB7_1672:
	s_and_b64 vcc, exec, s[6:7]
	s_cbranch_vccz .LBB7_1674
; %bb.1673:
	global_load_ubyte v3, v[12:13], off
	s_mov_b32 s6, 0x7f800000
	s_waitcnt vmcnt(0)
	v_lshlrev_b32_e32 v3, 24, v3
	v_and_b32_e32 v7, 0x7f000000, v3
	v_ffbh_u32_e32 v11, v7
	v_min_u32_e32 v11, 32, v11
	v_sub_u32_e64 v11, v11, 4 clamp
	v_lshlrev_b32_e32 v16, v11, v7
	v_lshlrev_b32_e32 v11, 23, v11
	v_lshrrev_b32_e32 v16, 4, v16
	v_add_u32_e32 v15, 0x1000000, v7
	v_sub_u32_e32 v11, v16, v11
	v_ashrrev_i32_e32 v15, 8, v15
	v_add_u32_e32 v11, 0x3c000000, v11
	v_and_or_b32 v11, v15, s6, v11
	v_cmp_ne_u32_e32 vcc, 0, v7
	v_cndmask_b32_e32 v7, 0, v11, vcc
	s_brev_b32 s6, 1
	v_and_or_b32 v3, v3, s6, v7
	v_cvt_f64_f32_e32 v[16:17], v3
.LBB7_1674:
	s_mov_b64 s[6:7], 0
.LBB7_1675:
	s_andn2_b64 vcc, exec, s[6:7]
	s_cbranch_vccnz .LBB7_1677
; %bb.1676:
	global_load_ubyte v3, v[12:13], off
	s_movk_i32 s6, 0x7f00
	s_brev_b32 s7, 16
	s_waitcnt vmcnt(0)
	v_lshlrev_b16_e32 v7, 8, v3
	v_lshlrev_b32_e32 v3, 25, v3
	v_lshrrev_b32_e32 v11, 4, v3
	v_and_or_b32 v15, v7, s6, 0.5
	v_or_b32_e32 v11, 0x70000000, v11
	v_add_f32_e32 v15, -0.5, v15
	v_mul_f32_e32 v11, 0x7800000, v11
	v_cmp_gt_u32_e32 vcc, s7, v3
	v_bfe_i32 v7, v7, 0, 16
	v_cndmask_b32_e32 v3, v11, v15, vcc
	s_brev_b32 s6, 1
	v_and_or_b32 v3, v7, s6, v3
	v_cvt_f64_f32_e32 v[16:17], v3
.LBB7_1677:
	s_mov_b64 s[6:7], 0
	s_mov_b64 s[10:11], -1
.LBB7_1678:
	s_andn2_b64 vcc, exec, s[6:7]
	s_mov_b64 s[6:7], 0
	s_cbranch_vccnz .LBB7_1689
; %bb.1679:
	v_mov_b32_e32 v3, 14
	v_cmp_gt_i16_sdwa s[6:7], s20, v3 src0_sel:BYTE_0 src1_sel:DWORD
	s_and_b64 vcc, exec, s[6:7]
	s_cbranch_vccz .LBB7_1682
; %bb.1680:
	v_mov_b32_e32 v3, 15
	v_cmp_eq_u16_sdwa s[4:5], s20, v3 src0_sel:BYTE_0 src1_sel:DWORD
	s_and_b64 vcc, exec, s[4:5]
	s_cbranch_vccz .LBB7_1685
; %bb.1681:
	global_load_ushort v3, v[12:13], off
	s_mov_b64 s[4:5], 0
	s_mov_b64 s[10:11], -1
	s_waitcnt vmcnt(0)
	v_lshlrev_b32_e32 v3, 16, v3
	v_cvt_f64_f32_e32 v[16:17], v3
	s_branch .LBB7_1686
.LBB7_1682:
	s_mov_b64 s[12:13], -1
                                        ; implicit-def: $vgpr16_vgpr17
	s_branch .LBB7_1687
.LBB7_1683:
	s_or_saveexec_b64 s[12:13], s[12:13]
	v_pk_mov_b32 v[16:17], s[10:11], s[10:11] op_sel:[0,1]
	s_xor_b64 exec, exec, s[12:13]
	s_cbranch_execz .LBB7_1664
.LBB7_1684:
	v_cmp_ne_u16_e32 vcc, 0, v3
	s_andn2_b64 s[6:7], s[6:7], exec
	s_and_b64 s[10:11], vcc, exec
	v_pk_mov_b32 v[16:17], 0, 0
	s_or_b64 s[6:7], s[6:7], s[10:11]
	s_or_b64 exec, exec, s[12:13]
	s_and_saveexec_b64 s[10:11], s[6:7]
	s_cbranch_execnz .LBB7_1665
	s_branch .LBB7_1666
.LBB7_1685:
	s_mov_b64 s[4:5], -1
                                        ; implicit-def: $vgpr16_vgpr17
.LBB7_1686:
	s_mov_b64 s[12:13], 0
.LBB7_1687:
	s_mov_b64 s[6:7], 0
	s_and_b64 vcc, exec, s[12:13]
	s_cbranch_vccz .LBB7_1689
; %bb.1688:
	v_mov_b32_e32 v3, 11
	v_cmp_ne_u16_sdwa s[4:5], s20, v3 src0_sel:BYTE_0 src1_sel:DWORD
	s_mov_b64 s[6:7], -1
                                        ; implicit-def: $vgpr16_vgpr17
.LBB7_1689:
	s_and_b64 vcc, exec, s[4:5]
	s_cbranch_vccnz .LBB7_1811
; %bb.1690:
	s_andn2_b64 vcc, exec, s[6:7]
	s_cbranch_vccnz .LBB7_1692
.LBB7_1691:
	global_load_ubyte v3, v[12:13], off
	v_mov_b32_e32 v7, 0x3ff00000
	v_mov_b32_e32 v16, 0
	s_mov_b64 s[10:11], -1
	s_waitcnt vmcnt(0)
	v_cmp_ne_u16_e32 vcc, 0, v3
	v_cndmask_b32_e32 v17, 0, v7, vcc
.LBB7_1692:
	s_mov_b64 s[4:5], 0
.LBB7_1693:
	s_and_b64 vcc, exec, s[4:5]
	s_cbranch_vccz .LBB7_1742
; %bb.1694:
	v_mov_b32_e32 v3, 5
	v_cmp_lt_i16_sdwa s[4:5], s20, v3 src0_sel:BYTE_0 src1_sel:DWORD
	s_and_b64 vcc, exec, s[4:5]
	s_cbranch_vccnz .LBB7_1699
; %bb.1695:
	v_mov_b32_e32 v3, 8
	v_cmp_lt_i16_sdwa s[4:5], s20, v3 src0_sel:BYTE_0 src1_sel:DWORD
	s_and_b64 vcc, exec, s[4:5]
	s_cbranch_vccnz .LBB7_1700
	;; [unrolled: 5-line block ×3, first 2 shown]
; %bb.1697:
	v_cmp_gt_i16_sdwa s[4:5], s20, v3 src0_sel:BYTE_0 src1_sel:DWORD
	s_and_b64 vcc, exec, s[4:5]
	s_cbranch_vccz .LBB7_1702
; %bb.1698:
	global_load_dwordx2 v[16:17], v[12:13], off
	s_mov_b64 s[4:5], 0
	s_branch .LBB7_1703
.LBB7_1699:
	s_mov_b64 s[4:5], -1
                                        ; implicit-def: $vgpr16_vgpr17
	s_branch .LBB7_1721
.LBB7_1700:
	s_mov_b64 s[4:5], -1
                                        ; implicit-def: $vgpr16_vgpr17
	s_branch .LBB7_1709
.LBB7_1701:
	s_mov_b64 s[4:5], -1
                                        ; implicit-def: $vgpr16_vgpr17
	s_branch .LBB7_1706
.LBB7_1702:
	s_mov_b64 s[4:5], -1
                                        ; implicit-def: $vgpr16_vgpr17
.LBB7_1703:
	s_andn2_b64 vcc, exec, s[4:5]
	s_cbranch_vccnz .LBB7_1705
; %bb.1704:
	global_load_dword v3, v[12:13], off
	s_waitcnt vmcnt(0)
	v_cvt_f64_f32_e32 v[16:17], v3
.LBB7_1705:
	s_mov_b64 s[4:5], 0
.LBB7_1706:
	s_andn2_b64 vcc, exec, s[4:5]
	s_cbranch_vccnz .LBB7_1708
; %bb.1707:
	global_load_dword v3, v[12:13], off
	s_waitcnt vmcnt(0)
	v_cvt_f32_f16_e32 v3, v3
	v_cvt_f64_f32_e32 v[16:17], v3
.LBB7_1708:
	s_mov_b64 s[4:5], 0
.LBB7_1709:
	s_andn2_b64 vcc, exec, s[4:5]
	s_cbranch_vccnz .LBB7_1720
; %bb.1710:
	v_mov_b32_e32 v3, 6
	v_cmp_lt_i16_sdwa s[4:5], s20, v3 src0_sel:BYTE_0 src1_sel:DWORD
	s_and_b64 vcc, exec, s[4:5]
	s_cbranch_vccnz .LBB7_1713
; %bb.1711:
	v_cmp_gt_i16_sdwa s[4:5], s20, v3 src0_sel:BYTE_0 src1_sel:DWORD
	s_and_b64 vcc, exec, s[4:5]
	s_cbranch_vccz .LBB7_1714
; %bb.1712:
	global_load_dwordx2 v[16:17], v[12:13], off
	s_mov_b64 s[4:5], 0
	s_branch .LBB7_1715
.LBB7_1713:
	s_mov_b64 s[4:5], -1
                                        ; implicit-def: $vgpr16_vgpr17
	s_branch .LBB7_1718
.LBB7_1714:
	s_mov_b64 s[4:5], -1
                                        ; implicit-def: $vgpr16_vgpr17
.LBB7_1715:
	s_andn2_b64 vcc, exec, s[4:5]
	s_cbranch_vccnz .LBB7_1717
; %bb.1716:
	global_load_dword v3, v[12:13], off
	s_waitcnt vmcnt(0)
	v_cvt_f64_f32_e32 v[16:17], v3
.LBB7_1717:
	s_mov_b64 s[4:5], 0
.LBB7_1718:
	s_andn2_b64 vcc, exec, s[4:5]
	s_cbranch_vccnz .LBB7_1720
; %bb.1719:
	global_load_ushort v3, v[12:13], off
	s_waitcnt vmcnt(0)
	v_cvt_f32_f16_e32 v3, v3
	v_cvt_f64_f32_e32 v[16:17], v3
.LBB7_1720:
	s_mov_b64 s[4:5], 0
.LBB7_1721:
	s_andn2_b64 vcc, exec, s[4:5]
	s_cbranch_vccnz .LBB7_1741
; %bb.1722:
	v_mov_b32_e32 v3, 2
	v_cmp_lt_i16_sdwa s[4:5], s20, v3 src0_sel:BYTE_0 src1_sel:DWORD
	s_and_b64 vcc, exec, s[4:5]
	s_cbranch_vccnz .LBB7_1726
; %bb.1723:
	v_mov_b32_e32 v3, 3
	v_cmp_lt_i16_sdwa s[4:5], s20, v3 src0_sel:BYTE_0 src1_sel:DWORD
	s_and_b64 vcc, exec, s[4:5]
	s_cbranch_vccnz .LBB7_1727
; %bb.1724:
	v_cmp_gt_i16_sdwa s[4:5], s20, v3 src0_sel:BYTE_0 src1_sel:DWORD
	s_and_b64 vcc, exec, s[4:5]
	s_cbranch_vccz .LBB7_1728
; %bb.1725:
	global_load_dwordx2 v[16:17], v[12:13], off
	s_mov_b64 s[4:5], 0
	s_waitcnt vmcnt(0)
	v_cvt_f64_i32_e32 v[18:19], v17
	v_cvt_f64_u32_e32 v[16:17], v16
	v_ldexp_f64 v[18:19], v[18:19], 32
	v_add_f64 v[16:17], v[18:19], v[16:17]
	s_branch .LBB7_1729
.LBB7_1726:
	s_mov_b64 s[4:5], -1
                                        ; implicit-def: $vgpr16_vgpr17
	s_branch .LBB7_1735
.LBB7_1727:
	s_mov_b64 s[4:5], -1
                                        ; implicit-def: $vgpr16_vgpr17
	s_branch .LBB7_1732
.LBB7_1728:
	s_mov_b64 s[4:5], -1
                                        ; implicit-def: $vgpr16_vgpr17
.LBB7_1729:
	s_andn2_b64 vcc, exec, s[4:5]
	s_cbranch_vccnz .LBB7_1731
; %bb.1730:
	global_load_dword v3, v[12:13], off
	s_waitcnt vmcnt(0)
	v_cvt_f64_i32_e32 v[16:17], v3
.LBB7_1731:
	s_mov_b64 s[4:5], 0
.LBB7_1732:
	s_andn2_b64 vcc, exec, s[4:5]
	s_cbranch_vccnz .LBB7_1734
; %bb.1733:
	global_load_sshort v3, v[12:13], off
	s_waitcnt vmcnt(0)
	v_cvt_f64_i32_e32 v[16:17], v3
.LBB7_1734:
	s_mov_b64 s[4:5], 0
.LBB7_1735:
	s_andn2_b64 vcc, exec, s[4:5]
	s_cbranch_vccnz .LBB7_1741
; %bb.1736:
	v_mov_b32_e32 v3, 0
	v_cmp_gt_i16_sdwa s[4:5], s20, v3 src0_sel:BYTE_0 src1_sel:DWORD
	s_and_b64 vcc, exec, s[4:5]
	s_cbranch_vccz .LBB7_1738
; %bb.1737:
	global_load_sbyte v3, v[12:13], off
	s_mov_b64 s[4:5], 0
	s_waitcnt vmcnt(0)
	v_cvt_f64_i32_e32 v[16:17], v3
	s_branch .LBB7_1739
.LBB7_1738:
	s_mov_b64 s[4:5], -1
                                        ; implicit-def: $vgpr16_vgpr17
.LBB7_1739:
	s_andn2_b64 vcc, exec, s[4:5]
	s_cbranch_vccnz .LBB7_1741
; %bb.1740:
	global_load_ubyte v3, v[12:13], off
	s_waitcnt vmcnt(0)
	v_cvt_f64_u32_e32 v[16:17], v3
.LBB7_1741:
	s_mov_b64 s[10:11], -1
.LBB7_1742:
	s_andn2_b64 vcc, exec, s[10:11]
	s_cbranch_vccnz .LBB7_1762
; %bb.1743:
	s_waitcnt vmcnt(0)
	v_trunc_f64_e32 v[12:13], v[16:17]
	s_movk_i32 s4, 0xffe0
	v_ldexp_f64 v[16:17], v[12:13], s4
	v_floor_f64_e32 v[18:19], v[16:17]
	v_fmac_f64_e32 v[12:13], 0xc1f00000, v[18:19]
	v_cvt_i32_f64_e32 v17, v[18:19]
	v_cvt_u32_f64_e32 v16, v[12:13]
	v_cmp_lt_i64_e32 vcc, -1, v[16:17]
	v_pk_mov_b32 v[12:13], 0, 0
	s_and_saveexec_b64 s[4:5], vcc
	s_cbranch_execz .LBB7_1755
; %bb.1744:
	v_mov_b32_e32 v12, 0
	v_cmp_lt_i64_e32 vcc, 0, v[16:17]
	v_mov_b32_e32 v13, 0x3ff00000
	s_and_saveexec_b64 s[6:7], vcc
	s_cbranch_execz .LBB7_1754
; %bb.1745:
	v_cmp_ne_u64_e32 vcc, 1, v[16:17]
                                        ; implicit-def: $vgpr12_vgpr13
	s_and_saveexec_b64 s[10:11], vcc
	s_xor_b64 s[10:11], exec, s[10:11]
	s_cbranch_execz .LBB7_1751
; %bb.1746:
	s_mov_b64 s[12:13], 0x201
	v_mov_b32_e32 v12, 0
	v_cmp_gt_u64_e32 vcc, s[12:13], v[16:17]
	v_mov_b32_e32 v13, 0x7ff80000
	s_and_saveexec_b64 s[12:13], vcc
	s_cbranch_execz .LBB7_1750
; %bb.1747:
	v_mov_b32_e32 v18, 0
	s_mov_b64 s[16:17], 1
	s_mov_b64 s[14:15], 0
	s_waitcnt lgkmcnt(0)
	v_pk_mov_b32 v[12:13], s[0:1], s[0:1] op_sel:[0,1]
	v_mov_b32_e32 v19, 0x3ff00000
.LBB7_1748:                             ; =>This Inner Loop Header: Depth=1
	v_cvt_f64_u32_e32 v[20:21], s17
	v_cvt_f64_u32_e32 v[22:23], s16
	s_add_u32 s16, s16, 1
	v_ldexp_f64 v[20:21], v[20:21], 32
	s_addc_u32 s17, s17, 0
	v_add_f64 v[20:21], v[20:21], v[22:23]
	v_cmp_eq_u64_e32 vcc, s[16:17], v[16:17]
	v_mul_f64 v[20:21], v[18:19], v[20:21]
	s_or_b64 s[14:15], vcc, s[14:15]
	v_pk_mov_b32 v[18:19], v[12:13], v[12:13] op_sel:[0,1]
	v_fma_f64 v[12:13], s[0:1], v[12:13], -v[20:21]
	s_andn2_b64 exec, exec, s[14:15]
	s_cbranch_execnz .LBB7_1748
; %bb.1749:
	s_or_b64 exec, exec, s[14:15]
.LBB7_1750:
	s_or_b64 exec, exec, s[12:13]
.LBB7_1751:
	s_andn2_saveexec_b64 s[10:11], s[10:11]
	s_cbranch_execz .LBB7_1753
; %bb.1752:
	s_waitcnt lgkmcnt(0)
	v_pk_mov_b32 v[12:13], s[0:1], s[0:1] op_sel:[0,1]
.LBB7_1753:
	s_or_b64 exec, exec, s[10:11]
.LBB7_1754:
	s_or_b64 exec, exec, s[6:7]
.LBB7_1755:
	s_or_b64 exec, exec, s[4:5]
	s_waitcnt lgkmcnt(0)
	s_load_dword s0, s[34:35], 0x168
	v_mov_b32_e32 v3, s9
	v_add_co_u32_e32 v16, vcc, s8, v2
	v_addc_co_u32_e32 v17, vcc, 0, v3, vcc
	s_waitcnt lgkmcnt(0)
	s_and_b32 s16, s0, 0xff
	v_cmp_lt_i16_e64 s[4:5], s16, 11
	s_and_b64 vcc, exec, s[4:5]
	s_cbranch_vccnz .LBB7_1808
; %bb.1756:
	v_cmp_gt_i16_e64 s[0:1], s16, 25
	s_mov_b64 s[12:13], -1
	s_mov_b64 s[6:7], 0
	s_and_b64 vcc, exec, s[0:1]
	s_mov_b64 s[10:11], 0
	s_mov_b64 s[0:1], 0
	s_cbranch_vccz .LBB7_1840
; %bb.1757:
	v_cmp_gt_i16_e64 s[0:1], s16, 28
	s_and_b64 vcc, exec, s[0:1]
	s_cbranch_vccz .LBB7_1809
; %bb.1758:
	v_cmp_gt_i16_e64 s[0:1], s16, 43
	s_and_b64 vcc, exec, s[0:1]
	;; [unrolled: 4-line block ×3, first 2 shown]
	s_cbranch_vccz .LBB7_1812
; %bb.1760:
	v_cmp_eq_u16_e64 s[10:11], s16, 46
	s_mov_b64 s[0:1], -1
	s_mov_b64 s[12:13], 0
	s_and_b64 vcc, exec, s[10:11]
	s_mov_b64 s[10:11], 0
	s_cbranch_vccz .LBB7_1813
; %bb.1761:
	v_cvt_f32_f64_e32 v2, v[0:1]
	v_bfe_u32 v3, v2, 16, 1
	s_movk_i32 s0, 0x7fff
	v_add3_u32 v3, v2, v3, s0
	v_lshrrev_b32_e32 v3, 16, v3
	v_mov_b32_e32 v7, 0x7fc0
	v_cmp_o_f32_e32 vcc, v2, v2
	v_cndmask_b32_e32 v2, v7, v3, vcc
	global_store_dword v[16:17], v2, off
	s_mov_b64 s[0:1], 0
	s_mov_b64 s[10:11], -1
	s_branch .LBB7_1813
.LBB7_1762:
	s_waitcnt lgkmcnt(0)
	s_mov_b64 s[0:1], 0
                                        ; implicit-def: $vgpr0_vgpr1
                                        ; implicit-def: $sgpr16
                                        ; implicit-def: $vgpr12_vgpr13
.LBB7_1763:
	s_mov_b64 s[4:5], 0
.LBB7_1764:
	s_and_b64 s[6:7], s[4:5], exec
	s_andn2_b64 s[4:5], s[28:29], exec
	s_and_b64 s[2:3], s[2:3], exec
	s_and_b64 s[0:1], s[0:1], exec
	s_or_b64 s[28:29], s[4:5], s[2:3]
.LBB7_1765:
	s_or_b64 exec, exec, s[30:31]
	s_and_saveexec_b64 s[2:3], s[28:29]
	s_cbranch_execz .LBB7_1768
; %bb.1766:
	; divergent unreachable
	s_or_b64 exec, exec, s[2:3]
	s_and_saveexec_b64 s[2:3], s[6:7]
	s_xor_b64 s[2:3], exec, s[2:3]
	s_cbranch_execnz .LBB7_1769
.LBB7_1767:
	s_or_b64 exec, exec, s[2:3]
	s_and_saveexec_b64 s[2:3], s[0:1]
	s_cbranch_execnz .LBB7_1770
	s_branch .LBB7_1807
.LBB7_1768:
	s_or_b64 exec, exec, s[2:3]
	s_and_saveexec_b64 s[2:3], s[6:7]
	s_xor_b64 s[2:3], exec, s[2:3]
	s_cbranch_execz .LBB7_1767
.LBB7_1769:
	v_cmp_neq_f64_e32 vcc, 0, v[12:13]
	v_cndmask_b32_e64 v2, 0, 1, vcc
	global_store_byte v[0:1], v2, off
	s_or_b64 exec, exec, s[2:3]
	s_and_saveexec_b64 s[2:3], s[0:1]
	s_cbranch_execz .LBB7_1807
.LBB7_1770:
	v_cmp_lt_i16_e64 s[2:3], s16, 5
	s_mov_b64 s[0:1], -1
	s_and_b64 vcc, exec, s[2:3]
	s_cbranch_vccnz .LBB7_1791
; %bb.1771:
	v_cmp_lt_i16_e64 s[2:3], s16, 8
	s_and_b64 vcc, exec, s[2:3]
	s_cbranch_vccnz .LBB7_1781
; %bb.1772:
	v_cmp_lt_i16_e64 s[2:3], s16, 9
	s_and_b64 vcc, exec, s[2:3]
	s_cbranch_vccnz .LBB7_1778
; %bb.1773:
	v_cmp_gt_i16_e64 s[2:3], s16, 9
	s_and_b64 vcc, exec, s[2:3]
	s_cbranch_vccz .LBB7_1775
; %bb.1774:
	v_mov_b32_e32 v14, 0
	v_mov_b32_e32 v15, v14
	global_store_dwordx4 v[0:1], v[12:15], off
	s_mov_b64 s[0:1], 0
.LBB7_1775:
	s_andn2_b64 vcc, exec, s[0:1]
	s_cbranch_vccnz .LBB7_1777
; %bb.1776:
	v_cvt_f32_f64_e32 v2, v[12:13]
	v_mov_b32_e32 v3, 0
	global_store_dwordx2 v[0:1], v[2:3], off
.LBB7_1777:
	s_mov_b64 s[0:1], 0
.LBB7_1778:
	s_andn2_b64 vcc, exec, s[0:1]
	s_cbranch_vccnz .LBB7_1780
; %bb.1779:
	v_cvt_f32_f64_e32 v2, v[12:13]
	v_cvt_f16_f32_e32 v2, v2
	global_store_dword v[0:1], v2, off
.LBB7_1780:
	s_mov_b64 s[0:1], 0
.LBB7_1781:
	s_andn2_b64 vcc, exec, s[0:1]
	s_cbranch_vccnz .LBB7_1790
; %bb.1782:
	v_cmp_lt_i16_e64 s[2:3], s16, 6
	s_mov_b64 s[0:1], -1
	s_and_b64 vcc, exec, s[2:3]
	s_cbranch_vccnz .LBB7_1788
; %bb.1783:
	v_cmp_gt_i16_e64 s[2:3], s16, 6
	s_and_b64 vcc, exec, s[2:3]
	s_cbranch_vccz .LBB7_1785
; %bb.1784:
	global_store_dwordx2 v[0:1], v[12:13], off
	s_mov_b64 s[0:1], 0
.LBB7_1785:
	s_andn2_b64 vcc, exec, s[0:1]
	s_cbranch_vccnz .LBB7_1787
; %bb.1786:
	v_cvt_f32_f64_e32 v2, v[12:13]
	global_store_dword v[0:1], v2, off
.LBB7_1787:
	s_mov_b64 s[0:1], 0
.LBB7_1788:
	s_andn2_b64 vcc, exec, s[0:1]
	s_cbranch_vccnz .LBB7_1790
; %bb.1789:
	v_cvt_f32_f64_e32 v2, v[12:13]
	v_cvt_f16_f32_e32 v2, v2
	global_store_short v[0:1], v2, off
.LBB7_1790:
	s_mov_b64 s[0:1], 0
.LBB7_1791:
	s_andn2_b64 vcc, exec, s[0:1]
	s_cbranch_vccnz .LBB7_1807
; %bb.1792:
	v_cmp_lt_i16_e64 s[2:3], s16, 2
	s_mov_b64 s[0:1], -1
	s_and_b64 vcc, exec, s[2:3]
	s_cbranch_vccnz .LBB7_1802
; %bb.1793:
	v_cmp_lt_i16_e64 s[2:3], s16, 3
	s_and_b64 vcc, exec, s[2:3]
	s_cbranch_vccnz .LBB7_1799
; %bb.1794:
	v_cmp_gt_i16_e64 s[2:3], s16, 3
	s_and_b64 vcc, exec, s[2:3]
	s_cbranch_vccz .LBB7_1796
; %bb.1795:
	v_trunc_f64_e32 v[2:3], v[12:13]
	s_movk_i32 s0, 0xffe0
	s_waitcnt vmcnt(0)
	v_ldexp_f64 v[4:5], v[2:3], s0
	v_floor_f64_e32 v[4:5], v[4:5]
	v_fmac_f64_e32 v[2:3], 0xc1f00000, v[4:5]
	v_cvt_i32_f64_e32 v7, v[4:5]
	v_cvt_u32_f64_e32 v6, v[2:3]
	global_store_dwordx2 v[0:1], v[6:7], off
	s_mov_b64 s[0:1], 0
.LBB7_1796:
	s_andn2_b64 vcc, exec, s[0:1]
	s_cbranch_vccnz .LBB7_1798
; %bb.1797:
	v_cvt_i32_f64_e32 v2, v[12:13]
	global_store_dword v[0:1], v2, off
.LBB7_1798:
	s_mov_b64 s[0:1], 0
.LBB7_1799:
	s_andn2_b64 vcc, exec, s[0:1]
	s_cbranch_vccnz .LBB7_1801
; %bb.1800:
	v_cvt_i32_f64_e32 v2, v[12:13]
	global_store_short v[0:1], v2, off
.LBB7_1801:
	s_mov_b64 s[0:1], 0
.LBB7_1802:
	s_andn2_b64 vcc, exec, s[0:1]
	s_cbranch_vccnz .LBB7_1807
; %bb.1803:
	v_cmp_gt_i16_e64 s[2:3], s16, 0
	s_mov_b64 s[0:1], -1
	s_and_b64 vcc, exec, s[2:3]
	s_cbranch_vccz .LBB7_1805
; %bb.1804:
	v_cvt_i32_f64_e32 v2, v[12:13]
	global_store_byte v[0:1], v2, off
	s_mov_b64 s[0:1], 0
.LBB7_1805:
	s_andn2_b64 vcc, exec, s[0:1]
	s_cbranch_vccnz .LBB7_1807
; %bb.1806:
	v_trunc_f64_e32 v[2:3], v[12:13]
	s_movk_i32 s0, 0xffe0
	s_waitcnt vmcnt(0)
	v_ldexp_f64 v[4:5], v[2:3], s0
	v_floor_f64_e32 v[4:5], v[4:5]
	v_fmac_f64_e32 v[2:3], 0xc1f00000, v[4:5]
	v_cvt_u32_f64_e32 v2, v[2:3]
	global_store_byte v[0:1], v2, off
	s_endpgm
.LBB7_1807:
	s_endpgm
.LBB7_1808:
	s_mov_b64 s[0:1], -1
	s_mov_b64 s[10:11], 0
	s_branch .LBB7_1884
.LBB7_1809:
	s_mov_b64 s[0:1], 0
	s_branch .LBB7_1823
.LBB7_1810:
	s_mov_b64 s[0:1], 0
	s_branch .LBB7_1819
.LBB7_1811:
	s_trap 2
	s_or_b64 s[2:3], s[2:3], exec
                                        ; implicit-def: $vgpr16_vgpr17
	s_cbranch_execz .LBB7_1691
	s_branch .LBB7_1692
.LBB7_1812:
	s_mov_b64 s[0:1], 0
.LBB7_1813:
	s_and_b64 vcc, exec, s[12:13]
	s_cbranch_vccz .LBB7_1818
; %bb.1814:
	v_cmp_eq_u16_e64 s[12:13], s16, 44
	s_mov_b64 s[0:1], -1
	s_and_b64 vcc, exec, s[12:13]
	s_cbranch_vccz .LBB7_1818
; %bb.1815:
	v_cvt_f32_f64_e32 v2, v[0:1]
	v_bfe_u32 v3, v2, 23, 8
	s_movk_i32 s0, 0xff
	v_cmp_ne_u32_e32 vcc, s0, v3
	v_mov_b32_e32 v7, 0xff
	s_and_saveexec_b64 s[10:11], vcc
; %bb.1816:
	s_mov_b32 s0, 0x3fffff
	v_lshrrev_b32_e32 v7, 23, v2
	v_and_b32_e32 v11, 0x400000, v2
	v_and_or_b32 v2, v2, s0, v3
	v_cmp_ne_u32_e32 vcc, 0, v11
	v_cmp_ne_u32_e64 s[0:1], 0, v2
	s_and_b64 s[0:1], vcc, s[0:1]
	v_cndmask_b32_e64 v2, 0, 1, s[0:1]
	v_add_u32_e32 v7, v7, v2
; %bb.1817:
	s_or_b64 exec, exec, s[10:11]
	s_mov_b64 s[0:1], 0
	s_mov_b64 s[10:11], -1
	global_store_byte v[16:17], v7, off
.LBB7_1818:
	s_mov_b64 s[12:13], 0
.LBB7_1819:
	s_and_b64 vcc, exec, s[12:13]
	s_cbranch_vccz .LBB7_1822
; %bb.1820:
	v_cmp_eq_u16_e64 s[12:13], s16, 29
	s_mov_b64 s[0:1], -1
	s_and_b64 vcc, exec, s[12:13]
	s_cbranch_vccz .LBB7_1822
; %bb.1821:
	v_trunc_f64_e32 v[2:3], v[0:1]
	s_movk_i32 s0, 0xffe0
	v_ldexp_f64 v[18:19], v[2:3], s0
	v_floor_f64_e32 v[18:19], v[18:19]
	v_fmac_f64_e32 v[2:3], 0xc1f00000, v[18:19]
	v_cvt_u32_f64_e32 v21, v[18:19]
	v_cvt_u32_f64_e32 v20, v[2:3]
	global_store_dwordx2 v[16:17], v[20:21], off
	s_mov_b64 s[0:1], 0
	s_mov_b64 s[10:11], -1
.LBB7_1822:
	s_mov_b64 s[12:13], 0
.LBB7_1823:
	s_and_b64 vcc, exec, s[12:13]
	s_cbranch_vccz .LBB7_1839
; %bb.1824:
	v_cmp_lt_i16_e64 s[12:13], s16, 27
	s_mov_b64 s[10:11], -1
	s_and_b64 vcc, exec, s[12:13]
	s_cbranch_vccnz .LBB7_1830
; %bb.1825:
	v_cmp_gt_i16_e64 s[12:13], s16, 27
	s_and_b64 vcc, exec, s[12:13]
	v_cvt_u32_f64_e32 v2, v[0:1]
	s_cbranch_vccz .LBB7_1827
; %bb.1826:
	s_mov_b64 s[10:11], 0
	global_store_dword v[16:17], v2, off
.LBB7_1827:
	s_andn2_b64 vcc, exec, s[10:11]
	s_cbranch_vccnz .LBB7_1829
; %bb.1828:
	global_store_short v[16:17], v2, off
.LBB7_1829:
	s_mov_b64 s[10:11], 0
.LBB7_1830:
	s_andn2_b64 vcc, exec, s[10:11]
	s_cbranch_vccnz .LBB7_1838
; %bb.1831:
	v_cvt_f32_f64_e32 v2, v[0:1]
	v_and_b32_e32 v3, 0x7fffffff, v2
	s_mov_b32 s10, 0x43800000
	v_cmp_gt_u32_e32 vcc, s10, v3
	v_mov_b32_e32 v7, 0x80
	s_and_saveexec_b64 s[10:11], vcc
	s_cbranch_execz .LBB7_1837
; %bb.1832:
	s_mov_b32 s12, 0x3bffffff
	v_cmp_lt_u32_e32 vcc, s12, v3
	s_mov_b64 s[12:13], 0
                                        ; implicit-def: $vgpr3
	s_and_saveexec_b64 s[14:15], vcc
	s_xor_b64 s[14:15], exec, s[14:15]
	s_cbranch_execz .LBB7_1933
; %bb.1833:
	v_bfe_u32 v3, v2, 20, 1
	s_mov_b32 s17, 0x487ffff
	v_add3_u32 v3, v2, v3, s17
	s_mov_b64 s[12:13], exec
	v_lshrrev_b32_e32 v3, 20, v3
	s_or_saveexec_b64 s[14:15], s[14:15]
                                        ; implicit-def: $sgpr17
	s_xor_b64 exec, exec, s[14:15]
	s_cbranch_execnz .LBB7_1934
.LBB7_1834:
	s_or_b64 exec, exec, s[14:15]
	v_mov_b32_e32 v7, s17
	s_and_saveexec_b64 s[14:15], s[12:13]
.LBB7_1835:
	v_lshrrev_b32_e32 v2, 24, v2
	s_movk_i32 s12, 0x80
	v_and_or_b32 v7, v2, s12, v3
.LBB7_1836:
	s_or_b64 exec, exec, s[14:15]
.LBB7_1837:
	s_or_b64 exec, exec, s[10:11]
	global_store_byte v[16:17], v7, off
.LBB7_1838:
	s_mov_b64 s[10:11], -1
.LBB7_1839:
	s_mov_b64 s[12:13], 0
.LBB7_1840:
	s_and_b64 vcc, exec, s[12:13]
	s_cbranch_vccz .LBB7_1880
; %bb.1841:
	v_cmp_gt_i16_e64 s[12:13], s16, 22
	s_mov_b64 s[6:7], -1
	s_and_b64 vcc, exec, s[12:13]
	s_cbranch_vccz .LBB7_1873
; %bb.1842:
	v_cmp_lt_i16_e64 s[10:11], s16, 24
	s_and_b64 vcc, exec, s[10:11]
	s_cbranch_vccnz .LBB7_1862
; %bb.1843:
	v_cmp_gt_i16_e64 s[10:11], s16, 24
	s_and_b64 vcc, exec, s[10:11]
	s_cbranch_vccz .LBB7_1851
; %bb.1844:
	v_cvt_f32_f64_e32 v2, v[0:1]
	v_and_b32_e32 v3, 0x7fffffff, v2
	s_mov_b32 s6, 0x47800000
	v_cmp_gt_u32_e32 vcc, s6, v3
	v_mov_b32_e32 v7, 0x80
	s_and_saveexec_b64 s[6:7], vcc
	s_cbranch_execz .LBB7_1850
; %bb.1845:
	s_mov_b32 s10, 0x37ffffff
	v_cmp_lt_u32_e32 vcc, s10, v3
	s_mov_b64 s[10:11], 0
                                        ; implicit-def: $vgpr3
	s_and_saveexec_b64 s[12:13], vcc
	s_xor_b64 s[12:13], exec, s[12:13]
	s_cbranch_execz .LBB7_1937
; %bb.1846:
	v_bfe_u32 v3, v2, 21, 1
	s_mov_b32 s14, 0x88fffff
	v_add3_u32 v3, v2, v3, s14
	s_mov_b64 s[10:11], exec
	v_lshrrev_b32_e32 v3, 21, v3
	s_or_saveexec_b64 s[12:13], s[12:13]
                                        ; implicit-def: $sgpr14
	s_xor_b64 exec, exec, s[12:13]
	s_cbranch_execnz .LBB7_1938
.LBB7_1847:
	s_or_b64 exec, exec, s[12:13]
	v_mov_b32_e32 v7, s14
	s_and_saveexec_b64 s[12:13], s[10:11]
.LBB7_1848:
	v_lshrrev_b32_e32 v2, 24, v2
	s_movk_i32 s10, 0x80
	v_and_or_b32 v7, v2, s10, v3
.LBB7_1849:
	s_or_b64 exec, exec, s[12:13]
.LBB7_1850:
	s_or_b64 exec, exec, s[6:7]
	s_mov_b64 s[6:7], 0
	global_store_byte v[16:17], v7, off
.LBB7_1851:
	s_and_b64 vcc, exec, s[6:7]
	s_cbranch_vccz .LBB7_1861
; %bb.1852:
	v_cvt_f32_f64_e32 v2, v[0:1]
	v_and_b32_e32 v7, 0x7fffffff, v2
	s_mov_b32 s6, 0x43f00000
	v_cmp_gt_u32_e32 vcc, s6, v7
                                        ; implicit-def: $vgpr3
	s_and_saveexec_b64 s[6:7], vcc
	s_xor_b64 s[6:7], exec, s[6:7]
	s_cbranch_execz .LBB7_1858
; %bb.1853:
	s_mov_b32 s10, 0x3c7fffff
	v_cmp_lt_u32_e32 vcc, s10, v7
                                        ; implicit-def: $vgpr3
	s_and_saveexec_b64 s[10:11], vcc
	s_xor_b64 s[10:11], exec, s[10:11]
; %bb.1854:
	v_bfe_u32 v3, v2, 20, 1
	s_mov_b32 s12, 0x407ffff
	v_add3_u32 v3, v2, v3, s12
	v_lshrrev_b32_e32 v7, 20, v3
	v_and_b32_e32 v3, 0xff00000, v3
	s_mov_b32 s12, 0x7f00000
	v_mov_b32_e32 v11, 0x7e
	v_cmp_ne_u32_e32 vcc, s12, v3
	v_cndmask_b32_e32 v3, v11, v7, vcc
; %bb.1855:
	s_andn2_saveexec_b64 s[10:11], s[10:11]
; %bb.1856:
	s_mov_b32 s12, 0x46800000
	v_add_f32_e64 v3, |v2|, s12
; %bb.1857:
	s_or_b64 exec, exec, s[10:11]
                                        ; implicit-def: $vgpr7
.LBB7_1858:
	s_andn2_saveexec_b64 s[6:7], s[6:7]
; %bb.1859:
	s_mov_b32 s10, 0x7f800000
	v_mov_b32_e32 v3, 0x7e
	v_mov_b32_e32 v11, 0x7f
	v_cmp_lt_u32_e32 vcc, s10, v7
	v_cndmask_b32_e32 v3, v3, v11, vcc
; %bb.1860:
	s_or_b64 exec, exec, s[6:7]
	v_lshrrev_b32_e32 v2, 24, v2
	s_movk_i32 s6, 0x80
	v_and_or_b32 v2, v2, s6, v3
	global_store_byte v[16:17], v2, off
.LBB7_1861:
	s_mov_b64 s[6:7], 0
.LBB7_1862:
	s_andn2_b64 vcc, exec, s[6:7]
	s_cbranch_vccnz .LBB7_1872
; %bb.1863:
	v_cvt_f32_f64_e32 v2, v[0:1]
	v_and_b32_e32 v7, 0x7fffffff, v2
	s_mov_b32 s6, 0x47800000
	v_cmp_gt_u32_e32 vcc, s6, v7
                                        ; implicit-def: $vgpr3
	s_and_saveexec_b64 s[6:7], vcc
	s_xor_b64 s[6:7], exec, s[6:7]
	s_cbranch_execz .LBB7_1869
; %bb.1864:
	s_mov_b32 s10, 0x387fffff
	v_cmp_lt_u32_e32 vcc, s10, v7
                                        ; implicit-def: $vgpr3
	s_and_saveexec_b64 s[10:11], vcc
	s_xor_b64 s[10:11], exec, s[10:11]
; %bb.1865:
	v_bfe_u32 v3, v2, 21, 1
	s_mov_b32 s12, 0x80fffff
	v_add3_u32 v3, v2, v3, s12
	v_lshrrev_b32_e32 v3, 21, v3
; %bb.1866:
	s_andn2_saveexec_b64 s[10:11], s[10:11]
; %bb.1867:
	s_mov_b32 s12, 0x43000000
	v_add_f32_e64 v3, |v2|, s12
; %bb.1868:
	s_or_b64 exec, exec, s[10:11]
                                        ; implicit-def: $vgpr7
.LBB7_1869:
	s_andn2_saveexec_b64 s[6:7], s[6:7]
; %bb.1870:
	s_mov_b32 s10, 0x7f800000
	v_mov_b32_e32 v3, 0x7c
	v_mov_b32_e32 v11, 0x7f
	v_cmp_lt_u32_e32 vcc, s10, v7
	v_cndmask_b32_e32 v3, v3, v11, vcc
; %bb.1871:
	s_or_b64 exec, exec, s[6:7]
	v_lshrrev_b32_e32 v2, 24, v2
	s_movk_i32 s6, 0x80
	v_and_or_b32 v2, v2, s6, v3
	global_store_byte v[16:17], v2, off
.LBB7_1872:
	s_mov_b64 s[6:7], 0
	s_mov_b64 s[10:11], -1
.LBB7_1873:
	s_andn2_b64 vcc, exec, s[6:7]
	s_mov_b64 s[6:7], 0
	s_cbranch_vccnz .LBB7_1880
; %bb.1874:
	v_cmp_gt_i16_e64 s[6:7], s16, 14
	s_mov_b64 s[12:13], -1
	s_and_b64 vcc, exec, s[6:7]
	s_cbranch_vccz .LBB7_1878
; %bb.1875:
	v_cmp_eq_u16_e64 s[6:7], s16, 15
	s_mov_b64 s[0:1], -1
	s_and_b64 vcc, exec, s[6:7]
	s_cbranch_vccz .LBB7_1877
; %bb.1876:
	v_cvt_f32_f64_e32 v2, v[0:1]
	v_bfe_u32 v3, v2, 16, 1
	s_movk_i32 s0, 0x7fff
	v_add3_u32 v3, v2, v3, s0
	v_lshrrev_b32_e32 v3, 16, v3
	v_mov_b32_e32 v7, 0x7fc0
	v_cmp_o_f32_e32 vcc, v2, v2
	v_cndmask_b32_e32 v2, v7, v3, vcc
	global_store_short v[16:17], v2, off
	s_mov_b64 s[0:1], 0
	s_mov_b64 s[10:11], -1
.LBB7_1877:
	s_mov_b64 s[12:13], 0
.LBB7_1878:
	s_mov_b64 s[6:7], 0
	s_and_b64 vcc, exec, s[12:13]
	s_cbranch_vccz .LBB7_1880
; %bb.1879:
	v_cmp_ne_u16_e64 s[0:1], s16, 11
	s_mov_b64 s[6:7], -1
.LBB7_1880:
	s_and_b64 vcc, exec, s[0:1]
	s_cbranch_vccnz .LBB7_1936
; %bb.1881:
	s_andn2_b64 vcc, exec, s[6:7]
	s_cbranch_vccnz .LBB7_1883
.LBB7_1882:
	v_cmp_neq_f64_e32 vcc, 0, v[0:1]
	v_cndmask_b32_e64 v2, 0, 1, vcc
	s_mov_b64 s[10:11], -1
	global_store_byte v[16:17], v2, off
.LBB7_1883:
	s_mov_b64 s[0:1], 0
.LBB7_1884:
	s_and_b64 vcc, exec, s[0:1]
	s_cbranch_vccz .LBB7_1923
; %bb.1885:
	v_cmp_lt_i16_e64 s[6:7], s16, 5
	s_mov_b64 s[0:1], -1
	s_and_b64 vcc, exec, s[6:7]
	s_cbranch_vccnz .LBB7_1906
; %bb.1886:
	v_cmp_lt_i16_e64 s[6:7], s16, 8
	s_and_b64 vcc, exec, s[6:7]
	s_cbranch_vccnz .LBB7_1896
; %bb.1887:
	v_cmp_lt_i16_e64 s[6:7], s16, 9
	s_and_b64 vcc, exec, s[6:7]
	s_cbranch_vccnz .LBB7_1893
; %bb.1888:
	v_cmp_gt_i16_e64 s[6:7], s16, 9
	s_and_b64 vcc, exec, s[6:7]
	s_cbranch_vccz .LBB7_1890
; %bb.1889:
	v_mov_b32_e32 v2, 0
	v_mov_b32_e32 v3, v2
	global_store_dwordx4 v[16:17], v[0:3], off
	s_mov_b64 s[0:1], 0
.LBB7_1890:
	s_andn2_b64 vcc, exec, s[0:1]
	s_cbranch_vccnz .LBB7_1892
; %bb.1891:
	v_cvt_f32_f64_e32 v2, v[0:1]
	v_mov_b32_e32 v3, 0
	global_store_dwordx2 v[16:17], v[2:3], off
.LBB7_1892:
	s_mov_b64 s[0:1], 0
.LBB7_1893:
	s_andn2_b64 vcc, exec, s[0:1]
	s_cbranch_vccnz .LBB7_1895
; %bb.1894:
	v_cvt_f32_f64_e32 v2, v[0:1]
	v_cvt_f16_f32_e32 v2, v2
	global_store_dword v[16:17], v2, off
.LBB7_1895:
	s_mov_b64 s[0:1], 0
.LBB7_1896:
	s_andn2_b64 vcc, exec, s[0:1]
	s_cbranch_vccnz .LBB7_1905
; %bb.1897:
	v_cmp_lt_i16_e64 s[6:7], s16, 6
	s_mov_b64 s[0:1], -1
	s_and_b64 vcc, exec, s[6:7]
	s_cbranch_vccnz .LBB7_1903
; %bb.1898:
	v_cmp_gt_i16_e64 s[6:7], s16, 6
	s_and_b64 vcc, exec, s[6:7]
	s_cbranch_vccz .LBB7_1900
; %bb.1899:
	global_store_dwordx2 v[16:17], v[0:1], off
	s_mov_b64 s[0:1], 0
.LBB7_1900:
	s_andn2_b64 vcc, exec, s[0:1]
	s_cbranch_vccnz .LBB7_1902
; %bb.1901:
	v_cvt_f32_f64_e32 v2, v[0:1]
	global_store_dword v[16:17], v2, off
.LBB7_1902:
	s_mov_b64 s[0:1], 0
.LBB7_1903:
	s_andn2_b64 vcc, exec, s[0:1]
	s_cbranch_vccnz .LBB7_1905
; %bb.1904:
	v_cvt_f32_f64_e32 v2, v[0:1]
	v_cvt_f16_f32_e32 v2, v2
	global_store_short v[16:17], v2, off
.LBB7_1905:
	s_mov_b64 s[0:1], 0
.LBB7_1906:
	s_andn2_b64 vcc, exec, s[0:1]
	s_cbranch_vccnz .LBB7_1922
; %bb.1907:
	v_cmp_lt_i16_e64 s[6:7], s16, 2
	s_mov_b64 s[0:1], -1
	s_and_b64 vcc, exec, s[6:7]
	s_cbranch_vccnz .LBB7_1917
; %bb.1908:
	v_cmp_lt_i16_e64 s[6:7], s16, 3
	s_and_b64 vcc, exec, s[6:7]
	s_cbranch_vccnz .LBB7_1914
; %bb.1909:
	v_cmp_gt_i16_e64 s[6:7], s16, 3
	s_and_b64 vcc, exec, s[6:7]
	s_cbranch_vccz .LBB7_1911
; %bb.1910:
	v_trunc_f64_e32 v[2:3], v[0:1]
	s_movk_i32 s0, 0xffe0
	v_ldexp_f64 v[18:19], v[2:3], s0
	v_floor_f64_e32 v[18:19], v[18:19]
	v_fmac_f64_e32 v[2:3], 0xc1f00000, v[18:19]
	v_cvt_i32_f64_e32 v21, v[18:19]
	v_cvt_u32_f64_e32 v20, v[2:3]
	global_store_dwordx2 v[16:17], v[20:21], off
	s_mov_b64 s[0:1], 0
.LBB7_1911:
	s_andn2_b64 vcc, exec, s[0:1]
	s_cbranch_vccnz .LBB7_1913
; %bb.1912:
	v_cvt_i32_f64_e32 v2, v[0:1]
	global_store_dword v[16:17], v2, off
.LBB7_1913:
	s_mov_b64 s[0:1], 0
.LBB7_1914:
	s_andn2_b64 vcc, exec, s[0:1]
	s_cbranch_vccnz .LBB7_1916
; %bb.1915:
	v_cvt_i32_f64_e32 v2, v[0:1]
	global_store_short v[16:17], v2, off
.LBB7_1916:
	s_mov_b64 s[0:1], 0
.LBB7_1917:
	s_andn2_b64 vcc, exec, s[0:1]
	s_cbranch_vccnz .LBB7_1922
; %bb.1918:
	v_cmp_gt_i16_e64 s[6:7], s16, 0
	s_mov_b64 s[0:1], -1
	s_and_b64 vcc, exec, s[6:7]
	s_cbranch_vccz .LBB7_1920
; %bb.1919:
	v_cvt_i32_f64_e32 v2, v[0:1]
	global_store_byte v[16:17], v2, off
	s_mov_b64 s[0:1], 0
.LBB7_1920:
	s_andn2_b64 vcc, exec, s[0:1]
	s_cbranch_vccnz .LBB7_1922
; %bb.1921:
	v_trunc_f64_e32 v[0:1], v[0:1]
	s_movk_i32 s0, 0xffe0
	v_ldexp_f64 v[2:3], v[0:1], s0
	v_floor_f64_e32 v[2:3], v[2:3]
	v_fmac_f64_e32 v[0:1], 0xc1f00000, v[2:3]
	v_cvt_u32_f64_e32 v0, v[0:1]
	global_store_byte v[16:17], v0, off
.LBB7_1922:
	s_mov_b64 s[10:11], -1
.LBB7_1923:
	s_andn2_b64 vcc, exec, s[10:11]
	s_cbranch_vccnz .LBB7_2186
; %bb.1924:
	v_mov_b32_e32 v1, s9
	v_add_co_u32_e32 v0, vcc, s8, v6
	v_addc_co_u32_e32 v1, vcc, 0, v1, vcc
	s_and_b64 vcc, exec, s[4:5]
	s_cbranch_vccnz .LBB7_1931
; %bb.1925:
	v_cmp_gt_i16_e64 s[0:1], s16, 25
	s_mov_b64 s[12:13], -1
	s_mov_b64 s[6:7], 0
	s_and_b64 vcc, exec, s[0:1]
	s_mov_b64 s[10:11], 0
	s_mov_b64 s[0:1], 0
	s_cbranch_vccz .LBB7_1967
; %bb.1926:
	v_cmp_gt_i16_e64 s[0:1], s16, 28
	s_and_b64 vcc, exec, s[0:1]
	s_cbranch_vccz .LBB7_1932
; %bb.1927:
	v_cmp_gt_i16_e64 s[0:1], s16, 43
	s_and_b64 vcc, exec, s[0:1]
	;; [unrolled: 4-line block ×3, first 2 shown]
	s_cbranch_vccz .LBB7_1939
; %bb.1929:
	v_cmp_eq_u16_e64 s[10:11], s16, 46
	s_mov_b64 s[0:1], -1
	s_mov_b64 s[12:13], 0
	s_and_b64 vcc, exec, s[10:11]
	s_mov_b64 s[10:11], 0
	s_cbranch_vccz .LBB7_1940
; %bb.1930:
	v_cvt_f32_f64_e32 v2, v[4:5]
	v_bfe_u32 v3, v2, 16, 1
	s_movk_i32 s0, 0x7fff
	v_add3_u32 v3, v2, v3, s0
	v_lshrrev_b32_e32 v3, 16, v3
	v_mov_b32_e32 v6, 0x7fc0
	v_cmp_o_f32_e32 vcc, v2, v2
	v_cndmask_b32_e32 v2, v6, v3, vcc
	global_store_dword v[0:1], v2, off
	s_mov_b64 s[0:1], 0
	s_mov_b64 s[10:11], -1
	s_branch .LBB7_1940
.LBB7_1931:
	s_mov_b64 s[0:1], -1
	s_mov_b64 s[10:11], 0
	s_branch .LBB7_2011
.LBB7_1932:
	s_mov_b64 s[0:1], 0
	s_branch .LBB7_1950
.LBB7_1933:
	s_or_saveexec_b64 s[14:15], s[14:15]
                                        ; implicit-def: $sgpr17
	s_xor_b64 exec, exec, s[14:15]
	s_cbranch_execz .LBB7_1834
.LBB7_1934:
	s_mov_b32 s17, 0x46000000
	v_add_f32_e64 v3, |v2|, s17
	v_and_b32_e32 v3, 0xff, v3
	v_cmp_ne_u32_e32 vcc, 0, v3
	s_andn2_b64 s[12:13], s[12:13], exec
	s_and_b64 s[18:19], vcc, exec
	s_mov_b32 s17, 0
	s_or_b64 s[12:13], s[12:13], s[18:19]
	s_or_b64 exec, exec, s[14:15]
	v_mov_b32_e32 v7, s17
	s_and_saveexec_b64 s[14:15], s[12:13]
	s_cbranch_execnz .LBB7_1835
	s_branch .LBB7_1836
.LBB7_1935:
	s_mov_b64 s[0:1], 0
	s_branch .LBB7_1946
.LBB7_1936:
	s_trap 2
	s_or_b64 s[2:3], s[2:3], exec
	s_cbranch_execz .LBB7_1882
	s_branch .LBB7_1883
.LBB7_1937:
	s_or_saveexec_b64 s[12:13], s[12:13]
                                        ; implicit-def: $sgpr14
	s_xor_b64 exec, exec, s[12:13]
	s_cbranch_execz .LBB7_1847
.LBB7_1938:
	s_mov_b32 s14, 0x42800000
	v_add_f32_e64 v3, |v2|, s14
	v_and_b32_e32 v3, 0xff, v3
	v_cmp_ne_u32_e32 vcc, 0, v3
	s_andn2_b64 s[10:11], s[10:11], exec
	s_and_b64 s[18:19], vcc, exec
	s_mov_b32 s14, 0
	s_or_b64 s[10:11], s[10:11], s[18:19]
	s_or_b64 exec, exec, s[12:13]
	v_mov_b32_e32 v7, s14
	s_and_saveexec_b64 s[12:13], s[10:11]
	s_cbranch_execnz .LBB7_1848
	s_branch .LBB7_1849
.LBB7_1939:
	s_mov_b64 s[0:1], 0
.LBB7_1940:
	s_and_b64 vcc, exec, s[12:13]
	s_cbranch_vccz .LBB7_1945
; %bb.1941:
	v_cmp_eq_u16_e64 s[12:13], s16, 44
	s_mov_b64 s[0:1], -1
	s_and_b64 vcc, exec, s[12:13]
	s_cbranch_vccz .LBB7_1945
; %bb.1942:
	v_cvt_f32_f64_e32 v2, v[4:5]
	v_bfe_u32 v3, v2, 23, 8
	s_movk_i32 s0, 0xff
	v_cmp_ne_u32_e32 vcc, s0, v3
	v_mov_b32_e32 v6, 0xff
	s_and_saveexec_b64 s[10:11], vcc
; %bb.1943:
	s_mov_b32 s0, 0x3fffff
	v_lshrrev_b32_e32 v6, 23, v2
	v_and_b32_e32 v7, 0x400000, v2
	v_and_or_b32 v2, v2, s0, v3
	v_cmp_ne_u32_e32 vcc, 0, v7
	v_cmp_ne_u32_e64 s[0:1], 0, v2
	s_and_b64 s[0:1], vcc, s[0:1]
	v_cndmask_b32_e64 v2, 0, 1, s[0:1]
	v_add_u32_e32 v6, v6, v2
; %bb.1944:
	s_or_b64 exec, exec, s[10:11]
	s_mov_b64 s[0:1], 0
	s_mov_b64 s[10:11], -1
	global_store_byte v[0:1], v6, off
.LBB7_1945:
	s_mov_b64 s[12:13], 0
.LBB7_1946:
	s_and_b64 vcc, exec, s[12:13]
	s_cbranch_vccz .LBB7_1949
; %bb.1947:
	v_cmp_eq_u16_e64 s[12:13], s16, 29
	s_mov_b64 s[0:1], -1
	s_and_b64 vcc, exec, s[12:13]
	s_cbranch_vccz .LBB7_1949
; %bb.1948:
	v_trunc_f64_e32 v[2:3], v[4:5]
	s_movk_i32 s0, 0xffe0
	v_ldexp_f64 v[6:7], v[2:3], s0
	v_floor_f64_e32 v[6:7], v[6:7]
	v_fmac_f64_e32 v[2:3], 0xc1f00000, v[6:7]
	v_cvt_u32_f64_e32 v17, v[6:7]
	v_cvt_u32_f64_e32 v16, v[2:3]
	global_store_dwordx2 v[0:1], v[16:17], off
	s_mov_b64 s[0:1], 0
	s_mov_b64 s[10:11], -1
.LBB7_1949:
	s_mov_b64 s[12:13], 0
.LBB7_1950:
	s_and_b64 vcc, exec, s[12:13]
	s_cbranch_vccz .LBB7_1966
; %bb.1951:
	v_cmp_lt_i16_e64 s[12:13], s16, 27
	s_mov_b64 s[10:11], -1
	s_and_b64 vcc, exec, s[12:13]
	s_cbranch_vccnz .LBB7_1957
; %bb.1952:
	v_cmp_gt_i16_e64 s[12:13], s16, 27
	s_and_b64 vcc, exec, s[12:13]
	s_cbranch_vccz .LBB7_1954
; %bb.1953:
	v_cvt_u32_f64_e32 v2, v[4:5]
	s_mov_b64 s[10:11], 0
	global_store_dword v[0:1], v2, off
.LBB7_1954:
	s_andn2_b64 vcc, exec, s[10:11]
	s_cbranch_vccnz .LBB7_1956
; %bb.1955:
	v_cvt_u32_f64_e32 v2, v[4:5]
	global_store_short v[0:1], v2, off
.LBB7_1956:
	s_mov_b64 s[10:11], 0
.LBB7_1957:
	s_andn2_b64 vcc, exec, s[10:11]
	s_cbranch_vccnz .LBB7_1965
; %bb.1958:
	v_cvt_f32_f64_e32 v2, v[4:5]
	v_and_b32_e32 v3, 0x7fffffff, v2
	s_mov_b32 s10, 0x43800000
	v_cmp_gt_u32_e32 vcc, s10, v3
	v_mov_b32_e32 v6, 0x80
	s_and_saveexec_b64 s[10:11], vcc
	s_cbranch_execz .LBB7_1964
; %bb.1959:
	s_mov_b32 s12, 0x3bffffff
	v_cmp_lt_u32_e32 vcc, s12, v3
	s_mov_b64 s[12:13], 0
                                        ; implicit-def: $vgpr3
	s_and_saveexec_b64 s[14:15], vcc
	s_xor_b64 s[14:15], exec, s[14:15]
	s_cbranch_execz .LBB7_2060
; %bb.1960:
	v_bfe_u32 v3, v2, 20, 1
	s_mov_b32 s17, 0x487ffff
	v_add3_u32 v3, v2, v3, s17
	s_mov_b64 s[12:13], exec
	v_lshrrev_b32_e32 v3, 20, v3
	s_or_saveexec_b64 s[14:15], s[14:15]
                                        ; implicit-def: $sgpr17
	s_xor_b64 exec, exec, s[14:15]
	s_cbranch_execnz .LBB7_2061
.LBB7_1961:
	s_or_b64 exec, exec, s[14:15]
	v_mov_b32_e32 v6, s17
	s_and_saveexec_b64 s[14:15], s[12:13]
.LBB7_1962:
	v_lshrrev_b32_e32 v2, 24, v2
	s_movk_i32 s12, 0x80
	v_and_or_b32 v6, v2, s12, v3
.LBB7_1963:
	s_or_b64 exec, exec, s[14:15]
.LBB7_1964:
	s_or_b64 exec, exec, s[10:11]
	global_store_byte v[0:1], v6, off
.LBB7_1965:
	s_mov_b64 s[10:11], -1
.LBB7_1966:
	s_mov_b64 s[12:13], 0
.LBB7_1967:
	s_and_b64 vcc, exec, s[12:13]
	s_cbranch_vccz .LBB7_2007
; %bb.1968:
	v_cmp_gt_i16_e64 s[12:13], s16, 22
	s_mov_b64 s[6:7], -1
	s_and_b64 vcc, exec, s[12:13]
	s_cbranch_vccz .LBB7_2000
; %bb.1969:
	v_cmp_lt_i16_e64 s[10:11], s16, 24
	s_and_b64 vcc, exec, s[10:11]
	s_cbranch_vccnz .LBB7_1989
; %bb.1970:
	v_cmp_gt_i16_e64 s[10:11], s16, 24
	s_and_b64 vcc, exec, s[10:11]
	s_cbranch_vccz .LBB7_1978
; %bb.1971:
	v_cvt_f32_f64_e32 v2, v[4:5]
	v_and_b32_e32 v3, 0x7fffffff, v2
	s_mov_b32 s6, 0x47800000
	v_cmp_gt_u32_e32 vcc, s6, v3
	v_mov_b32_e32 v6, 0x80
	s_and_saveexec_b64 s[6:7], vcc
	s_cbranch_execz .LBB7_1977
; %bb.1972:
	s_mov_b32 s10, 0x37ffffff
	v_cmp_lt_u32_e32 vcc, s10, v3
	s_mov_b64 s[10:11], 0
                                        ; implicit-def: $vgpr3
	s_and_saveexec_b64 s[12:13], vcc
	s_xor_b64 s[12:13], exec, s[12:13]
	s_cbranch_execz .LBB7_2064
; %bb.1973:
	v_bfe_u32 v3, v2, 21, 1
	s_mov_b32 s14, 0x88fffff
	v_add3_u32 v3, v2, v3, s14
	s_mov_b64 s[10:11], exec
	v_lshrrev_b32_e32 v3, 21, v3
	s_or_saveexec_b64 s[12:13], s[12:13]
                                        ; implicit-def: $sgpr14
	s_xor_b64 exec, exec, s[12:13]
	s_cbranch_execnz .LBB7_2065
.LBB7_1974:
	s_or_b64 exec, exec, s[12:13]
	v_mov_b32_e32 v6, s14
	s_and_saveexec_b64 s[12:13], s[10:11]
.LBB7_1975:
	v_lshrrev_b32_e32 v2, 24, v2
	s_movk_i32 s10, 0x80
	v_and_or_b32 v6, v2, s10, v3
.LBB7_1976:
	s_or_b64 exec, exec, s[12:13]
.LBB7_1977:
	s_or_b64 exec, exec, s[6:7]
	s_mov_b64 s[6:7], 0
	global_store_byte v[0:1], v6, off
.LBB7_1978:
	s_and_b64 vcc, exec, s[6:7]
	s_cbranch_vccz .LBB7_1988
; %bb.1979:
	v_cvt_f32_f64_e32 v2, v[4:5]
	v_and_b32_e32 v6, 0x7fffffff, v2
	s_mov_b32 s6, 0x43f00000
	v_cmp_gt_u32_e32 vcc, s6, v6
                                        ; implicit-def: $vgpr3
	s_and_saveexec_b64 s[6:7], vcc
	s_xor_b64 s[6:7], exec, s[6:7]
	s_cbranch_execz .LBB7_1985
; %bb.1980:
	s_mov_b32 s10, 0x3c7fffff
	v_cmp_lt_u32_e32 vcc, s10, v6
                                        ; implicit-def: $vgpr3
	s_and_saveexec_b64 s[10:11], vcc
	s_xor_b64 s[10:11], exec, s[10:11]
; %bb.1981:
	v_bfe_u32 v3, v2, 20, 1
	s_mov_b32 s12, 0x407ffff
	v_add3_u32 v3, v2, v3, s12
	v_lshrrev_b32_e32 v6, 20, v3
	v_and_b32_e32 v3, 0xff00000, v3
	s_mov_b32 s12, 0x7f00000
	v_mov_b32_e32 v7, 0x7e
	v_cmp_ne_u32_e32 vcc, s12, v3
	v_cndmask_b32_e32 v3, v7, v6, vcc
; %bb.1982:
	s_andn2_saveexec_b64 s[10:11], s[10:11]
; %bb.1983:
	s_mov_b32 s12, 0x46800000
	v_add_f32_e64 v3, |v2|, s12
; %bb.1984:
	s_or_b64 exec, exec, s[10:11]
                                        ; implicit-def: $vgpr6
.LBB7_1985:
	s_andn2_saveexec_b64 s[6:7], s[6:7]
; %bb.1986:
	s_mov_b32 s10, 0x7f800000
	v_mov_b32_e32 v3, 0x7e
	v_mov_b32_e32 v7, 0x7f
	v_cmp_lt_u32_e32 vcc, s10, v6
	v_cndmask_b32_e32 v3, v3, v7, vcc
; %bb.1987:
	s_or_b64 exec, exec, s[6:7]
	v_lshrrev_b32_e32 v2, 24, v2
	s_movk_i32 s6, 0x80
	v_and_or_b32 v2, v2, s6, v3
	global_store_byte v[0:1], v2, off
.LBB7_1988:
	s_mov_b64 s[6:7], 0
.LBB7_1989:
	s_andn2_b64 vcc, exec, s[6:7]
	s_cbranch_vccnz .LBB7_1999
; %bb.1990:
	v_cvt_f32_f64_e32 v2, v[4:5]
	v_and_b32_e32 v6, 0x7fffffff, v2
	s_mov_b32 s6, 0x47800000
	v_cmp_gt_u32_e32 vcc, s6, v6
                                        ; implicit-def: $vgpr3
	s_and_saveexec_b64 s[6:7], vcc
	s_xor_b64 s[6:7], exec, s[6:7]
	s_cbranch_execz .LBB7_1996
; %bb.1991:
	s_mov_b32 s10, 0x387fffff
	v_cmp_lt_u32_e32 vcc, s10, v6
                                        ; implicit-def: $vgpr3
	s_and_saveexec_b64 s[10:11], vcc
	s_xor_b64 s[10:11], exec, s[10:11]
; %bb.1992:
	v_bfe_u32 v3, v2, 21, 1
	s_mov_b32 s12, 0x80fffff
	v_add3_u32 v3, v2, v3, s12
	v_lshrrev_b32_e32 v3, 21, v3
; %bb.1993:
	s_andn2_saveexec_b64 s[10:11], s[10:11]
; %bb.1994:
	s_mov_b32 s12, 0x43000000
	v_add_f32_e64 v3, |v2|, s12
; %bb.1995:
	s_or_b64 exec, exec, s[10:11]
                                        ; implicit-def: $vgpr6
.LBB7_1996:
	s_andn2_saveexec_b64 s[6:7], s[6:7]
; %bb.1997:
	s_mov_b32 s10, 0x7f800000
	v_mov_b32_e32 v3, 0x7c
	v_mov_b32_e32 v7, 0x7f
	v_cmp_lt_u32_e32 vcc, s10, v6
	v_cndmask_b32_e32 v3, v3, v7, vcc
; %bb.1998:
	s_or_b64 exec, exec, s[6:7]
	v_lshrrev_b32_e32 v2, 24, v2
	s_movk_i32 s6, 0x80
	v_and_or_b32 v2, v2, s6, v3
	global_store_byte v[0:1], v2, off
.LBB7_1999:
	s_mov_b64 s[6:7], 0
	s_mov_b64 s[10:11], -1
.LBB7_2000:
	s_andn2_b64 vcc, exec, s[6:7]
	s_mov_b64 s[6:7], 0
	s_cbranch_vccnz .LBB7_2007
; %bb.2001:
	v_cmp_gt_i16_e64 s[6:7], s16, 14
	s_mov_b64 s[12:13], -1
	s_and_b64 vcc, exec, s[6:7]
	s_cbranch_vccz .LBB7_2005
; %bb.2002:
	v_cmp_eq_u16_e64 s[6:7], s16, 15
	s_mov_b64 s[0:1], -1
	s_and_b64 vcc, exec, s[6:7]
	s_cbranch_vccz .LBB7_2004
; %bb.2003:
	v_cvt_f32_f64_e32 v2, v[4:5]
	v_bfe_u32 v3, v2, 16, 1
	s_movk_i32 s0, 0x7fff
	v_add3_u32 v3, v2, v3, s0
	v_lshrrev_b32_e32 v3, 16, v3
	v_mov_b32_e32 v6, 0x7fc0
	v_cmp_o_f32_e32 vcc, v2, v2
	v_cndmask_b32_e32 v2, v6, v3, vcc
	global_store_short v[0:1], v2, off
	s_mov_b64 s[0:1], 0
	s_mov_b64 s[10:11], -1
.LBB7_2004:
	s_mov_b64 s[12:13], 0
.LBB7_2005:
	s_mov_b64 s[6:7], 0
	s_and_b64 vcc, exec, s[12:13]
	s_cbranch_vccz .LBB7_2007
; %bb.2006:
	v_cmp_ne_u16_e64 s[0:1], s16, 11
	s_mov_b64 s[6:7], -1
.LBB7_2007:
	s_and_b64 vcc, exec, s[0:1]
	s_cbranch_vccnz .LBB7_2063
; %bb.2008:
	s_andn2_b64 vcc, exec, s[6:7]
	s_cbranch_vccnz .LBB7_2010
.LBB7_2009:
	v_cmp_neq_f64_e32 vcc, 0, v[4:5]
	v_cndmask_b32_e64 v2, 0, 1, vcc
	s_mov_b64 s[10:11], -1
	global_store_byte v[0:1], v2, off
.LBB7_2010:
	s_mov_b64 s[0:1], 0
.LBB7_2011:
	s_and_b64 vcc, exec, s[0:1]
	s_cbranch_vccz .LBB7_2050
; %bb.2012:
	v_cmp_lt_i16_e64 s[6:7], s16, 5
	s_mov_b64 s[0:1], -1
	s_and_b64 vcc, exec, s[6:7]
	s_cbranch_vccnz .LBB7_2033
; %bb.2013:
	v_cmp_lt_i16_e64 s[6:7], s16, 8
	s_and_b64 vcc, exec, s[6:7]
	s_cbranch_vccnz .LBB7_2023
; %bb.2014:
	v_cmp_lt_i16_e64 s[6:7], s16, 9
	s_and_b64 vcc, exec, s[6:7]
	s_cbranch_vccnz .LBB7_2020
; %bb.2015:
	v_cmp_gt_i16_e64 s[6:7], s16, 9
	s_and_b64 vcc, exec, s[6:7]
	s_cbranch_vccz .LBB7_2017
; %bb.2016:
	v_mov_b32_e32 v6, 0
	v_mov_b32_e32 v7, v6
	global_store_dwordx4 v[0:1], v[4:7], off
	s_mov_b64 s[0:1], 0
.LBB7_2017:
	s_andn2_b64 vcc, exec, s[0:1]
	s_cbranch_vccnz .LBB7_2019
; %bb.2018:
	v_cvt_f32_f64_e32 v2, v[4:5]
	v_mov_b32_e32 v3, 0
	global_store_dwordx2 v[0:1], v[2:3], off
.LBB7_2019:
	s_mov_b64 s[0:1], 0
.LBB7_2020:
	s_andn2_b64 vcc, exec, s[0:1]
	s_cbranch_vccnz .LBB7_2022
; %bb.2021:
	v_cvt_f32_f64_e32 v2, v[4:5]
	v_cvt_f16_f32_e32 v2, v2
	global_store_dword v[0:1], v2, off
.LBB7_2022:
	s_mov_b64 s[0:1], 0
.LBB7_2023:
	s_andn2_b64 vcc, exec, s[0:1]
	s_cbranch_vccnz .LBB7_2032
; %bb.2024:
	v_cmp_lt_i16_e64 s[6:7], s16, 6
	s_mov_b64 s[0:1], -1
	s_and_b64 vcc, exec, s[6:7]
	s_cbranch_vccnz .LBB7_2030
; %bb.2025:
	v_cmp_gt_i16_e64 s[6:7], s16, 6
	s_and_b64 vcc, exec, s[6:7]
	s_cbranch_vccz .LBB7_2027
; %bb.2026:
	global_store_dwordx2 v[0:1], v[4:5], off
	s_mov_b64 s[0:1], 0
.LBB7_2027:
	s_andn2_b64 vcc, exec, s[0:1]
	s_cbranch_vccnz .LBB7_2029
; %bb.2028:
	v_cvt_f32_f64_e32 v2, v[4:5]
	global_store_dword v[0:1], v2, off
.LBB7_2029:
	s_mov_b64 s[0:1], 0
.LBB7_2030:
	s_andn2_b64 vcc, exec, s[0:1]
	s_cbranch_vccnz .LBB7_2032
; %bb.2031:
	v_cvt_f32_f64_e32 v2, v[4:5]
	v_cvt_f16_f32_e32 v2, v2
	global_store_short v[0:1], v2, off
.LBB7_2032:
	s_mov_b64 s[0:1], 0
.LBB7_2033:
	s_andn2_b64 vcc, exec, s[0:1]
	s_cbranch_vccnz .LBB7_2049
; %bb.2034:
	v_cmp_lt_i16_e64 s[6:7], s16, 2
	s_mov_b64 s[0:1], -1
	s_and_b64 vcc, exec, s[6:7]
	s_cbranch_vccnz .LBB7_2044
; %bb.2035:
	v_cmp_lt_i16_e64 s[6:7], s16, 3
	s_and_b64 vcc, exec, s[6:7]
	s_cbranch_vccnz .LBB7_2041
; %bb.2036:
	v_cmp_gt_i16_e64 s[6:7], s16, 3
	s_and_b64 vcc, exec, s[6:7]
	s_cbranch_vccz .LBB7_2038
; %bb.2037:
	v_trunc_f64_e32 v[2:3], v[4:5]
	s_movk_i32 s0, 0xffe0
	v_ldexp_f64 v[6:7], v[2:3], s0
	v_floor_f64_e32 v[6:7], v[6:7]
	v_fmac_f64_e32 v[2:3], 0xc1f00000, v[6:7]
	v_cvt_i32_f64_e32 v17, v[6:7]
	v_cvt_u32_f64_e32 v16, v[2:3]
	global_store_dwordx2 v[0:1], v[16:17], off
	s_mov_b64 s[0:1], 0
.LBB7_2038:
	s_andn2_b64 vcc, exec, s[0:1]
	s_cbranch_vccnz .LBB7_2040
; %bb.2039:
	v_cvt_i32_f64_e32 v2, v[4:5]
	global_store_dword v[0:1], v2, off
.LBB7_2040:
	s_mov_b64 s[0:1], 0
.LBB7_2041:
	s_andn2_b64 vcc, exec, s[0:1]
	s_cbranch_vccnz .LBB7_2043
; %bb.2042:
	v_cvt_i32_f64_e32 v2, v[4:5]
	global_store_short v[0:1], v2, off
.LBB7_2043:
	s_mov_b64 s[0:1], 0
.LBB7_2044:
	s_andn2_b64 vcc, exec, s[0:1]
	s_cbranch_vccnz .LBB7_2049
; %bb.2045:
	v_cmp_gt_i16_e64 s[6:7], s16, 0
	s_mov_b64 s[0:1], -1
	s_and_b64 vcc, exec, s[6:7]
	s_cbranch_vccz .LBB7_2047
; %bb.2046:
	v_cvt_i32_f64_e32 v2, v[4:5]
	global_store_byte v[0:1], v2, off
	s_mov_b64 s[0:1], 0
.LBB7_2047:
	s_andn2_b64 vcc, exec, s[0:1]
	s_cbranch_vccnz .LBB7_2049
; %bb.2048:
	v_trunc_f64_e32 v[2:3], v[4:5]
	s_movk_i32 s0, 0xffe0
	v_ldexp_f64 v[4:5], v[2:3], s0
	v_floor_f64_e32 v[4:5], v[4:5]
	v_fmac_f64_e32 v[2:3], 0xc1f00000, v[4:5]
	v_cvt_u32_f64_e32 v2, v[2:3]
	global_store_byte v[0:1], v2, off
.LBB7_2049:
	s_mov_b64 s[10:11], -1
.LBB7_2050:
	s_andn2_b64 vcc, exec, s[10:11]
	s_cbranch_vccnz .LBB7_2186
; %bb.2051:
	v_mov_b32_e32 v1, s9
	v_add_co_u32_e32 v0, vcc, s8, v10
	v_addc_co_u32_e32 v1, vcc, 0, v1, vcc
	s_and_b64 vcc, exec, s[4:5]
	s_cbranch_vccnz .LBB7_2058
; %bb.2052:
	v_cmp_gt_i16_e64 s[0:1], s16, 25
	s_mov_b64 s[12:13], -1
	s_mov_b64 s[6:7], 0
	s_and_b64 vcc, exec, s[0:1]
	s_mov_b64 s[10:11], 0
	s_mov_b64 s[0:1], 0
	s_cbranch_vccz .LBB7_2094
; %bb.2053:
	v_cmp_gt_i16_e64 s[0:1], s16, 28
	s_and_b64 vcc, exec, s[0:1]
	s_cbranch_vccz .LBB7_2059
; %bb.2054:
	v_cmp_gt_i16_e64 s[0:1], s16, 43
	s_and_b64 vcc, exec, s[0:1]
	s_cbranch_vccz .LBB7_2062
; %bb.2055:
	v_cmp_gt_i16_e64 s[0:1], s16, 45
	s_and_b64 vcc, exec, s[0:1]
	s_cbranch_vccz .LBB7_2066
; %bb.2056:
	v_cmp_eq_u16_e64 s[10:11], s16, 46
	s_mov_b64 s[0:1], -1
	s_mov_b64 s[12:13], 0
	s_and_b64 vcc, exec, s[10:11]
	s_mov_b64 s[10:11], 0
	s_cbranch_vccz .LBB7_2067
; %bb.2057:
	v_cvt_f32_f64_e32 v2, v[8:9]
	v_bfe_u32 v3, v2, 16, 1
	s_movk_i32 s0, 0x7fff
	v_add3_u32 v3, v2, v3, s0
	v_lshrrev_b32_e32 v3, 16, v3
	v_mov_b32_e32 v4, 0x7fc0
	v_cmp_o_f32_e32 vcc, v2, v2
	v_cndmask_b32_e32 v2, v4, v3, vcc
	global_store_dword v[0:1], v2, off
	s_mov_b64 s[0:1], 0
	s_mov_b64 s[10:11], -1
	s_branch .LBB7_2067
.LBB7_2058:
	s_mov_b64 s[0:1], -1
	s_mov_b64 s[10:11], 0
	s_branch .LBB7_2138
.LBB7_2059:
	s_mov_b64 s[0:1], 0
	s_branch .LBB7_2077
.LBB7_2060:
	s_or_saveexec_b64 s[14:15], s[14:15]
                                        ; implicit-def: $sgpr17
	s_xor_b64 exec, exec, s[14:15]
	s_cbranch_execz .LBB7_1961
.LBB7_2061:
	s_mov_b32 s17, 0x46000000
	v_add_f32_e64 v3, |v2|, s17
	v_and_b32_e32 v3, 0xff, v3
	v_cmp_ne_u32_e32 vcc, 0, v3
	s_andn2_b64 s[12:13], s[12:13], exec
	s_and_b64 s[18:19], vcc, exec
	s_mov_b32 s17, 0
	s_or_b64 s[12:13], s[12:13], s[18:19]
	s_or_b64 exec, exec, s[14:15]
	v_mov_b32_e32 v6, s17
	s_and_saveexec_b64 s[14:15], s[12:13]
	s_cbranch_execnz .LBB7_1962
	s_branch .LBB7_1963
.LBB7_2062:
	s_mov_b64 s[0:1], 0
	s_branch .LBB7_2073
.LBB7_2063:
	s_trap 2
	s_or_b64 s[2:3], s[2:3], exec
	s_cbranch_execz .LBB7_2009
	s_branch .LBB7_2010
.LBB7_2064:
	s_or_saveexec_b64 s[12:13], s[12:13]
                                        ; implicit-def: $sgpr14
	s_xor_b64 exec, exec, s[12:13]
	s_cbranch_execz .LBB7_1974
.LBB7_2065:
	s_mov_b32 s14, 0x42800000
	v_add_f32_e64 v3, |v2|, s14
	v_and_b32_e32 v3, 0xff, v3
	v_cmp_ne_u32_e32 vcc, 0, v3
	s_andn2_b64 s[10:11], s[10:11], exec
	s_and_b64 s[18:19], vcc, exec
	s_mov_b32 s14, 0
	s_or_b64 s[10:11], s[10:11], s[18:19]
	s_or_b64 exec, exec, s[12:13]
	v_mov_b32_e32 v6, s14
	s_and_saveexec_b64 s[12:13], s[10:11]
	s_cbranch_execnz .LBB7_1975
	s_branch .LBB7_1976
.LBB7_2066:
	s_mov_b64 s[0:1], 0
.LBB7_2067:
	s_and_b64 vcc, exec, s[12:13]
	s_cbranch_vccz .LBB7_2072
; %bb.2068:
	v_cmp_eq_u16_e64 s[12:13], s16, 44
	s_mov_b64 s[0:1], -1
	s_and_b64 vcc, exec, s[12:13]
	s_cbranch_vccz .LBB7_2072
; %bb.2069:
	v_cvt_f32_f64_e32 v2, v[8:9]
	v_bfe_u32 v3, v2, 23, 8
	s_movk_i32 s0, 0xff
	v_cmp_ne_u32_e32 vcc, s0, v3
	v_mov_b32_e32 v4, 0xff
	s_and_saveexec_b64 s[10:11], vcc
; %bb.2070:
	s_mov_b32 s0, 0x3fffff
	v_lshrrev_b32_e32 v4, 23, v2
	v_and_b32_e32 v5, 0x400000, v2
	v_and_or_b32 v2, v2, s0, v3
	v_cmp_ne_u32_e32 vcc, 0, v5
	v_cmp_ne_u32_e64 s[0:1], 0, v2
	s_and_b64 s[0:1], vcc, s[0:1]
	v_cndmask_b32_e64 v2, 0, 1, s[0:1]
	v_add_u32_e32 v4, v4, v2
; %bb.2071:
	s_or_b64 exec, exec, s[10:11]
	s_mov_b64 s[0:1], 0
	s_mov_b64 s[10:11], -1
	global_store_byte v[0:1], v4, off
.LBB7_2072:
	s_mov_b64 s[12:13], 0
.LBB7_2073:
	s_and_b64 vcc, exec, s[12:13]
	s_cbranch_vccz .LBB7_2076
; %bb.2074:
	v_cmp_eq_u16_e64 s[12:13], s16, 29
	s_mov_b64 s[0:1], -1
	s_and_b64 vcc, exec, s[12:13]
	s_cbranch_vccz .LBB7_2076
; %bb.2075:
	v_trunc_f64_e32 v[2:3], v[8:9]
	s_movk_i32 s0, 0xffe0
	v_ldexp_f64 v[4:5], v[2:3], s0
	v_floor_f64_e32 v[4:5], v[4:5]
	v_fmac_f64_e32 v[2:3], 0xc1f00000, v[4:5]
	v_cvt_u32_f64_e32 v7, v[4:5]
	v_cvt_u32_f64_e32 v6, v[2:3]
	global_store_dwordx2 v[0:1], v[6:7], off
	s_mov_b64 s[0:1], 0
	s_mov_b64 s[10:11], -1
.LBB7_2076:
	s_mov_b64 s[12:13], 0
.LBB7_2077:
	s_and_b64 vcc, exec, s[12:13]
	s_cbranch_vccz .LBB7_2093
; %bb.2078:
	v_cmp_lt_i16_e64 s[12:13], s16, 27
	s_mov_b64 s[10:11], -1
	s_and_b64 vcc, exec, s[12:13]
	s_cbranch_vccnz .LBB7_2084
; %bb.2079:
	v_cmp_gt_i16_e64 s[12:13], s16, 27
	s_and_b64 vcc, exec, s[12:13]
	v_cvt_u32_f64_e32 v2, v[8:9]
	s_cbranch_vccz .LBB7_2081
; %bb.2080:
	s_mov_b64 s[10:11], 0
	global_store_dword v[0:1], v2, off
.LBB7_2081:
	s_andn2_b64 vcc, exec, s[10:11]
	s_cbranch_vccnz .LBB7_2083
; %bb.2082:
	global_store_short v[0:1], v2, off
.LBB7_2083:
	s_mov_b64 s[10:11], 0
.LBB7_2084:
	s_andn2_b64 vcc, exec, s[10:11]
	s_cbranch_vccnz .LBB7_2092
; %bb.2085:
	v_cvt_f32_f64_e32 v2, v[8:9]
	v_and_b32_e32 v3, 0x7fffffff, v2
	s_mov_b32 s10, 0x43800000
	v_cmp_gt_u32_e32 vcc, s10, v3
	v_mov_b32_e32 v4, 0x80
	s_and_saveexec_b64 s[10:11], vcc
	s_cbranch_execz .LBB7_2091
; %bb.2086:
	s_mov_b32 s12, 0x3bffffff
	v_cmp_lt_u32_e32 vcc, s12, v3
	s_mov_b64 s[12:13], 0
                                        ; implicit-def: $vgpr3
	s_and_saveexec_b64 s[14:15], vcc
	s_xor_b64 s[14:15], exec, s[14:15]
	s_cbranch_execz .LBB7_2189
; %bb.2087:
	v_bfe_u32 v3, v2, 20, 1
	s_mov_b32 s17, 0x487ffff
	v_add3_u32 v3, v2, v3, s17
	s_mov_b64 s[12:13], exec
	v_lshrrev_b32_e32 v3, 20, v3
	s_or_saveexec_b64 s[14:15], s[14:15]
                                        ; implicit-def: $sgpr17
	s_xor_b64 exec, exec, s[14:15]
	s_cbranch_execnz .LBB7_2190
.LBB7_2088:
	s_or_b64 exec, exec, s[14:15]
	v_mov_b32_e32 v4, s17
	s_and_saveexec_b64 s[14:15], s[12:13]
.LBB7_2089:
	v_lshrrev_b32_e32 v2, 24, v2
	s_movk_i32 s12, 0x80
	v_and_or_b32 v4, v2, s12, v3
.LBB7_2090:
	s_or_b64 exec, exec, s[14:15]
.LBB7_2091:
	s_or_b64 exec, exec, s[10:11]
	global_store_byte v[0:1], v4, off
.LBB7_2092:
	s_mov_b64 s[10:11], -1
.LBB7_2093:
	s_mov_b64 s[12:13], 0
.LBB7_2094:
	s_and_b64 vcc, exec, s[12:13]
	s_cbranch_vccz .LBB7_2134
; %bb.2095:
	v_cmp_gt_i16_e64 s[12:13], s16, 22
	s_mov_b64 s[6:7], -1
	s_and_b64 vcc, exec, s[12:13]
	s_cbranch_vccz .LBB7_2127
; %bb.2096:
	v_cmp_lt_i16_e64 s[10:11], s16, 24
	s_and_b64 vcc, exec, s[10:11]
	s_cbranch_vccnz .LBB7_2116
; %bb.2097:
	v_cmp_gt_i16_e64 s[10:11], s16, 24
	s_and_b64 vcc, exec, s[10:11]
	s_cbranch_vccz .LBB7_2105
; %bb.2098:
	v_cvt_f32_f64_e32 v2, v[8:9]
	v_and_b32_e32 v3, 0x7fffffff, v2
	s_mov_b32 s6, 0x47800000
	v_cmp_gt_u32_e32 vcc, s6, v3
	v_mov_b32_e32 v4, 0x80
	s_and_saveexec_b64 s[6:7], vcc
	s_cbranch_execz .LBB7_2104
; %bb.2099:
	s_mov_b32 s10, 0x37ffffff
	v_cmp_lt_u32_e32 vcc, s10, v3
	s_mov_b64 s[10:11], 0
                                        ; implicit-def: $vgpr3
	s_and_saveexec_b64 s[12:13], vcc
	s_xor_b64 s[12:13], exec, s[12:13]
	s_cbranch_execz .LBB7_2193
; %bb.2100:
	v_bfe_u32 v3, v2, 21, 1
	s_mov_b32 s14, 0x88fffff
	v_add3_u32 v3, v2, v3, s14
	s_mov_b64 s[10:11], exec
	v_lshrrev_b32_e32 v3, 21, v3
	s_or_saveexec_b64 s[12:13], s[12:13]
                                        ; implicit-def: $sgpr14
	s_xor_b64 exec, exec, s[12:13]
	s_cbranch_execnz .LBB7_2194
.LBB7_2101:
	s_or_b64 exec, exec, s[12:13]
	v_mov_b32_e32 v4, s14
	s_and_saveexec_b64 s[12:13], s[10:11]
.LBB7_2102:
	v_lshrrev_b32_e32 v2, 24, v2
	s_movk_i32 s10, 0x80
	v_and_or_b32 v4, v2, s10, v3
.LBB7_2103:
	s_or_b64 exec, exec, s[12:13]
.LBB7_2104:
	s_or_b64 exec, exec, s[6:7]
	s_mov_b64 s[6:7], 0
	global_store_byte v[0:1], v4, off
.LBB7_2105:
	s_and_b64 vcc, exec, s[6:7]
	s_cbranch_vccz .LBB7_2115
; %bb.2106:
	v_cvt_f32_f64_e32 v2, v[8:9]
	v_and_b32_e32 v4, 0x7fffffff, v2
	s_mov_b32 s6, 0x43f00000
	v_cmp_gt_u32_e32 vcc, s6, v4
                                        ; implicit-def: $vgpr3
	s_and_saveexec_b64 s[6:7], vcc
	s_xor_b64 s[6:7], exec, s[6:7]
	s_cbranch_execz .LBB7_2112
; %bb.2107:
	s_mov_b32 s10, 0x3c7fffff
	v_cmp_lt_u32_e32 vcc, s10, v4
                                        ; implicit-def: $vgpr3
	s_and_saveexec_b64 s[10:11], vcc
	s_xor_b64 s[10:11], exec, s[10:11]
; %bb.2108:
	v_bfe_u32 v3, v2, 20, 1
	s_mov_b32 s12, 0x407ffff
	v_add3_u32 v3, v2, v3, s12
	v_lshrrev_b32_e32 v4, 20, v3
	v_and_b32_e32 v3, 0xff00000, v3
	s_mov_b32 s12, 0x7f00000
	v_mov_b32_e32 v5, 0x7e
	v_cmp_ne_u32_e32 vcc, s12, v3
	v_cndmask_b32_e32 v3, v5, v4, vcc
; %bb.2109:
	s_andn2_saveexec_b64 s[10:11], s[10:11]
; %bb.2110:
	s_mov_b32 s12, 0x46800000
	v_add_f32_e64 v3, |v2|, s12
; %bb.2111:
	s_or_b64 exec, exec, s[10:11]
                                        ; implicit-def: $vgpr4
.LBB7_2112:
	s_andn2_saveexec_b64 s[6:7], s[6:7]
; %bb.2113:
	s_mov_b32 s10, 0x7f800000
	v_mov_b32_e32 v3, 0x7e
	v_mov_b32_e32 v5, 0x7f
	v_cmp_lt_u32_e32 vcc, s10, v4
	v_cndmask_b32_e32 v3, v3, v5, vcc
; %bb.2114:
	s_or_b64 exec, exec, s[6:7]
	v_lshrrev_b32_e32 v2, 24, v2
	s_movk_i32 s6, 0x80
	v_and_or_b32 v2, v2, s6, v3
	global_store_byte v[0:1], v2, off
.LBB7_2115:
	s_mov_b64 s[6:7], 0
.LBB7_2116:
	s_andn2_b64 vcc, exec, s[6:7]
	s_cbranch_vccnz .LBB7_2126
; %bb.2117:
	v_cvt_f32_f64_e32 v2, v[8:9]
	v_and_b32_e32 v4, 0x7fffffff, v2
	s_mov_b32 s6, 0x47800000
	v_cmp_gt_u32_e32 vcc, s6, v4
                                        ; implicit-def: $vgpr3
	s_and_saveexec_b64 s[6:7], vcc
	s_xor_b64 s[6:7], exec, s[6:7]
	s_cbranch_execz .LBB7_2123
; %bb.2118:
	s_mov_b32 s10, 0x387fffff
	v_cmp_lt_u32_e32 vcc, s10, v4
                                        ; implicit-def: $vgpr3
	s_and_saveexec_b64 s[10:11], vcc
	s_xor_b64 s[10:11], exec, s[10:11]
; %bb.2119:
	v_bfe_u32 v3, v2, 21, 1
	s_mov_b32 s12, 0x80fffff
	v_add3_u32 v3, v2, v3, s12
	v_lshrrev_b32_e32 v3, 21, v3
; %bb.2120:
	s_andn2_saveexec_b64 s[10:11], s[10:11]
; %bb.2121:
	s_mov_b32 s12, 0x43000000
	v_add_f32_e64 v3, |v2|, s12
; %bb.2122:
	s_or_b64 exec, exec, s[10:11]
                                        ; implicit-def: $vgpr4
.LBB7_2123:
	s_andn2_saveexec_b64 s[6:7], s[6:7]
; %bb.2124:
	s_mov_b32 s10, 0x7f800000
	v_mov_b32_e32 v3, 0x7c
	v_mov_b32_e32 v5, 0x7f
	v_cmp_lt_u32_e32 vcc, s10, v4
	v_cndmask_b32_e32 v3, v3, v5, vcc
; %bb.2125:
	s_or_b64 exec, exec, s[6:7]
	v_lshrrev_b32_e32 v2, 24, v2
	s_movk_i32 s6, 0x80
	v_and_or_b32 v2, v2, s6, v3
	global_store_byte v[0:1], v2, off
.LBB7_2126:
	s_mov_b64 s[6:7], 0
	s_mov_b64 s[10:11], -1
.LBB7_2127:
	s_andn2_b64 vcc, exec, s[6:7]
	s_mov_b64 s[6:7], 0
	s_cbranch_vccnz .LBB7_2134
; %bb.2128:
	v_cmp_gt_i16_e64 s[6:7], s16, 14
	s_mov_b64 s[12:13], -1
	s_and_b64 vcc, exec, s[6:7]
	s_cbranch_vccz .LBB7_2132
; %bb.2129:
	v_cmp_eq_u16_e64 s[6:7], s16, 15
	s_mov_b64 s[0:1], -1
	s_and_b64 vcc, exec, s[6:7]
	s_cbranch_vccz .LBB7_2131
; %bb.2130:
	v_cvt_f32_f64_e32 v2, v[8:9]
	v_bfe_u32 v3, v2, 16, 1
	s_movk_i32 s0, 0x7fff
	v_add3_u32 v3, v2, v3, s0
	v_lshrrev_b32_e32 v3, 16, v3
	v_mov_b32_e32 v4, 0x7fc0
	v_cmp_o_f32_e32 vcc, v2, v2
	v_cndmask_b32_e32 v2, v4, v3, vcc
	global_store_short v[0:1], v2, off
	s_mov_b64 s[0:1], 0
	s_mov_b64 s[10:11], -1
.LBB7_2131:
	s_mov_b64 s[12:13], 0
.LBB7_2132:
	s_mov_b64 s[6:7], 0
	s_and_b64 vcc, exec, s[12:13]
	s_cbranch_vccz .LBB7_2134
; %bb.2133:
	v_cmp_ne_u16_e64 s[0:1], s16, 11
	s_mov_b64 s[6:7], -1
.LBB7_2134:
	s_and_b64 vcc, exec, s[0:1]
	s_cbranch_vccnz .LBB7_2192
; %bb.2135:
	s_andn2_b64 vcc, exec, s[6:7]
	s_cbranch_vccnz .LBB7_2137
.LBB7_2136:
	v_cmp_neq_f64_e32 vcc, 0, v[8:9]
	v_cndmask_b32_e64 v2, 0, 1, vcc
	s_mov_b64 s[10:11], -1
	global_store_byte v[0:1], v2, off
.LBB7_2137:
	s_mov_b64 s[0:1], 0
.LBB7_2138:
	s_and_b64 vcc, exec, s[0:1]
	s_cbranch_vccz .LBB7_2177
; %bb.2139:
	v_cmp_lt_i16_e64 s[6:7], s16, 5
	s_mov_b64 s[0:1], -1
	s_and_b64 vcc, exec, s[6:7]
	s_cbranch_vccnz .LBB7_2160
; %bb.2140:
	v_cmp_lt_i16_e64 s[6:7], s16, 8
	s_and_b64 vcc, exec, s[6:7]
	s_cbranch_vccnz .LBB7_2150
; %bb.2141:
	v_cmp_lt_i16_e64 s[6:7], s16, 9
	s_and_b64 vcc, exec, s[6:7]
	s_cbranch_vccnz .LBB7_2147
; %bb.2142:
	v_cmp_gt_i16_e64 s[6:7], s16, 9
	s_and_b64 vcc, exec, s[6:7]
	s_cbranch_vccz .LBB7_2144
; %bb.2143:
	v_mov_b32_e32 v10, 0
	v_mov_b32_e32 v11, v10
	global_store_dwordx4 v[0:1], v[8:11], off
	s_mov_b64 s[0:1], 0
.LBB7_2144:
	s_andn2_b64 vcc, exec, s[0:1]
	s_cbranch_vccnz .LBB7_2146
; %bb.2145:
	v_cvt_f32_f64_e32 v2, v[8:9]
	v_mov_b32_e32 v3, 0
	global_store_dwordx2 v[0:1], v[2:3], off
.LBB7_2146:
	s_mov_b64 s[0:1], 0
.LBB7_2147:
	s_andn2_b64 vcc, exec, s[0:1]
	s_cbranch_vccnz .LBB7_2149
; %bb.2148:
	v_cvt_f32_f64_e32 v2, v[8:9]
	v_cvt_f16_f32_e32 v2, v2
	global_store_dword v[0:1], v2, off
.LBB7_2149:
	s_mov_b64 s[0:1], 0
.LBB7_2150:
	s_andn2_b64 vcc, exec, s[0:1]
	s_cbranch_vccnz .LBB7_2159
; %bb.2151:
	v_cmp_lt_i16_e64 s[6:7], s16, 6
	s_mov_b64 s[0:1], -1
	s_and_b64 vcc, exec, s[6:7]
	s_cbranch_vccnz .LBB7_2157
; %bb.2152:
	v_cmp_gt_i16_e64 s[6:7], s16, 6
	s_and_b64 vcc, exec, s[6:7]
	s_cbranch_vccz .LBB7_2154
; %bb.2153:
	global_store_dwordx2 v[0:1], v[8:9], off
	s_mov_b64 s[0:1], 0
.LBB7_2154:
	s_andn2_b64 vcc, exec, s[0:1]
	s_cbranch_vccnz .LBB7_2156
; %bb.2155:
	v_cvt_f32_f64_e32 v2, v[8:9]
	global_store_dword v[0:1], v2, off
.LBB7_2156:
	s_mov_b64 s[0:1], 0
.LBB7_2157:
	s_andn2_b64 vcc, exec, s[0:1]
	s_cbranch_vccnz .LBB7_2159
; %bb.2158:
	v_cvt_f32_f64_e32 v2, v[8:9]
	v_cvt_f16_f32_e32 v2, v2
	global_store_short v[0:1], v2, off
.LBB7_2159:
	s_mov_b64 s[0:1], 0
.LBB7_2160:
	s_andn2_b64 vcc, exec, s[0:1]
	s_cbranch_vccnz .LBB7_2176
; %bb.2161:
	v_cmp_lt_i16_e64 s[6:7], s16, 2
	s_mov_b64 s[0:1], -1
	s_and_b64 vcc, exec, s[6:7]
	s_cbranch_vccnz .LBB7_2171
; %bb.2162:
	v_cmp_lt_i16_e64 s[6:7], s16, 3
	s_and_b64 vcc, exec, s[6:7]
	s_cbranch_vccnz .LBB7_2168
; %bb.2163:
	v_cmp_gt_i16_e64 s[6:7], s16, 3
	s_and_b64 vcc, exec, s[6:7]
	s_cbranch_vccz .LBB7_2165
; %bb.2164:
	v_trunc_f64_e32 v[2:3], v[8:9]
	s_movk_i32 s0, 0xffe0
	v_ldexp_f64 v[4:5], v[2:3], s0
	v_floor_f64_e32 v[4:5], v[4:5]
	v_fmac_f64_e32 v[2:3], 0xc1f00000, v[4:5]
	v_cvt_i32_f64_e32 v7, v[4:5]
	v_cvt_u32_f64_e32 v6, v[2:3]
	global_store_dwordx2 v[0:1], v[6:7], off
	s_mov_b64 s[0:1], 0
.LBB7_2165:
	s_andn2_b64 vcc, exec, s[0:1]
	s_cbranch_vccnz .LBB7_2167
; %bb.2166:
	v_cvt_i32_f64_e32 v2, v[8:9]
	global_store_dword v[0:1], v2, off
.LBB7_2167:
	s_mov_b64 s[0:1], 0
.LBB7_2168:
	s_andn2_b64 vcc, exec, s[0:1]
	s_cbranch_vccnz .LBB7_2170
; %bb.2169:
	v_cvt_i32_f64_e32 v2, v[8:9]
	global_store_short v[0:1], v2, off
.LBB7_2170:
	s_mov_b64 s[0:1], 0
.LBB7_2171:
	s_andn2_b64 vcc, exec, s[0:1]
	s_cbranch_vccnz .LBB7_2176
; %bb.2172:
	v_cmp_gt_i16_e64 s[6:7], s16, 0
	s_mov_b64 s[0:1], -1
	s_and_b64 vcc, exec, s[6:7]
	s_cbranch_vccz .LBB7_2174
; %bb.2173:
	v_cvt_i32_f64_e32 v2, v[8:9]
	global_store_byte v[0:1], v2, off
	s_mov_b64 s[0:1], 0
.LBB7_2174:
	s_andn2_b64 vcc, exec, s[0:1]
	s_cbranch_vccnz .LBB7_2176
; %bb.2175:
	v_trunc_f64_e32 v[2:3], v[8:9]
	s_movk_i32 s0, 0xffe0
	v_ldexp_f64 v[4:5], v[2:3], s0
	v_floor_f64_e32 v[4:5], v[4:5]
	v_fmac_f64_e32 v[2:3], 0xc1f00000, v[4:5]
	v_cvt_u32_f64_e32 v2, v[2:3]
	global_store_byte v[0:1], v2, off
.LBB7_2176:
	s_mov_b64 s[10:11], -1
.LBB7_2177:
	s_andn2_b64 vcc, exec, s[10:11]
	s_cbranch_vccnz .LBB7_2186
; %bb.2178:
	v_mov_b32_e32 v1, s9
	v_add_co_u32_e32 v0, vcc, s8, v14
	v_addc_co_u32_e32 v1, vcc, 0, v1, vcc
	s_and_b64 vcc, exec, s[4:5]
	s_cbranch_vccnz .LBB7_2187
; %bb.2179:
	v_cmp_gt_i16_e64 s[0:1], s16, 25
	s_mov_b64 s[6:7], -1
	s_mov_b64 s[4:5], 0
	s_and_b64 vcc, exec, s[0:1]
	s_mov_b64 s[0:1], 0
	s_cbranch_vccz .LBB7_2222
; %bb.2180:
	v_cmp_gt_i16_e64 s[0:1], s16, 28
	s_and_b64 vcc, exec, s[0:1]
	s_cbranch_vccz .LBB7_2188
; %bb.2181:
	v_cmp_gt_i16_e64 s[0:1], s16, 43
	s_and_b64 vcc, exec, s[0:1]
	;; [unrolled: 4-line block ×3, first 2 shown]
	s_cbranch_vccz .LBB7_2195
; %bb.2183:
	v_cmp_eq_u16_e64 s[6:7], s16, 46
	s_mov_b64 s[0:1], -1
	s_and_b64 vcc, exec, s[6:7]
	s_cbranch_vccz .LBB7_2185
; %bb.2184:
	v_cvt_f32_f64_e32 v2, v[12:13]
	v_bfe_u32 v3, v2, 16, 1
	s_movk_i32 s0, 0x7fff
	v_add3_u32 v3, v2, v3, s0
	v_lshrrev_b32_e32 v3, 16, v3
	v_mov_b32_e32 v4, 0x7fc0
	v_cmp_o_f32_e32 vcc, v2, v2
	v_cndmask_b32_e32 v2, v4, v3, vcc
	global_store_dword v[0:1], v2, off
	s_mov_b64 s[0:1], 0
.LBB7_2185:
	s_mov_b64 s[6:7], 0
	s_branch .LBB7_2196
.LBB7_2186:
	s_mov_b64 s[0:1], 0
                                        ; implicit-def: $vgpr0_vgpr1
                                        ; implicit-def: $sgpr16
	s_branch .LBB7_1763
.LBB7_2187:
	s_mov_b64 s[4:5], 0
	s_mov_b64 s[0:1], -1
	s_branch .LBB7_1764
.LBB7_2188:
	s_mov_b64 s[0:1], 0
	s_branch .LBB7_2206
.LBB7_2189:
	s_or_saveexec_b64 s[14:15], s[14:15]
                                        ; implicit-def: $sgpr17
	s_xor_b64 exec, exec, s[14:15]
	s_cbranch_execz .LBB7_2088
.LBB7_2190:
	s_mov_b32 s17, 0x46000000
	v_add_f32_e64 v3, |v2|, s17
	v_and_b32_e32 v3, 0xff, v3
	v_cmp_ne_u32_e32 vcc, 0, v3
	s_andn2_b64 s[12:13], s[12:13], exec
	s_and_b64 s[18:19], vcc, exec
	s_mov_b32 s17, 0
	s_or_b64 s[12:13], s[12:13], s[18:19]
	s_or_b64 exec, exec, s[14:15]
	v_mov_b32_e32 v4, s17
	s_and_saveexec_b64 s[14:15], s[12:13]
	s_cbranch_execnz .LBB7_2089
	s_branch .LBB7_2090
.LBB7_2191:
	s_mov_b64 s[0:1], 0
	s_branch .LBB7_2202
.LBB7_2192:
	s_trap 2
	s_or_b64 s[2:3], s[2:3], exec
	s_cbranch_execz .LBB7_2136
	s_branch .LBB7_2137
.LBB7_2193:
	s_or_saveexec_b64 s[12:13], s[12:13]
                                        ; implicit-def: $sgpr14
	s_xor_b64 exec, exec, s[12:13]
	s_cbranch_execz .LBB7_2101
.LBB7_2194:
	s_mov_b32 s14, 0x42800000
	v_add_f32_e64 v3, |v2|, s14
	v_and_b32_e32 v3, 0xff, v3
	v_cmp_ne_u32_e32 vcc, 0, v3
	s_andn2_b64 s[10:11], s[10:11], exec
	s_and_b64 s[18:19], vcc, exec
	s_mov_b32 s14, 0
	s_or_b64 s[10:11], s[10:11], s[18:19]
	s_or_b64 exec, exec, s[12:13]
	v_mov_b32_e32 v4, s14
	s_and_saveexec_b64 s[12:13], s[10:11]
	s_cbranch_execnz .LBB7_2102
	s_branch .LBB7_2103
.LBB7_2195:
	s_mov_b64 s[0:1], 0
.LBB7_2196:
	s_and_b64 vcc, exec, s[6:7]
	s_cbranch_vccz .LBB7_2201
; %bb.2197:
	v_cmp_eq_u16_e64 s[6:7], s16, 44
	s_mov_b64 s[0:1], -1
	s_and_b64 vcc, exec, s[6:7]
	s_cbranch_vccz .LBB7_2201
; %bb.2198:
	v_cvt_f32_f64_e32 v2, v[12:13]
	v_bfe_u32 v3, v2, 23, 8
	s_movk_i32 s0, 0xff
	v_cmp_ne_u32_e32 vcc, s0, v3
	v_mov_b32_e32 v4, 0xff
	s_and_saveexec_b64 s[6:7], vcc
; %bb.2199:
	s_mov_b32 s0, 0x3fffff
	v_lshrrev_b32_e32 v4, 23, v2
	v_and_b32_e32 v5, 0x400000, v2
	v_and_or_b32 v2, v2, s0, v3
	v_cmp_ne_u32_e32 vcc, 0, v5
	v_cmp_ne_u32_e64 s[0:1], 0, v2
	s_and_b64 s[0:1], vcc, s[0:1]
	v_cndmask_b32_e64 v2, 0, 1, s[0:1]
	v_add_u32_e32 v4, v4, v2
; %bb.2200:
	s_or_b64 exec, exec, s[6:7]
	s_mov_b64 s[0:1], 0
	global_store_byte v[0:1], v4, off
.LBB7_2201:
	s_mov_b64 s[6:7], 0
.LBB7_2202:
	s_and_b64 vcc, exec, s[6:7]
	s_cbranch_vccz .LBB7_2205
; %bb.2203:
	v_cmp_eq_u16_e64 s[6:7], s16, 29
	s_mov_b64 s[0:1], -1
	s_and_b64 vcc, exec, s[6:7]
	s_cbranch_vccz .LBB7_2205
; %bb.2204:
	v_trunc_f64_e32 v[2:3], v[12:13]
	s_movk_i32 s0, 0xffe0
	v_ldexp_f64 v[4:5], v[2:3], s0
	v_floor_f64_e32 v[4:5], v[4:5]
	v_fmac_f64_e32 v[2:3], 0xc1f00000, v[4:5]
	v_cvt_u32_f64_e32 v7, v[4:5]
	v_cvt_u32_f64_e32 v6, v[2:3]
	global_store_dwordx2 v[0:1], v[6:7], off
	s_mov_b64 s[0:1], 0
.LBB7_2205:
	s_mov_b64 s[6:7], 0
.LBB7_2206:
	s_and_b64 vcc, exec, s[6:7]
	s_cbranch_vccz .LBB7_2221
; %bb.2207:
	v_cmp_lt_i16_e64 s[8:9], s16, 27
	s_mov_b64 s[6:7], -1
	s_and_b64 vcc, exec, s[8:9]
	s_cbranch_vccnz .LBB7_2213
; %bb.2208:
	v_cmp_gt_i16_e64 s[8:9], s16, 27
	s_and_b64 vcc, exec, s[8:9]
	s_cbranch_vccz .LBB7_2210
; %bb.2209:
	v_cvt_u32_f64_e32 v2, v[12:13]
	global_store_dword v[0:1], v2, off
	s_mov_b64 s[6:7], 0
.LBB7_2210:
	s_andn2_b64 vcc, exec, s[6:7]
	s_cbranch_vccnz .LBB7_2212
; %bb.2211:
	v_cvt_u32_f64_e32 v2, v[12:13]
	global_store_short v[0:1], v2, off
.LBB7_2212:
	s_mov_b64 s[6:7], 0
.LBB7_2213:
	s_andn2_b64 vcc, exec, s[6:7]
	s_cbranch_vccnz .LBB7_2221
; %bb.2214:
	v_cvt_f32_f64_e32 v2, v[12:13]
	v_and_b32_e32 v3, 0x7fffffff, v2
	s_mov_b32 s6, 0x43800000
	v_cmp_gt_u32_e32 vcc, s6, v3
	v_mov_b32_e32 v4, 0x80
	s_and_saveexec_b64 s[6:7], vcc
	s_cbranch_execz .LBB7_2220
; %bb.2215:
	s_mov_b32 s8, 0x3bffffff
	v_cmp_lt_u32_e32 vcc, s8, v3
	s_mov_b64 s[8:9], 0
                                        ; implicit-def: $vgpr3
	s_and_saveexec_b64 s[10:11], vcc
	s_xor_b64 s[10:11], exec, s[10:11]
	s_cbranch_execz .LBB7_2264
; %bb.2216:
	v_bfe_u32 v3, v2, 20, 1
	s_mov_b32 s12, 0x487ffff
	v_add3_u32 v3, v2, v3, s12
	s_mov_b64 s[8:9], exec
	v_lshrrev_b32_e32 v3, 20, v3
	s_or_saveexec_b64 s[10:11], s[10:11]
                                        ; implicit-def: $sgpr12
	s_xor_b64 exec, exec, s[10:11]
	s_cbranch_execnz .LBB7_2265
.LBB7_2217:
	s_or_b64 exec, exec, s[10:11]
	v_mov_b32_e32 v4, s12
	s_and_saveexec_b64 s[10:11], s[8:9]
.LBB7_2218:
	v_lshrrev_b32_e32 v2, 24, v2
	s_movk_i32 s8, 0x80
	v_and_or_b32 v4, v2, s8, v3
.LBB7_2219:
	s_or_b64 exec, exec, s[10:11]
.LBB7_2220:
	s_or_b64 exec, exec, s[6:7]
	global_store_byte v[0:1], v4, off
.LBB7_2221:
	s_mov_b64 s[6:7], 0
.LBB7_2222:
	s_and_b64 vcc, exec, s[6:7]
	s_cbranch_vccz .LBB7_2262
; %bb.2223:
	v_cmp_gt_i16_e64 s[6:7], s16, 22
	s_mov_b64 s[4:5], -1
	s_and_b64 vcc, exec, s[6:7]
	s_cbranch_vccz .LBB7_2255
; %bb.2224:
	v_cmp_lt_i16_e64 s[6:7], s16, 24
	s_and_b64 vcc, exec, s[6:7]
	s_cbranch_vccnz .LBB7_2244
; %bb.2225:
	v_cmp_gt_i16_e64 s[6:7], s16, 24
	s_and_b64 vcc, exec, s[6:7]
	s_cbranch_vccz .LBB7_2233
; %bb.2226:
	v_cvt_f32_f64_e32 v2, v[12:13]
	v_and_b32_e32 v3, 0x7fffffff, v2
	s_mov_b32 s4, 0x47800000
	v_cmp_gt_u32_e32 vcc, s4, v3
	v_mov_b32_e32 v4, 0x80
	s_and_saveexec_b64 s[4:5], vcc
	s_cbranch_execz .LBB7_2232
; %bb.2227:
	s_mov_b32 s6, 0x37ffffff
	v_cmp_lt_u32_e32 vcc, s6, v3
	s_mov_b64 s[6:7], 0
                                        ; implicit-def: $vgpr3
	s_and_saveexec_b64 s[8:9], vcc
	s_xor_b64 s[8:9], exec, s[8:9]
	s_cbranch_execz .LBB7_2267
; %bb.2228:
	v_bfe_u32 v3, v2, 21, 1
	s_mov_b32 s10, 0x88fffff
	v_add3_u32 v3, v2, v3, s10
	s_mov_b64 s[6:7], exec
	v_lshrrev_b32_e32 v3, 21, v3
	s_or_saveexec_b64 s[8:9], s[8:9]
                                        ; implicit-def: $sgpr10
	s_xor_b64 exec, exec, s[8:9]
	s_cbranch_execnz .LBB7_2268
.LBB7_2229:
	s_or_b64 exec, exec, s[8:9]
	v_mov_b32_e32 v4, s10
	s_and_saveexec_b64 s[8:9], s[6:7]
.LBB7_2230:
	v_lshrrev_b32_e32 v2, 24, v2
	s_movk_i32 s6, 0x80
	v_and_or_b32 v4, v2, s6, v3
.LBB7_2231:
	s_or_b64 exec, exec, s[8:9]
.LBB7_2232:
	s_or_b64 exec, exec, s[4:5]
	s_mov_b64 s[4:5], 0
	global_store_byte v[0:1], v4, off
.LBB7_2233:
	s_and_b64 vcc, exec, s[4:5]
	s_cbranch_vccz .LBB7_2243
; %bb.2234:
	v_cvt_f32_f64_e32 v2, v[12:13]
	v_and_b32_e32 v4, 0x7fffffff, v2
	s_mov_b32 s4, 0x43f00000
	v_cmp_gt_u32_e32 vcc, s4, v4
                                        ; implicit-def: $vgpr3
	s_and_saveexec_b64 s[4:5], vcc
	s_xor_b64 s[4:5], exec, s[4:5]
	s_cbranch_execz .LBB7_2240
; %bb.2235:
	s_mov_b32 s6, 0x3c7fffff
	v_cmp_lt_u32_e32 vcc, s6, v4
                                        ; implicit-def: $vgpr3
	s_and_saveexec_b64 s[6:7], vcc
	s_xor_b64 s[6:7], exec, s[6:7]
; %bb.2236:
	v_bfe_u32 v3, v2, 20, 1
	s_mov_b32 s8, 0x407ffff
	v_add3_u32 v3, v2, v3, s8
	v_lshrrev_b32_e32 v4, 20, v3
	v_and_b32_e32 v3, 0xff00000, v3
	s_mov_b32 s8, 0x7f00000
	v_mov_b32_e32 v5, 0x7e
	v_cmp_ne_u32_e32 vcc, s8, v3
	v_cndmask_b32_e32 v3, v5, v4, vcc
; %bb.2237:
	s_andn2_saveexec_b64 s[6:7], s[6:7]
; %bb.2238:
	s_mov_b32 s8, 0x46800000
	v_add_f32_e64 v3, |v2|, s8
; %bb.2239:
	s_or_b64 exec, exec, s[6:7]
                                        ; implicit-def: $vgpr4
.LBB7_2240:
	s_andn2_saveexec_b64 s[4:5], s[4:5]
; %bb.2241:
	s_mov_b32 s6, 0x7f800000
	v_mov_b32_e32 v3, 0x7e
	v_mov_b32_e32 v5, 0x7f
	v_cmp_lt_u32_e32 vcc, s6, v4
	v_cndmask_b32_e32 v3, v3, v5, vcc
; %bb.2242:
	s_or_b64 exec, exec, s[4:5]
	v_lshrrev_b32_e32 v2, 24, v2
	s_movk_i32 s4, 0x80
	v_and_or_b32 v2, v2, s4, v3
	global_store_byte v[0:1], v2, off
.LBB7_2243:
	s_mov_b64 s[4:5], 0
.LBB7_2244:
	s_andn2_b64 vcc, exec, s[4:5]
	s_cbranch_vccnz .LBB7_2254
; %bb.2245:
	v_cvt_f32_f64_e32 v2, v[12:13]
	v_and_b32_e32 v4, 0x7fffffff, v2
	s_mov_b32 s4, 0x47800000
	v_cmp_gt_u32_e32 vcc, s4, v4
                                        ; implicit-def: $vgpr3
	s_and_saveexec_b64 s[4:5], vcc
	s_xor_b64 s[4:5], exec, s[4:5]
	s_cbranch_execz .LBB7_2251
; %bb.2246:
	s_mov_b32 s6, 0x387fffff
	v_cmp_lt_u32_e32 vcc, s6, v4
                                        ; implicit-def: $vgpr3
	s_and_saveexec_b64 s[6:7], vcc
	s_xor_b64 s[6:7], exec, s[6:7]
; %bb.2247:
	v_bfe_u32 v3, v2, 21, 1
	s_mov_b32 s8, 0x80fffff
	v_add3_u32 v3, v2, v3, s8
	v_lshrrev_b32_e32 v3, 21, v3
; %bb.2248:
	s_andn2_saveexec_b64 s[6:7], s[6:7]
; %bb.2249:
	s_mov_b32 s8, 0x43000000
	v_add_f32_e64 v3, |v2|, s8
; %bb.2250:
	s_or_b64 exec, exec, s[6:7]
                                        ; implicit-def: $vgpr4
.LBB7_2251:
	s_andn2_saveexec_b64 s[4:5], s[4:5]
; %bb.2252:
	s_mov_b32 s6, 0x7f800000
	v_mov_b32_e32 v3, 0x7c
	v_mov_b32_e32 v5, 0x7f
	v_cmp_lt_u32_e32 vcc, s6, v4
	v_cndmask_b32_e32 v3, v3, v5, vcc
; %bb.2253:
	s_or_b64 exec, exec, s[4:5]
	v_lshrrev_b32_e32 v2, 24, v2
	s_movk_i32 s4, 0x80
	v_and_or_b32 v2, v2, s4, v3
	global_store_byte v[0:1], v2, off
.LBB7_2254:
	s_mov_b64 s[4:5], 0
.LBB7_2255:
	s_andn2_b64 vcc, exec, s[4:5]
	s_mov_b64 s[4:5], 0
	s_cbranch_vccnz .LBB7_2262
; %bb.2256:
	v_cmp_gt_i16_e64 s[4:5], s16, 14
	s_mov_b64 s[6:7], -1
	s_and_b64 vcc, exec, s[4:5]
	s_cbranch_vccz .LBB7_2260
; %bb.2257:
	v_cmp_eq_u16_e64 s[4:5], s16, 15
	s_mov_b64 s[0:1], -1
	s_and_b64 vcc, exec, s[4:5]
	s_cbranch_vccz .LBB7_2259
; %bb.2258:
	v_cvt_f32_f64_e32 v2, v[12:13]
	v_bfe_u32 v3, v2, 16, 1
	s_movk_i32 s0, 0x7fff
	v_add3_u32 v3, v2, v3, s0
	v_lshrrev_b32_e32 v3, 16, v3
	v_mov_b32_e32 v4, 0x7fc0
	v_cmp_o_f32_e32 vcc, v2, v2
	v_cndmask_b32_e32 v2, v4, v3, vcc
	global_store_short v[0:1], v2, off
	s_mov_b64 s[0:1], 0
.LBB7_2259:
	s_mov_b64 s[6:7], 0
.LBB7_2260:
	s_mov_b64 s[4:5], 0
	s_and_b64 vcc, exec, s[6:7]
	s_cbranch_vccz .LBB7_2262
; %bb.2261:
	v_cmp_ne_u16_e64 s[0:1], s16, 11
	s_mov_b64 s[4:5], -1
.LBB7_2262:
	s_and_b64 vcc, exec, s[0:1]
	s_cbranch_vccnz .LBB7_2266
.LBB7_2263:
	s_mov_b64 s[0:1], 0
	s_branch .LBB7_1764
.LBB7_2264:
	s_or_saveexec_b64 s[10:11], s[10:11]
                                        ; implicit-def: $sgpr12
	s_xor_b64 exec, exec, s[10:11]
	s_cbranch_execz .LBB7_2217
.LBB7_2265:
	s_mov_b32 s12, 0x46000000
	v_add_f32_e64 v3, |v2|, s12
	v_and_b32_e32 v3, 0xff, v3
	v_cmp_ne_u32_e32 vcc, 0, v3
	s_andn2_b64 s[8:9], s[8:9], exec
	s_and_b64 s[14:15], vcc, exec
	s_mov_b32 s12, 0
	s_or_b64 s[8:9], s[8:9], s[14:15]
	s_or_b64 exec, exec, s[10:11]
	v_mov_b32_e32 v4, s12
	s_and_saveexec_b64 s[10:11], s[8:9]
	s_cbranch_execnz .LBB7_2218
	s_branch .LBB7_2219
.LBB7_2266:
	s_mov_b64 s[4:5], 0
	s_or_b64 s[2:3], s[2:3], exec
	s_trap 2
	s_branch .LBB7_2263
.LBB7_2267:
	s_or_saveexec_b64 s[8:9], s[8:9]
                                        ; implicit-def: $sgpr10
	s_xor_b64 exec, exec, s[8:9]
	s_cbranch_execz .LBB7_2229
.LBB7_2268:
	s_mov_b32 s10, 0x42800000
	v_add_f32_e64 v3, |v2|, s10
	v_and_b32_e32 v3, 0xff, v3
	v_cmp_ne_u32_e32 vcc, 0, v3
	s_andn2_b64 s[6:7], s[6:7], exec
	s_and_b64 s[12:13], vcc, exec
	s_mov_b32 s10, 0
	s_or_b64 s[6:7], s[6:7], s[12:13]
	s_or_b64 exec, exec, s[8:9]
	v_mov_b32_e32 v4, s10
	s_and_saveexec_b64 s[8:9], s[6:7]
	s_cbranch_execnz .LBB7_2230
	s_branch .LBB7_2231
	.section	.rodata,"a",@progbits
	.p2align	6, 0x0
	.amdhsa_kernel _ZN2at6native32elementwise_kernel_manual_unrollILi128ELi4EZNS0_15gpu_kernel_implINS0_13AUnaryFunctorIdddZZZNS0_12_GLOBAL__N_133hermite_polynomial_he_kernel_cudaERNS_18TensorIteratorBaseEENKUlvE_clEvENKUlvE_clEvEUlddE_EEEEvS6_RKT_EUlibE0_EEviT1_
		.amdhsa_group_segment_fixed_size 0
		.amdhsa_private_segment_fixed_size 0
		.amdhsa_kernarg_size 376
		.amdhsa_user_sgpr_count 6
		.amdhsa_user_sgpr_private_segment_buffer 1
		.amdhsa_user_sgpr_dispatch_ptr 0
		.amdhsa_user_sgpr_queue_ptr 0
		.amdhsa_user_sgpr_kernarg_segment_ptr 1
		.amdhsa_user_sgpr_dispatch_id 0
		.amdhsa_user_sgpr_flat_scratch_init 0
		.amdhsa_user_sgpr_kernarg_preload_length 0
		.amdhsa_user_sgpr_kernarg_preload_offset 0
		.amdhsa_user_sgpr_private_segment_size 0
		.amdhsa_uses_dynamic_stack 0
		.amdhsa_system_sgpr_private_segment_wavefront_offset 0
		.amdhsa_system_sgpr_workgroup_id_x 1
		.amdhsa_system_sgpr_workgroup_id_y 0
		.amdhsa_system_sgpr_workgroup_id_z 0
		.amdhsa_system_sgpr_workgroup_info 0
		.amdhsa_system_vgpr_workitem_id 0
		.amdhsa_next_free_vgpr 24
		.amdhsa_next_free_sgpr 79
		.amdhsa_accum_offset 24
		.amdhsa_reserve_vcc 1
		.amdhsa_reserve_flat_scratch 0
		.amdhsa_float_round_mode_32 0
		.amdhsa_float_round_mode_16_64 0
		.amdhsa_float_denorm_mode_32 3
		.amdhsa_float_denorm_mode_16_64 3
		.amdhsa_dx10_clamp 1
		.amdhsa_ieee_mode 1
		.amdhsa_fp16_overflow 0
		.amdhsa_tg_split 0
		.amdhsa_exception_fp_ieee_invalid_op 0
		.amdhsa_exception_fp_denorm_src 0
		.amdhsa_exception_fp_ieee_div_zero 0
		.amdhsa_exception_fp_ieee_overflow 0
		.amdhsa_exception_fp_ieee_underflow 0
		.amdhsa_exception_fp_ieee_inexact 0
		.amdhsa_exception_int_div_zero 0
	.end_amdhsa_kernel
	.section	.text._ZN2at6native32elementwise_kernel_manual_unrollILi128ELi4EZNS0_15gpu_kernel_implINS0_13AUnaryFunctorIdddZZZNS0_12_GLOBAL__N_133hermite_polynomial_he_kernel_cudaERNS_18TensorIteratorBaseEENKUlvE_clEvENKUlvE_clEvEUlddE_EEEEvS6_RKT_EUlibE0_EEviT1_,"axG",@progbits,_ZN2at6native32elementwise_kernel_manual_unrollILi128ELi4EZNS0_15gpu_kernel_implINS0_13AUnaryFunctorIdddZZZNS0_12_GLOBAL__N_133hermite_polynomial_he_kernel_cudaERNS_18TensorIteratorBaseEENKUlvE_clEvENKUlvE_clEvEUlddE_EEEEvS6_RKT_EUlibE0_EEviT1_,comdat
.Lfunc_end7:
	.size	_ZN2at6native32elementwise_kernel_manual_unrollILi128ELi4EZNS0_15gpu_kernel_implINS0_13AUnaryFunctorIdddZZZNS0_12_GLOBAL__N_133hermite_polynomial_he_kernel_cudaERNS_18TensorIteratorBaseEENKUlvE_clEvENKUlvE_clEvEUlddE_EEEEvS6_RKT_EUlibE0_EEviT1_, .Lfunc_end7-_ZN2at6native32elementwise_kernel_manual_unrollILi128ELi4EZNS0_15gpu_kernel_implINS0_13AUnaryFunctorIdddZZZNS0_12_GLOBAL__N_133hermite_polynomial_he_kernel_cudaERNS_18TensorIteratorBaseEENKUlvE_clEvENKUlvE_clEvEUlddE_EEEEvS6_RKT_EUlibE0_EEviT1_
                                        ; -- End function
	.section	.AMDGPU.csdata,"",@progbits
; Kernel info:
; codeLenInByte = 42744
; NumSgprs: 83
; NumVgprs: 24
; NumAgprs: 0
; TotalNumVgprs: 24
; ScratchSize: 0
; MemoryBound: 1
; FloatMode: 240
; IeeeMode: 1
; LDSByteSize: 0 bytes/workgroup (compile time only)
; SGPRBlocks: 10
; VGPRBlocks: 2
; NumSGPRsForWavesPerEU: 83
; NumVGPRsForWavesPerEU: 24
; AccumOffset: 24
; Occupancy: 8
; WaveLimiterHint : 1
; COMPUTE_PGM_RSRC2:SCRATCH_EN: 0
; COMPUTE_PGM_RSRC2:USER_SGPR: 6
; COMPUTE_PGM_RSRC2:TRAP_HANDLER: 0
; COMPUTE_PGM_RSRC2:TGID_X_EN: 1
; COMPUTE_PGM_RSRC2:TGID_Y_EN: 0
; COMPUTE_PGM_RSRC2:TGID_Z_EN: 0
; COMPUTE_PGM_RSRC2:TIDIG_COMP_CNT: 0
; COMPUTE_PGM_RSRC3_GFX90A:ACCUM_OFFSET: 5
; COMPUTE_PGM_RSRC3_GFX90A:TG_SPLIT: 0
	.section	.text._ZN2at6native29vectorized_elementwise_kernelILi16ENS0_13BUnaryFunctorIdddZZZNS0_12_GLOBAL__N_133hermite_polynomial_he_kernel_cudaERNS_18TensorIteratorBaseEENKUlvE_clEvENKUlvE_clEvEUlddE_EESt5arrayIPcLm2EEEEviT0_T1_,"axG",@progbits,_ZN2at6native29vectorized_elementwise_kernelILi16ENS0_13BUnaryFunctorIdddZZZNS0_12_GLOBAL__N_133hermite_polynomial_he_kernel_cudaERNS_18TensorIteratorBaseEENKUlvE_clEvENKUlvE_clEvEUlddE_EESt5arrayIPcLm2EEEEviT0_T1_,comdat
	.globl	_ZN2at6native29vectorized_elementwise_kernelILi16ENS0_13BUnaryFunctorIdddZZZNS0_12_GLOBAL__N_133hermite_polynomial_he_kernel_cudaERNS_18TensorIteratorBaseEENKUlvE_clEvENKUlvE_clEvEUlddE_EESt5arrayIPcLm2EEEEviT0_T1_ ; -- Begin function _ZN2at6native29vectorized_elementwise_kernelILi16ENS0_13BUnaryFunctorIdddZZZNS0_12_GLOBAL__N_133hermite_polynomial_he_kernel_cudaERNS_18TensorIteratorBaseEENKUlvE_clEvENKUlvE_clEvEUlddE_EESt5arrayIPcLm2EEEEviT0_T1_
	.p2align	8
	.type	_ZN2at6native29vectorized_elementwise_kernelILi16ENS0_13BUnaryFunctorIdddZZZNS0_12_GLOBAL__N_133hermite_polynomial_he_kernel_cudaERNS_18TensorIteratorBaseEENKUlvE_clEvENKUlvE_clEvEUlddE_EESt5arrayIPcLm2EEEEviT0_T1_,@function
_ZN2at6native29vectorized_elementwise_kernelILi16ENS0_13BUnaryFunctorIdddZZZNS0_12_GLOBAL__N_133hermite_polynomial_he_kernel_cudaERNS_18TensorIteratorBaseEENKUlvE_clEvENKUlvE_clEvEUlddE_EESt5arrayIPcLm2EEEEviT0_T1_: ; @_ZN2at6native29vectorized_elementwise_kernelILi16ENS0_13BUnaryFunctorIdddZZZNS0_12_GLOBAL__N_133hermite_polynomial_he_kernel_cudaERNS_18TensorIteratorBaseEENKUlvE_clEvENKUlvE_clEvEUlddE_EESt5arrayIPcLm2EEEEviT0_T1_
; %bb.0:
	s_load_dword s0, s[4:5], 0x0
	s_load_dwordx4 s[8:11], s[4:5], 0x10
	s_load_dwordx2 s[12:13], s[4:5], 0x20
	s_lshl_b32 s6, s6, 10
	s_waitcnt lgkmcnt(0)
	s_sub_i32 s18, s0, s6
	s_mov_b64 s[0:1], -1
	s_cmpk_gt_i32 s18, 0x3ff
	v_trunc_f64_e32 v[14:15], s[8:9]
	s_cbranch_scc0 .LBB8_38
; %bb.1:
	s_ashr_i32 s7, s6, 31
	s_lshl_b64 s[4:5], s[6:7], 3
	s_add_u32 s0, s12, s4
	s_addc_u32 s1, s13, s5
	v_lshlrev_b32_e32 v1, 5, v0
	global_load_dwordx4 v[2:5], v1, s[0:1] offset:16
	global_load_dwordx4 v[8:11], v1, s[0:1]
	s_movk_i32 s0, 0xffe0
	v_ldexp_f64 v[6:7], v[14:15], s0
	v_floor_f64_e32 v[6:7], v[6:7]
	v_pk_mov_b32 v[12:13], v[14:15], v[14:15] op_sel:[0,1]
	v_fmac_f64_e32 v[12:13], 0xc1f00000, v[6:7]
	v_cvt_i32_f64_e32 v16, v[6:7]
	v_cvt_u32_f64_e32 v6, v[12:13]
	v_readfirstlane_b32 s8, v6
	v_readfirstlane_b32 s9, v16
	v_mov_b32_e32 v6, 0x201
	v_cmp_lt_i64_e64 s[2:3], s[8:9], 0
	v_mov_b32_e32 v7, 0
	v_cmp_gt_i64_e64 s[16:17], s[8:9], -1
	v_cmp_lt_u64_e64 s[0:1], s[8:9], v[6:7]
	s_and_b64 vcc, exec, s[2:3]
	v_pk_mov_b32 v[6:7], 0, 0
	v_cmp_lt_i64_e64 s[14:15], s[8:9], 1
	s_cbranch_vccnz .LBB8_10
; %bb.2:
	v_mov_b32_e32 v6, 0
	s_and_b64 vcc, exec, s[14:15]
	v_mov_b32_e32 v7, 0x3ff00000
	s_cbranch_vccnz .LBB8_10
; %bb.3:
	s_cmp_lg_u64 s[8:9], 1
	s_cbranch_scc0 .LBB8_8
; %bb.4:
	v_mov_b32_e32 v6, 0
	s_andn2_b64 vcc, exec, s[0:1]
	v_mov_b32_e32 v7, 0x7ff80000
	s_cbranch_vccnz .LBB8_7
; %bb.5:
	v_mov_b32_e32 v12, 0
	s_mov_b64 s[2:3], 1
	v_mov_b32_e32 v13, 0x3ff00000
	s_waitcnt vmcnt(0)
	v_pk_mov_b32 v[6:7], v[8:9], v[8:9] op_sel:[0,1]
.LBB8_6:                                ; =>This Inner Loop Header: Depth=1
	v_cvt_f64_u32_e32 v[16:17], s3
	v_cvt_f64_u32_e32 v[18:19], s2
	v_ldexp_f64 v[16:17], v[16:17], 32
	s_add_u32 s2, s2, 1
	v_add_f64 v[16:17], v[16:17], v[18:19]
	s_addc_u32 s3, s3, 0
	v_mul_f64 v[16:17], v[12:13], v[16:17]
	s_cmp_lg_u64 s[8:9], s[2:3]
	v_pk_mov_b32 v[12:13], v[6:7], v[6:7] op_sel:[0,1]
	v_fma_f64 v[6:7], v[8:9], v[6:7], -v[16:17]
	s_cbranch_scc1 .LBB8_6
.LBB8_7:
	s_cbranch_execz .LBB8_9
	s_branch .LBB8_10
.LBB8_8:
                                        ; implicit-def: $vgpr6_vgpr7
.LBB8_9:
	s_waitcnt vmcnt(0)
	v_pk_mov_b32 v[6:7], v[8:9], v[8:9] op_sel:[0,1]
.LBB8_10:
	s_waitcnt vmcnt(0)
	v_cndmask_b32_e64 v8, 0, 1, s[16:17]
	v_cmp_ne_u32_e64 s[2:3], 1, v8
	s_andn2_b64 vcc, exec, s[16:17]
	v_pk_mov_b32 v[8:9], 0, 0
	s_cbranch_vccnz .LBB8_19
; %bb.11:
	v_mov_b32_e32 v8, 0
	s_and_b64 vcc, exec, s[14:15]
	v_mov_b32_e32 v9, 0x3ff00000
	s_cbranch_vccnz .LBB8_19
; %bb.12:
	s_cmp_lg_u64 s[8:9], 1
	s_cbranch_scc0 .LBB8_17
; %bb.13:
	v_mov_b32_e32 v8, 0
	s_andn2_b64 vcc, exec, s[0:1]
	v_mov_b32_e32 v9, 0x7ff80000
	s_cbranch_vccnz .LBB8_16
; %bb.14:
	v_mov_b32_e32 v12, 0
	s_mov_b64 s[16:17], 1
	v_mov_b32_e32 v13, 0x3ff00000
	v_pk_mov_b32 v[8:9], v[10:11], v[10:11] op_sel:[0,1]
.LBB8_15:                               ; =>This Inner Loop Header: Depth=1
	v_cvt_f64_u32_e32 v[16:17], s17
	v_cvt_f64_u32_e32 v[18:19], s16
	v_ldexp_f64 v[16:17], v[16:17], 32
	s_add_u32 s16, s16, 1
	v_add_f64 v[16:17], v[16:17], v[18:19]
	s_addc_u32 s17, s17, 0
	v_mul_f64 v[16:17], v[12:13], v[16:17]
	s_cmp_lg_u64 s[8:9], s[16:17]
	v_pk_mov_b32 v[12:13], v[8:9], v[8:9] op_sel:[0,1]
	v_fma_f64 v[8:9], v[10:11], v[8:9], -v[16:17]
	s_cbranch_scc1 .LBB8_15
.LBB8_16:
	s_cbranch_execz .LBB8_18
	s_branch .LBB8_19
.LBB8_17:
.LBB8_18:
	v_pk_mov_b32 v[8:9], v[10:11], v[10:11] op_sel:[0,1]
.LBB8_19:
	s_and_b64 vcc, exec, s[2:3]
	v_pk_mov_b32 v[10:11], 0, 0
	s_cbranch_vccnz .LBB8_28
; %bb.20:
	v_mov_b32_e32 v10, 0
	s_and_b64 vcc, exec, s[14:15]
	v_mov_b32_e32 v11, 0x3ff00000
	s_cbranch_vccnz .LBB8_28
; %bb.21:
	s_cmp_lg_u64 s[8:9], 1
	s_cbranch_scc0 .LBB8_26
; %bb.22:
	v_mov_b32_e32 v10, 0
	s_andn2_b64 vcc, exec, s[0:1]
	v_mov_b32_e32 v11, 0x7ff80000
	s_cbranch_vccnz .LBB8_25
; %bb.23:
	v_mov_b32_e32 v12, 0
	s_mov_b64 s[16:17], 1
	v_mov_b32_e32 v13, 0x3ff00000
	v_pk_mov_b32 v[10:11], v[2:3], v[2:3] op_sel:[0,1]
.LBB8_24:                               ; =>This Inner Loop Header: Depth=1
	v_cvt_f64_u32_e32 v[16:17], s17
	v_cvt_f64_u32_e32 v[18:19], s16
	v_ldexp_f64 v[16:17], v[16:17], 32
	s_add_u32 s16, s16, 1
	v_add_f64 v[16:17], v[16:17], v[18:19]
	s_addc_u32 s17, s17, 0
	v_mul_f64 v[16:17], v[12:13], v[16:17]
	s_cmp_lg_u64 s[8:9], s[16:17]
	v_pk_mov_b32 v[12:13], v[10:11], v[10:11] op_sel:[0,1]
	v_fma_f64 v[10:11], v[2:3], v[10:11], -v[16:17]
	s_cbranch_scc1 .LBB8_24
.LBB8_25:
	s_cbranch_execz .LBB8_27
	s_branch .LBB8_28
.LBB8_26:
                                        ; implicit-def: $vgpr10_vgpr11
.LBB8_27:
	v_pk_mov_b32 v[10:11], v[2:3], v[2:3] op_sel:[0,1]
.LBB8_28:
	s_and_b64 vcc, exec, s[2:3]
	v_pk_mov_b32 v[12:13], 0, 0
	s_cbranch_vccnz .LBB8_37
; %bb.29:
	v_mov_b32_e32 v12, 0
	s_and_b64 vcc, exec, s[14:15]
	v_mov_b32_e32 v13, 0x3ff00000
	s_cbranch_vccnz .LBB8_37
; %bb.30:
	s_cmp_lg_u64 s[8:9], 1
	s_cbranch_scc0 .LBB8_35
; %bb.31:
	v_mov_b32_e32 v12, 0
	s_andn2_b64 vcc, exec, s[0:1]
	v_mov_b32_e32 v13, 0x7ff80000
	s_cbranch_vccnz .LBB8_34
; %bb.32:
	v_mov_b32_e32 v2, 0
	s_mov_b64 s[0:1], 1
	v_mov_b32_e32 v3, 0x3ff00000
	v_pk_mov_b32 v[12:13], v[4:5], v[4:5] op_sel:[0,1]
.LBB8_33:                               ; =>This Inner Loop Header: Depth=1
	v_cvt_f64_u32_e32 v[16:17], s1
	v_cvt_f64_u32_e32 v[18:19], s0
	v_ldexp_f64 v[16:17], v[16:17], 32
	s_add_u32 s0, s0, 1
	v_add_f64 v[16:17], v[16:17], v[18:19]
	s_addc_u32 s1, s1, 0
	v_mul_f64 v[16:17], v[2:3], v[16:17]
	s_cmp_lg_u64 s[8:9], s[0:1]
	v_pk_mov_b32 v[2:3], v[12:13], v[12:13] op_sel:[0,1]
	v_fma_f64 v[12:13], v[4:5], v[12:13], -v[16:17]
	s_cbranch_scc1 .LBB8_33
.LBB8_34:
	s_cbranch_execz .LBB8_36
	s_branch .LBB8_37
.LBB8_35:
.LBB8_36:
	v_pk_mov_b32 v[12:13], v[4:5], v[4:5] op_sel:[0,1]
.LBB8_37:
	s_add_u32 s0, s10, s4
	s_addc_u32 s1, s11, s5
	global_store_dwordx4 v1, v[6:9], s[0:1]
	global_store_dwordx4 v1, v[10:13], s[0:1] offset:16
	s_mov_b64 s[0:1], 0
.LBB8_38:
	s_and_b64 vcc, exec, s[0:1]
	s_cbranch_vccz .LBB8_96
; %bb.39:
	v_pk_mov_b32 v[18:19], 0, 0
	v_cmp_gt_i32_e64 s[0:1], s18, v0
	v_or_b32_e32 v10, s6, v0
	v_pk_mov_b32 v[20:21], v[18:19], v[18:19] op_sel:[0,1]
	v_mov_b32_e32 v1, v0
	s_and_saveexec_b64 s[2:3], s[0:1]
	s_cbranch_execz .LBB8_41
; %bb.40:
	v_mov_b32_e32 v11, 0
	v_lshlrev_b64 v[2:3], 3, v[10:11]
	v_mov_b32_e32 v1, s13
	v_add_co_u32_e32 v2, vcc, s12, v2
	v_addc_co_u32_e32 v3, vcc, v1, v3, vcc
	global_load_dwordx2 v[20:21], v[2:3], off
	v_or_b32_e32 v1, 0x100, v0
.LBB8_41:
	s_or_b64 exec, exec, s[2:3]
	v_cmp_gt_i32_e32 vcc, s18, v1
	s_and_saveexec_b64 s[2:3], vcc
	s_cbranch_execz .LBB8_43
; %bb.42:
	v_add_u32_e32 v2, s6, v1
	v_mov_b32_e32 v3, 0
	v_lshlrev_b64 v[2:3], 3, v[2:3]
	v_mov_b32_e32 v4, s13
	v_add_co_u32_e32 v2, vcc, s12, v2
	v_addc_co_u32_e32 v3, vcc, v4, v3, vcc
	global_load_dwordx2 v[18:19], v[2:3], off
	v_add_u32_e32 v1, 0x100, v1
.LBB8_43:
	s_or_b64 exec, exec, s[2:3]
	v_pk_mov_b32 v[12:13], 0, 0
	v_cmp_gt_i32_e32 vcc, s18, v1
	v_pk_mov_b32 v[16:17], v[12:13], v[12:13] op_sel:[0,1]
	s_and_saveexec_b64 s[2:3], vcc
	s_cbranch_execz .LBB8_45
; %bb.44:
	v_add_u32_e32 v2, s6, v1
	v_mov_b32_e32 v3, 0
	v_lshlrev_b64 v[2:3], 3, v[2:3]
	v_mov_b32_e32 v4, s13
	v_add_co_u32_e32 v2, vcc, s12, v2
	v_addc_co_u32_e32 v3, vcc, v4, v3, vcc
	global_load_dwordx2 v[16:17], v[2:3], off
	v_add_u32_e32 v1, 0x100, v1
.LBB8_45:
	s_or_b64 exec, exec, s[2:3]
	v_cmp_gt_i32_e32 vcc, s18, v1
	s_and_saveexec_b64 s[2:3], vcc
	s_cbranch_execz .LBB8_47
; %bb.46:
	v_add_u32_e32 v2, s6, v1
	v_mov_b32_e32 v3, 0
	v_lshlrev_b64 v[2:3], 3, v[2:3]
	v_mov_b32_e32 v1, s13
	v_add_co_u32_e32 v2, vcc, s12, v2
	v_addc_co_u32_e32 v3, vcc, v1, v3, vcc
	global_load_dwordx2 v[12:13], v[2:3], off
.LBB8_47:
	s_or_b64 exec, exec, s[2:3]
	s_movk_i32 s2, 0xffe0
	v_ldexp_f64 v[2:3], v[14:15], s2
	v_floor_f64_e32 v[2:3], v[2:3]
	v_fmac_f64_e32 v[14:15], 0xc1f00000, v[2:3]
	v_cvt_i32_f64_e32 v1, v[2:3]
	v_cvt_u32_f64_e32 v2, v[14:15]
	v_readfirstlane_b32 s8, v2
	v_readfirstlane_b32 s9, v1
	v_mov_b32_e32 v2, 0x201
	v_cmp_gt_i64_e64 s[4:5], s[8:9], -1
	v_mov_b32_e32 v3, 0
	v_cndmask_b32_e64 v1, 0, 1, s[4:5]
	v_cmp_lt_u64_e64 s[2:3], s[8:9], v[2:3]
	v_cmp_ne_u32_e64 s[4:5], 1, v1
                                        ; implicit-def: $vgpr2_vgpr3_vgpr4_vgpr5_vgpr6_vgpr7_vgpr8_vgpr9
	s_and_saveexec_b64 s[12:13], s[0:1]
	s_cbranch_execz .LBB8_58
; %bb.48:
	s_and_b64 vcc, exec, s[4:5]
	v_pk_mov_b32 v[2:3], 0, 0
	s_cbranch_vccnz .LBB8_58
; %bb.49:
	v_cmp_lt_i64_e64 s[14:15], s[8:9], 1
	v_mov_b32_e32 v2, 0
	s_and_b64 vcc, exec, s[14:15]
	v_mov_b32_e32 v3, 0x3ff00000
	s_cbranch_vccnz .LBB8_58
; %bb.50:
	s_cmp_lg_u64 s[8:9], 1
	s_cbranch_scc0 .LBB8_55
; %bb.51:
	v_mov_b32_e32 v2, 0
	s_andn2_b64 vcc, exec, s[2:3]
	v_mov_b32_e32 v3, 0x7ff80000
	s_cbranch_vccnz .LBB8_54
; %bb.52:
	v_mov_b32_e32 v4, 0
	s_mov_b64 s[14:15], 1
	v_mov_b32_e32 v5, 0x3ff00000
	s_waitcnt vmcnt(0)
	v_pk_mov_b32 v[2:3], v[20:21], v[20:21] op_sel:[0,1]
.LBB8_53:                               ; =>This Inner Loop Header: Depth=1
	v_cvt_f64_u32_e32 v[6:7], s15
	v_cvt_f64_u32_e32 v[8:9], s14
	v_ldexp_f64 v[6:7], v[6:7], 32
	s_add_u32 s14, s14, 1
	v_add_f64 v[6:7], v[6:7], v[8:9]
	s_addc_u32 s15, s15, 0
	v_mul_f64 v[6:7], v[4:5], v[6:7]
	s_cmp_lg_u64 s[8:9], s[14:15]
	v_pk_mov_b32 v[4:5], v[2:3], v[2:3] op_sel:[0,1]
	v_fma_f64 v[2:3], v[20:21], v[2:3], -v[6:7]
	s_cbranch_scc1 .LBB8_53
.LBB8_54:
	s_mov_b64 s[14:15], 0
	s_branch .LBB8_56
.LBB8_55:
	s_mov_b64 s[14:15], -1
                                        ; implicit-def: $vgpr2_vgpr3
.LBB8_56:
	s_andn2_b64 vcc, exec, s[14:15]
	s_cbranch_vccnz .LBB8_58
; %bb.57:
	s_waitcnt vmcnt(0)
	v_pk_mov_b32 v[2:3], v[20:21], v[20:21] op_sel:[0,1]
.LBB8_58:
	s_or_b64 exec, exec, s[12:13]
	v_or_b32_e32 v1, 0x100, v0
	v_cmp_gt_i32_e32 vcc, s18, v1
	s_and_saveexec_b64 s[12:13], vcc
	s_cbranch_execz .LBB8_69
; %bb.59:
	s_and_b64 vcc, exec, s[4:5]
	v_pk_mov_b32 v[4:5], 0, 0
	s_cbranch_vccnz .LBB8_69
; %bb.60:
	v_cmp_lt_i64_e64 s[14:15], s[8:9], 1
	v_mov_b32_e32 v4, 0
	s_and_b64 vcc, exec, s[14:15]
	v_mov_b32_e32 v5, 0x3ff00000
	s_cbranch_vccnz .LBB8_69
; %bb.61:
	s_cmp_lg_u64 s[8:9], 1
	s_cbranch_scc0 .LBB8_66
; %bb.62:
	v_mov_b32_e32 v4, 0
	s_andn2_b64 vcc, exec, s[2:3]
	v_mov_b32_e32 v5, 0x7ff80000
	s_cbranch_vccnz .LBB8_65
; %bb.63:
	v_mov_b32_e32 v14, 0
	s_mov_b64 s[14:15], 1
	v_mov_b32_e32 v15, 0x3ff00000
	s_waitcnt vmcnt(0)
	v_pk_mov_b32 v[4:5], v[18:19], v[18:19] op_sel:[0,1]
.LBB8_64:                               ; =>This Inner Loop Header: Depth=1
	v_cvt_f64_u32_e32 v[20:21], s15
	v_cvt_f64_u32_e32 v[22:23], s14
	v_ldexp_f64 v[20:21], v[20:21], 32
	s_add_u32 s14, s14, 1
	v_add_f64 v[20:21], v[20:21], v[22:23]
	s_addc_u32 s15, s15, 0
	v_mul_f64 v[20:21], v[14:15], v[20:21]
	s_cmp_lg_u64 s[8:9], s[14:15]
	v_pk_mov_b32 v[14:15], v[4:5], v[4:5] op_sel:[0,1]
	v_fma_f64 v[4:5], v[18:19], v[4:5], -v[20:21]
	s_cbranch_scc1 .LBB8_64
.LBB8_65:
	s_mov_b64 s[14:15], 0
	s_branch .LBB8_67
.LBB8_66:
	s_mov_b64 s[14:15], -1
.LBB8_67:
	s_andn2_b64 vcc, exec, s[14:15]
	s_cbranch_vccnz .LBB8_69
; %bb.68:
	s_waitcnt vmcnt(0)
	v_pk_mov_b32 v[4:5], v[18:19], v[18:19] op_sel:[0,1]
.LBB8_69:
	s_or_b64 exec, exec, s[12:13]
	v_or_b32_e32 v11, 0x200, v0
	v_cmp_gt_i32_e32 vcc, s18, v11
	s_and_saveexec_b64 s[12:13], vcc
	s_cbranch_execz .LBB8_80
; %bb.70:
	s_and_b64 vcc, exec, s[4:5]
	v_pk_mov_b32 v[6:7], 0, 0
	s_cbranch_vccnz .LBB8_80
; %bb.71:
	v_cmp_lt_i64_e64 s[14:15], s[8:9], 1
	v_mov_b32_e32 v6, 0
	s_and_b64 vcc, exec, s[14:15]
	v_mov_b32_e32 v7, 0x3ff00000
	s_cbranch_vccnz .LBB8_80
; %bb.72:
	s_cmp_lg_u64 s[8:9], 1
	s_cbranch_scc0 .LBB8_77
; %bb.73:
	v_mov_b32_e32 v6, 0
	s_andn2_b64 vcc, exec, s[2:3]
	v_mov_b32_e32 v7, 0x7ff80000
	s_cbranch_vccnz .LBB8_76
; %bb.74:
	v_mov_b32_e32 v14, 0
	s_mov_b64 s[14:15], 1
	v_mov_b32_e32 v15, 0x3ff00000
	s_waitcnt vmcnt(0)
	v_pk_mov_b32 v[6:7], v[16:17], v[16:17] op_sel:[0,1]
.LBB8_75:                               ; =>This Inner Loop Header: Depth=1
	v_cvt_f64_u32_e32 v[18:19], s15
	v_cvt_f64_u32_e32 v[20:21], s14
	v_ldexp_f64 v[18:19], v[18:19], 32
	s_add_u32 s14, s14, 1
	v_add_f64 v[18:19], v[18:19], v[20:21]
	s_addc_u32 s15, s15, 0
	v_mul_f64 v[18:19], v[14:15], v[18:19]
	s_cmp_lg_u64 s[8:9], s[14:15]
	v_pk_mov_b32 v[14:15], v[6:7], v[6:7] op_sel:[0,1]
	v_fma_f64 v[6:7], v[16:17], v[6:7], -v[18:19]
	s_cbranch_scc1 .LBB8_75
.LBB8_76:
	s_mov_b64 s[14:15], 0
	s_branch .LBB8_78
.LBB8_77:
	s_mov_b64 s[14:15], -1
.LBB8_78:
	s_andn2_b64 vcc, exec, s[14:15]
	s_cbranch_vccnz .LBB8_80
; %bb.79:
	s_waitcnt vmcnt(0)
	v_pk_mov_b32 v[6:7], v[16:17], v[16:17] op_sel:[0,1]
.LBB8_80:
	;; [unrolled: 53-line block ×3, first 2 shown]
	s_or_b64 exec, exec, s[12:13]
	s_and_saveexec_b64 s[2:3], s[0:1]
	s_xor_b64 s[0:1], exec, s[2:3]
	s_cbranch_execnz .LBB8_97
; %bb.92:
	s_or_b64 exec, exec, s[0:1]
	v_cmp_gt_i32_e32 vcc, s18, v0
	s_and_saveexec_b64 s[0:1], vcc
	s_cbranch_execnz .LBB8_98
.LBB8_93:
	s_or_b64 exec, exec, s[0:1]
	v_cmp_gt_i32_e32 vcc, s18, v0
	s_and_saveexec_b64 s[0:1], vcc
	s_cbranch_execnz .LBB8_99
.LBB8_94:
	s_or_b64 exec, exec, s[0:1]
	v_cmp_gt_i32_e32 vcc, s18, v0
	s_and_saveexec_b64 s[0:1], vcc
	s_cbranch_execz .LBB8_96
.LBB8_95:
	v_add_u32_e32 v0, s6, v0
	v_mov_b32_e32 v1, 0
	v_lshlrev_b64 v[0:1], 3, v[0:1]
	v_mov_b32_e32 v2, s11
	v_add_co_u32_e32 v0, vcc, s10, v0
	v_addc_co_u32_e32 v1, vcc, v2, v1, vcc
	global_store_dwordx2 v[0:1], v[8:9], off
.LBB8_96:
	s_endpgm
.LBB8_97:
	v_mov_b32_e32 v11, 0
	v_lshlrev_b64 v[10:11], 3, v[10:11]
	v_mov_b32_e32 v0, s11
	v_add_co_u32_e32 v10, vcc, s10, v10
	v_addc_co_u32_e32 v11, vcc, v0, v11, vcc
	v_mov_b32_e32 v0, v1
	global_store_dwordx2 v[10:11], v[2:3], off
	s_or_b64 exec, exec, s[0:1]
	v_cmp_gt_i32_e32 vcc, s18, v0
	s_and_saveexec_b64 s[0:1], vcc
	s_cbranch_execz .LBB8_93
.LBB8_98:
	v_add_u32_e32 v2, s6, v0
	v_mov_b32_e32 v3, 0
	v_lshlrev_b64 v[2:3], 3, v[2:3]
	v_mov_b32_e32 v1, s11
	v_add_co_u32_e32 v2, vcc, s10, v2
	v_addc_co_u32_e32 v3, vcc, v1, v3, vcc
	v_add_u32_e32 v0, 0x100, v0
	global_store_dwordx2 v[2:3], v[4:5], off
	s_or_b64 exec, exec, s[0:1]
	v_cmp_gt_i32_e32 vcc, s18, v0
	s_and_saveexec_b64 s[0:1], vcc
	s_cbranch_execz .LBB8_94
.LBB8_99:
	v_add_u32_e32 v2, s6, v0
	v_mov_b32_e32 v3, 0
	v_lshlrev_b64 v[2:3], 3, v[2:3]
	v_mov_b32_e32 v1, s11
	v_add_co_u32_e32 v2, vcc, s10, v2
	v_addc_co_u32_e32 v3, vcc, v1, v3, vcc
	v_add_u32_e32 v0, 0x100, v0
	global_store_dwordx2 v[2:3], v[6:7], off
	s_or_b64 exec, exec, s[0:1]
	v_cmp_gt_i32_e32 vcc, s18, v0
	s_and_saveexec_b64 s[0:1], vcc
	s_cbranch_execnz .LBB8_95
	s_branch .LBB8_96
	.section	.rodata,"a",@progbits
	.p2align	6, 0x0
	.amdhsa_kernel _ZN2at6native29vectorized_elementwise_kernelILi16ENS0_13BUnaryFunctorIdddZZZNS0_12_GLOBAL__N_133hermite_polynomial_he_kernel_cudaERNS_18TensorIteratorBaseEENKUlvE_clEvENKUlvE_clEvEUlddE_EESt5arrayIPcLm2EEEEviT0_T1_
		.amdhsa_group_segment_fixed_size 0
		.amdhsa_private_segment_fixed_size 0
		.amdhsa_kernarg_size 40
		.amdhsa_user_sgpr_count 6
		.amdhsa_user_sgpr_private_segment_buffer 1
		.amdhsa_user_sgpr_dispatch_ptr 0
		.amdhsa_user_sgpr_queue_ptr 0
		.amdhsa_user_sgpr_kernarg_segment_ptr 1
		.amdhsa_user_sgpr_dispatch_id 0
		.amdhsa_user_sgpr_flat_scratch_init 0
		.amdhsa_user_sgpr_kernarg_preload_length 0
		.amdhsa_user_sgpr_kernarg_preload_offset 0
		.amdhsa_user_sgpr_private_segment_size 0
		.amdhsa_uses_dynamic_stack 0
		.amdhsa_system_sgpr_private_segment_wavefront_offset 0
		.amdhsa_system_sgpr_workgroup_id_x 1
		.amdhsa_system_sgpr_workgroup_id_y 0
		.amdhsa_system_sgpr_workgroup_id_z 0
		.amdhsa_system_sgpr_workgroup_info 0
		.amdhsa_system_vgpr_workitem_id 0
		.amdhsa_next_free_vgpr 24
		.amdhsa_next_free_sgpr 19
		.amdhsa_accum_offset 24
		.amdhsa_reserve_vcc 1
		.amdhsa_reserve_flat_scratch 0
		.amdhsa_float_round_mode_32 0
		.amdhsa_float_round_mode_16_64 0
		.amdhsa_float_denorm_mode_32 3
		.amdhsa_float_denorm_mode_16_64 3
		.amdhsa_dx10_clamp 1
		.amdhsa_ieee_mode 1
		.amdhsa_fp16_overflow 0
		.amdhsa_tg_split 0
		.amdhsa_exception_fp_ieee_invalid_op 0
		.amdhsa_exception_fp_denorm_src 0
		.amdhsa_exception_fp_ieee_div_zero 0
		.amdhsa_exception_fp_ieee_overflow 0
		.amdhsa_exception_fp_ieee_underflow 0
		.amdhsa_exception_fp_ieee_inexact 0
		.amdhsa_exception_int_div_zero 0
	.end_amdhsa_kernel
	.section	.text._ZN2at6native29vectorized_elementwise_kernelILi16ENS0_13BUnaryFunctorIdddZZZNS0_12_GLOBAL__N_133hermite_polynomial_he_kernel_cudaERNS_18TensorIteratorBaseEENKUlvE_clEvENKUlvE_clEvEUlddE_EESt5arrayIPcLm2EEEEviT0_T1_,"axG",@progbits,_ZN2at6native29vectorized_elementwise_kernelILi16ENS0_13BUnaryFunctorIdddZZZNS0_12_GLOBAL__N_133hermite_polynomial_he_kernel_cudaERNS_18TensorIteratorBaseEENKUlvE_clEvENKUlvE_clEvEUlddE_EESt5arrayIPcLm2EEEEviT0_T1_,comdat
.Lfunc_end8:
	.size	_ZN2at6native29vectorized_elementwise_kernelILi16ENS0_13BUnaryFunctorIdddZZZNS0_12_GLOBAL__N_133hermite_polynomial_he_kernel_cudaERNS_18TensorIteratorBaseEENKUlvE_clEvENKUlvE_clEvEUlddE_EESt5arrayIPcLm2EEEEviT0_T1_, .Lfunc_end8-_ZN2at6native29vectorized_elementwise_kernelILi16ENS0_13BUnaryFunctorIdddZZZNS0_12_GLOBAL__N_133hermite_polynomial_he_kernel_cudaERNS_18TensorIteratorBaseEENKUlvE_clEvENKUlvE_clEvEUlddE_EESt5arrayIPcLm2EEEEviT0_T1_
                                        ; -- End function
	.section	.AMDGPU.csdata,"",@progbits
; Kernel info:
; codeLenInByte = 2416
; NumSgprs: 23
; NumVgprs: 24
; NumAgprs: 0
; TotalNumVgprs: 24
; ScratchSize: 0
; MemoryBound: 0
; FloatMode: 240
; IeeeMode: 1
; LDSByteSize: 0 bytes/workgroup (compile time only)
; SGPRBlocks: 2
; VGPRBlocks: 2
; NumSGPRsForWavesPerEU: 23
; NumVGPRsForWavesPerEU: 24
; AccumOffset: 24
; Occupancy: 8
; WaveLimiterHint : 0
; COMPUTE_PGM_RSRC2:SCRATCH_EN: 0
; COMPUTE_PGM_RSRC2:USER_SGPR: 6
; COMPUTE_PGM_RSRC2:TRAP_HANDLER: 0
; COMPUTE_PGM_RSRC2:TGID_X_EN: 1
; COMPUTE_PGM_RSRC2:TGID_Y_EN: 0
; COMPUTE_PGM_RSRC2:TGID_Z_EN: 0
; COMPUTE_PGM_RSRC2:TIDIG_COMP_CNT: 0
; COMPUTE_PGM_RSRC3_GFX90A:ACCUM_OFFSET: 5
; COMPUTE_PGM_RSRC3_GFX90A:TG_SPLIT: 0
	.section	.text._ZN2at6native29vectorized_elementwise_kernelILi8ENS0_13BUnaryFunctorIdddZZZNS0_12_GLOBAL__N_133hermite_polynomial_he_kernel_cudaERNS_18TensorIteratorBaseEENKUlvE_clEvENKUlvE_clEvEUlddE_EESt5arrayIPcLm2EEEEviT0_T1_,"axG",@progbits,_ZN2at6native29vectorized_elementwise_kernelILi8ENS0_13BUnaryFunctorIdddZZZNS0_12_GLOBAL__N_133hermite_polynomial_he_kernel_cudaERNS_18TensorIteratorBaseEENKUlvE_clEvENKUlvE_clEvEUlddE_EESt5arrayIPcLm2EEEEviT0_T1_,comdat
	.globl	_ZN2at6native29vectorized_elementwise_kernelILi8ENS0_13BUnaryFunctorIdddZZZNS0_12_GLOBAL__N_133hermite_polynomial_he_kernel_cudaERNS_18TensorIteratorBaseEENKUlvE_clEvENKUlvE_clEvEUlddE_EESt5arrayIPcLm2EEEEviT0_T1_ ; -- Begin function _ZN2at6native29vectorized_elementwise_kernelILi8ENS0_13BUnaryFunctorIdddZZZNS0_12_GLOBAL__N_133hermite_polynomial_he_kernel_cudaERNS_18TensorIteratorBaseEENKUlvE_clEvENKUlvE_clEvEUlddE_EESt5arrayIPcLm2EEEEviT0_T1_
	.p2align	8
	.type	_ZN2at6native29vectorized_elementwise_kernelILi8ENS0_13BUnaryFunctorIdddZZZNS0_12_GLOBAL__N_133hermite_polynomial_he_kernel_cudaERNS_18TensorIteratorBaseEENKUlvE_clEvENKUlvE_clEvEUlddE_EESt5arrayIPcLm2EEEEviT0_T1_,@function
_ZN2at6native29vectorized_elementwise_kernelILi8ENS0_13BUnaryFunctorIdddZZZNS0_12_GLOBAL__N_133hermite_polynomial_he_kernel_cudaERNS_18TensorIteratorBaseEENKUlvE_clEvENKUlvE_clEvEUlddE_EESt5arrayIPcLm2EEEEviT0_T1_: ; @_ZN2at6native29vectorized_elementwise_kernelILi8ENS0_13BUnaryFunctorIdddZZZNS0_12_GLOBAL__N_133hermite_polynomial_he_kernel_cudaERNS_18TensorIteratorBaseEENKUlvE_clEvENKUlvE_clEvEUlddE_EESt5arrayIPcLm2EEEEviT0_T1_
; %bb.0:
	s_load_dword s0, s[4:5], 0x0
	s_load_dwordx4 s[8:11], s[4:5], 0x10
	s_load_dwordx2 s[12:13], s[4:5], 0x20
	s_lshl_b32 s6, s6, 10
	s_waitcnt lgkmcnt(0)
	s_sub_i32 s18, s0, s6
	s_mov_b64 s[0:1], -1
	s_cmpk_gt_i32 s18, 0x3ff
	v_trunc_f64_e32 v[14:15], s[8:9]
	s_cbranch_scc0 .LBB9_38
; %bb.1:
	s_ashr_i32 s7, s6, 31
	s_lshl_b64 s[4:5], s[6:7], 3
	s_add_u32 s0, s12, s4
	s_addc_u32 s1, s13, s5
	v_lshlrev_b32_e32 v1, 5, v0
	global_load_dwordx4 v[2:5], v1, s[0:1] offset:16
	global_load_dwordx4 v[8:11], v1, s[0:1]
	s_movk_i32 s0, 0xffe0
	v_ldexp_f64 v[6:7], v[14:15], s0
	v_floor_f64_e32 v[6:7], v[6:7]
	v_pk_mov_b32 v[12:13], v[14:15], v[14:15] op_sel:[0,1]
	v_fmac_f64_e32 v[12:13], 0xc1f00000, v[6:7]
	v_cvt_i32_f64_e32 v16, v[6:7]
	v_cvt_u32_f64_e32 v6, v[12:13]
	v_readfirstlane_b32 s8, v6
	v_readfirstlane_b32 s9, v16
	v_mov_b32_e32 v6, 0x201
	v_cmp_lt_i64_e64 s[2:3], s[8:9], 0
	v_mov_b32_e32 v7, 0
	v_cmp_gt_i64_e64 s[16:17], s[8:9], -1
	v_cmp_lt_u64_e64 s[0:1], s[8:9], v[6:7]
	s_and_b64 vcc, exec, s[2:3]
	v_pk_mov_b32 v[6:7], 0, 0
	v_cmp_lt_i64_e64 s[14:15], s[8:9], 1
	s_cbranch_vccnz .LBB9_10
; %bb.2:
	v_mov_b32_e32 v6, 0
	s_and_b64 vcc, exec, s[14:15]
	v_mov_b32_e32 v7, 0x3ff00000
	s_cbranch_vccnz .LBB9_10
; %bb.3:
	s_cmp_lg_u64 s[8:9], 1
	s_cbranch_scc0 .LBB9_8
; %bb.4:
	v_mov_b32_e32 v6, 0
	s_andn2_b64 vcc, exec, s[0:1]
	v_mov_b32_e32 v7, 0x7ff80000
	s_cbranch_vccnz .LBB9_7
; %bb.5:
	v_mov_b32_e32 v12, 0
	s_mov_b64 s[2:3], 1
	v_mov_b32_e32 v13, 0x3ff00000
	s_waitcnt vmcnt(0)
	v_pk_mov_b32 v[6:7], v[8:9], v[8:9] op_sel:[0,1]
.LBB9_6:                                ; =>This Inner Loop Header: Depth=1
	v_cvt_f64_u32_e32 v[16:17], s3
	v_cvt_f64_u32_e32 v[18:19], s2
	v_ldexp_f64 v[16:17], v[16:17], 32
	s_add_u32 s2, s2, 1
	v_add_f64 v[16:17], v[16:17], v[18:19]
	s_addc_u32 s3, s3, 0
	v_mul_f64 v[16:17], v[12:13], v[16:17]
	s_cmp_lg_u64 s[8:9], s[2:3]
	v_pk_mov_b32 v[12:13], v[6:7], v[6:7] op_sel:[0,1]
	v_fma_f64 v[6:7], v[8:9], v[6:7], -v[16:17]
	s_cbranch_scc1 .LBB9_6
.LBB9_7:
	s_cbranch_execz .LBB9_9
	s_branch .LBB9_10
.LBB9_8:
                                        ; implicit-def: $vgpr6_vgpr7
.LBB9_9:
	s_waitcnt vmcnt(0)
	v_pk_mov_b32 v[6:7], v[8:9], v[8:9] op_sel:[0,1]
.LBB9_10:
	s_waitcnt vmcnt(0)
	v_cndmask_b32_e64 v8, 0, 1, s[16:17]
	v_cmp_ne_u32_e64 s[2:3], 1, v8
	s_andn2_b64 vcc, exec, s[16:17]
	v_pk_mov_b32 v[8:9], 0, 0
	s_cbranch_vccnz .LBB9_19
; %bb.11:
	v_mov_b32_e32 v8, 0
	s_and_b64 vcc, exec, s[14:15]
	v_mov_b32_e32 v9, 0x3ff00000
	s_cbranch_vccnz .LBB9_19
; %bb.12:
	s_cmp_lg_u64 s[8:9], 1
	s_cbranch_scc0 .LBB9_17
; %bb.13:
	v_mov_b32_e32 v8, 0
	s_andn2_b64 vcc, exec, s[0:1]
	v_mov_b32_e32 v9, 0x7ff80000
	s_cbranch_vccnz .LBB9_16
; %bb.14:
	v_mov_b32_e32 v12, 0
	s_mov_b64 s[16:17], 1
	v_mov_b32_e32 v13, 0x3ff00000
	v_pk_mov_b32 v[8:9], v[10:11], v[10:11] op_sel:[0,1]
.LBB9_15:                               ; =>This Inner Loop Header: Depth=1
	v_cvt_f64_u32_e32 v[16:17], s17
	v_cvt_f64_u32_e32 v[18:19], s16
	v_ldexp_f64 v[16:17], v[16:17], 32
	s_add_u32 s16, s16, 1
	v_add_f64 v[16:17], v[16:17], v[18:19]
	s_addc_u32 s17, s17, 0
	v_mul_f64 v[16:17], v[12:13], v[16:17]
	s_cmp_lg_u64 s[8:9], s[16:17]
	v_pk_mov_b32 v[12:13], v[8:9], v[8:9] op_sel:[0,1]
	v_fma_f64 v[8:9], v[10:11], v[8:9], -v[16:17]
	s_cbranch_scc1 .LBB9_15
.LBB9_16:
	s_cbranch_execz .LBB9_18
	s_branch .LBB9_19
.LBB9_17:
.LBB9_18:
	v_pk_mov_b32 v[8:9], v[10:11], v[10:11] op_sel:[0,1]
.LBB9_19:
	s_and_b64 vcc, exec, s[2:3]
	v_pk_mov_b32 v[10:11], 0, 0
	s_cbranch_vccnz .LBB9_28
; %bb.20:
	v_mov_b32_e32 v10, 0
	s_and_b64 vcc, exec, s[14:15]
	v_mov_b32_e32 v11, 0x3ff00000
	s_cbranch_vccnz .LBB9_28
; %bb.21:
	s_cmp_lg_u64 s[8:9], 1
	s_cbranch_scc0 .LBB9_26
; %bb.22:
	v_mov_b32_e32 v10, 0
	s_andn2_b64 vcc, exec, s[0:1]
	v_mov_b32_e32 v11, 0x7ff80000
	s_cbranch_vccnz .LBB9_25
; %bb.23:
	v_mov_b32_e32 v12, 0
	s_mov_b64 s[16:17], 1
	v_mov_b32_e32 v13, 0x3ff00000
	v_pk_mov_b32 v[10:11], v[2:3], v[2:3] op_sel:[0,1]
.LBB9_24:                               ; =>This Inner Loop Header: Depth=1
	v_cvt_f64_u32_e32 v[16:17], s17
	v_cvt_f64_u32_e32 v[18:19], s16
	v_ldexp_f64 v[16:17], v[16:17], 32
	s_add_u32 s16, s16, 1
	v_add_f64 v[16:17], v[16:17], v[18:19]
	s_addc_u32 s17, s17, 0
	v_mul_f64 v[16:17], v[12:13], v[16:17]
	s_cmp_lg_u64 s[8:9], s[16:17]
	v_pk_mov_b32 v[12:13], v[10:11], v[10:11] op_sel:[0,1]
	v_fma_f64 v[10:11], v[2:3], v[10:11], -v[16:17]
	s_cbranch_scc1 .LBB9_24
.LBB9_25:
	s_cbranch_execz .LBB9_27
	s_branch .LBB9_28
.LBB9_26:
                                        ; implicit-def: $vgpr10_vgpr11
.LBB9_27:
	v_pk_mov_b32 v[10:11], v[2:3], v[2:3] op_sel:[0,1]
.LBB9_28:
	s_and_b64 vcc, exec, s[2:3]
	v_pk_mov_b32 v[12:13], 0, 0
	s_cbranch_vccnz .LBB9_37
; %bb.29:
	v_mov_b32_e32 v12, 0
	s_and_b64 vcc, exec, s[14:15]
	v_mov_b32_e32 v13, 0x3ff00000
	s_cbranch_vccnz .LBB9_37
; %bb.30:
	s_cmp_lg_u64 s[8:9], 1
	s_cbranch_scc0 .LBB9_35
; %bb.31:
	v_mov_b32_e32 v12, 0
	s_andn2_b64 vcc, exec, s[0:1]
	v_mov_b32_e32 v13, 0x7ff80000
	s_cbranch_vccnz .LBB9_34
; %bb.32:
	v_mov_b32_e32 v2, 0
	s_mov_b64 s[0:1], 1
	v_mov_b32_e32 v3, 0x3ff00000
	v_pk_mov_b32 v[12:13], v[4:5], v[4:5] op_sel:[0,1]
.LBB9_33:                               ; =>This Inner Loop Header: Depth=1
	v_cvt_f64_u32_e32 v[16:17], s1
	v_cvt_f64_u32_e32 v[18:19], s0
	v_ldexp_f64 v[16:17], v[16:17], 32
	s_add_u32 s0, s0, 1
	v_add_f64 v[16:17], v[16:17], v[18:19]
	s_addc_u32 s1, s1, 0
	v_mul_f64 v[16:17], v[2:3], v[16:17]
	s_cmp_lg_u64 s[8:9], s[0:1]
	v_pk_mov_b32 v[2:3], v[12:13], v[12:13] op_sel:[0,1]
	v_fma_f64 v[12:13], v[4:5], v[12:13], -v[16:17]
	s_cbranch_scc1 .LBB9_33
.LBB9_34:
	s_cbranch_execz .LBB9_36
	s_branch .LBB9_37
.LBB9_35:
.LBB9_36:
	v_pk_mov_b32 v[12:13], v[4:5], v[4:5] op_sel:[0,1]
.LBB9_37:
	s_add_u32 s0, s10, s4
	s_addc_u32 s1, s11, s5
	global_store_dwordx4 v1, v[6:9], s[0:1]
	global_store_dwordx4 v1, v[10:13], s[0:1] offset:16
	s_mov_b64 s[0:1], 0
.LBB9_38:
	s_and_b64 vcc, exec, s[0:1]
	s_cbranch_vccz .LBB9_96
; %bb.39:
	v_pk_mov_b32 v[18:19], 0, 0
	v_cmp_gt_i32_e64 s[0:1], s18, v0
	v_or_b32_e32 v10, s6, v0
	v_pk_mov_b32 v[20:21], v[18:19], v[18:19] op_sel:[0,1]
	v_mov_b32_e32 v1, v0
	s_and_saveexec_b64 s[2:3], s[0:1]
	s_cbranch_execz .LBB9_41
; %bb.40:
	v_mov_b32_e32 v11, 0
	v_lshlrev_b64 v[2:3], 3, v[10:11]
	v_mov_b32_e32 v1, s13
	v_add_co_u32_e32 v2, vcc, s12, v2
	v_addc_co_u32_e32 v3, vcc, v1, v3, vcc
	global_load_dwordx2 v[20:21], v[2:3], off
	v_or_b32_e32 v1, 0x100, v0
.LBB9_41:
	s_or_b64 exec, exec, s[2:3]
	v_cmp_gt_i32_e32 vcc, s18, v1
	s_and_saveexec_b64 s[2:3], vcc
	s_cbranch_execz .LBB9_43
; %bb.42:
	v_add_u32_e32 v2, s6, v1
	v_mov_b32_e32 v3, 0
	v_lshlrev_b64 v[2:3], 3, v[2:3]
	v_mov_b32_e32 v4, s13
	v_add_co_u32_e32 v2, vcc, s12, v2
	v_addc_co_u32_e32 v3, vcc, v4, v3, vcc
	global_load_dwordx2 v[18:19], v[2:3], off
	v_add_u32_e32 v1, 0x100, v1
.LBB9_43:
	s_or_b64 exec, exec, s[2:3]
	v_pk_mov_b32 v[12:13], 0, 0
	v_cmp_gt_i32_e32 vcc, s18, v1
	v_pk_mov_b32 v[16:17], v[12:13], v[12:13] op_sel:[0,1]
	s_and_saveexec_b64 s[2:3], vcc
	s_cbranch_execz .LBB9_45
; %bb.44:
	v_add_u32_e32 v2, s6, v1
	v_mov_b32_e32 v3, 0
	v_lshlrev_b64 v[2:3], 3, v[2:3]
	v_mov_b32_e32 v4, s13
	v_add_co_u32_e32 v2, vcc, s12, v2
	v_addc_co_u32_e32 v3, vcc, v4, v3, vcc
	global_load_dwordx2 v[16:17], v[2:3], off
	v_add_u32_e32 v1, 0x100, v1
.LBB9_45:
	s_or_b64 exec, exec, s[2:3]
	v_cmp_gt_i32_e32 vcc, s18, v1
	s_and_saveexec_b64 s[2:3], vcc
	s_cbranch_execz .LBB9_47
; %bb.46:
	v_add_u32_e32 v2, s6, v1
	v_mov_b32_e32 v3, 0
	v_lshlrev_b64 v[2:3], 3, v[2:3]
	v_mov_b32_e32 v1, s13
	v_add_co_u32_e32 v2, vcc, s12, v2
	v_addc_co_u32_e32 v3, vcc, v1, v3, vcc
	global_load_dwordx2 v[12:13], v[2:3], off
.LBB9_47:
	s_or_b64 exec, exec, s[2:3]
	s_movk_i32 s2, 0xffe0
	v_ldexp_f64 v[2:3], v[14:15], s2
	v_floor_f64_e32 v[2:3], v[2:3]
	v_fmac_f64_e32 v[14:15], 0xc1f00000, v[2:3]
	v_cvt_i32_f64_e32 v1, v[2:3]
	v_cvt_u32_f64_e32 v2, v[14:15]
	v_readfirstlane_b32 s8, v2
	v_readfirstlane_b32 s9, v1
	v_mov_b32_e32 v2, 0x201
	v_cmp_gt_i64_e64 s[4:5], s[8:9], -1
	v_mov_b32_e32 v3, 0
	v_cndmask_b32_e64 v1, 0, 1, s[4:5]
	v_cmp_lt_u64_e64 s[2:3], s[8:9], v[2:3]
	v_cmp_ne_u32_e64 s[4:5], 1, v1
                                        ; implicit-def: $vgpr2_vgpr3_vgpr4_vgpr5_vgpr6_vgpr7_vgpr8_vgpr9
	s_and_saveexec_b64 s[12:13], s[0:1]
	s_cbranch_execz .LBB9_58
; %bb.48:
	s_and_b64 vcc, exec, s[4:5]
	v_pk_mov_b32 v[2:3], 0, 0
	s_cbranch_vccnz .LBB9_58
; %bb.49:
	v_cmp_lt_i64_e64 s[14:15], s[8:9], 1
	v_mov_b32_e32 v2, 0
	s_and_b64 vcc, exec, s[14:15]
	v_mov_b32_e32 v3, 0x3ff00000
	s_cbranch_vccnz .LBB9_58
; %bb.50:
	s_cmp_lg_u64 s[8:9], 1
	s_cbranch_scc0 .LBB9_55
; %bb.51:
	v_mov_b32_e32 v2, 0
	s_andn2_b64 vcc, exec, s[2:3]
	v_mov_b32_e32 v3, 0x7ff80000
	s_cbranch_vccnz .LBB9_54
; %bb.52:
	v_mov_b32_e32 v4, 0
	s_mov_b64 s[14:15], 1
	v_mov_b32_e32 v5, 0x3ff00000
	s_waitcnt vmcnt(0)
	v_pk_mov_b32 v[2:3], v[20:21], v[20:21] op_sel:[0,1]
.LBB9_53:                               ; =>This Inner Loop Header: Depth=1
	v_cvt_f64_u32_e32 v[6:7], s15
	v_cvt_f64_u32_e32 v[8:9], s14
	v_ldexp_f64 v[6:7], v[6:7], 32
	s_add_u32 s14, s14, 1
	v_add_f64 v[6:7], v[6:7], v[8:9]
	s_addc_u32 s15, s15, 0
	v_mul_f64 v[6:7], v[4:5], v[6:7]
	s_cmp_lg_u64 s[8:9], s[14:15]
	v_pk_mov_b32 v[4:5], v[2:3], v[2:3] op_sel:[0,1]
	v_fma_f64 v[2:3], v[20:21], v[2:3], -v[6:7]
	s_cbranch_scc1 .LBB9_53
.LBB9_54:
	s_mov_b64 s[14:15], 0
	s_branch .LBB9_56
.LBB9_55:
	s_mov_b64 s[14:15], -1
                                        ; implicit-def: $vgpr2_vgpr3
.LBB9_56:
	s_andn2_b64 vcc, exec, s[14:15]
	s_cbranch_vccnz .LBB9_58
; %bb.57:
	s_waitcnt vmcnt(0)
	v_pk_mov_b32 v[2:3], v[20:21], v[20:21] op_sel:[0,1]
.LBB9_58:
	s_or_b64 exec, exec, s[12:13]
	v_or_b32_e32 v1, 0x100, v0
	v_cmp_gt_i32_e32 vcc, s18, v1
	s_and_saveexec_b64 s[12:13], vcc
	s_cbranch_execz .LBB9_69
; %bb.59:
	s_and_b64 vcc, exec, s[4:5]
	v_pk_mov_b32 v[4:5], 0, 0
	s_cbranch_vccnz .LBB9_69
; %bb.60:
	v_cmp_lt_i64_e64 s[14:15], s[8:9], 1
	v_mov_b32_e32 v4, 0
	s_and_b64 vcc, exec, s[14:15]
	v_mov_b32_e32 v5, 0x3ff00000
	s_cbranch_vccnz .LBB9_69
; %bb.61:
	s_cmp_lg_u64 s[8:9], 1
	s_cbranch_scc0 .LBB9_66
; %bb.62:
	v_mov_b32_e32 v4, 0
	s_andn2_b64 vcc, exec, s[2:3]
	v_mov_b32_e32 v5, 0x7ff80000
	s_cbranch_vccnz .LBB9_65
; %bb.63:
	v_mov_b32_e32 v14, 0
	s_mov_b64 s[14:15], 1
	v_mov_b32_e32 v15, 0x3ff00000
	s_waitcnt vmcnt(0)
	v_pk_mov_b32 v[4:5], v[18:19], v[18:19] op_sel:[0,1]
.LBB9_64:                               ; =>This Inner Loop Header: Depth=1
	v_cvt_f64_u32_e32 v[20:21], s15
	v_cvt_f64_u32_e32 v[22:23], s14
	v_ldexp_f64 v[20:21], v[20:21], 32
	s_add_u32 s14, s14, 1
	v_add_f64 v[20:21], v[20:21], v[22:23]
	s_addc_u32 s15, s15, 0
	v_mul_f64 v[20:21], v[14:15], v[20:21]
	s_cmp_lg_u64 s[8:9], s[14:15]
	v_pk_mov_b32 v[14:15], v[4:5], v[4:5] op_sel:[0,1]
	v_fma_f64 v[4:5], v[18:19], v[4:5], -v[20:21]
	s_cbranch_scc1 .LBB9_64
.LBB9_65:
	s_mov_b64 s[14:15], 0
	s_branch .LBB9_67
.LBB9_66:
	s_mov_b64 s[14:15], -1
.LBB9_67:
	s_andn2_b64 vcc, exec, s[14:15]
	s_cbranch_vccnz .LBB9_69
; %bb.68:
	s_waitcnt vmcnt(0)
	v_pk_mov_b32 v[4:5], v[18:19], v[18:19] op_sel:[0,1]
.LBB9_69:
	s_or_b64 exec, exec, s[12:13]
	v_or_b32_e32 v11, 0x200, v0
	v_cmp_gt_i32_e32 vcc, s18, v11
	s_and_saveexec_b64 s[12:13], vcc
	s_cbranch_execz .LBB9_80
; %bb.70:
	s_and_b64 vcc, exec, s[4:5]
	v_pk_mov_b32 v[6:7], 0, 0
	s_cbranch_vccnz .LBB9_80
; %bb.71:
	v_cmp_lt_i64_e64 s[14:15], s[8:9], 1
	v_mov_b32_e32 v6, 0
	s_and_b64 vcc, exec, s[14:15]
	v_mov_b32_e32 v7, 0x3ff00000
	s_cbranch_vccnz .LBB9_80
; %bb.72:
	s_cmp_lg_u64 s[8:9], 1
	s_cbranch_scc0 .LBB9_77
; %bb.73:
	v_mov_b32_e32 v6, 0
	s_andn2_b64 vcc, exec, s[2:3]
	v_mov_b32_e32 v7, 0x7ff80000
	s_cbranch_vccnz .LBB9_76
; %bb.74:
	v_mov_b32_e32 v14, 0
	s_mov_b64 s[14:15], 1
	v_mov_b32_e32 v15, 0x3ff00000
	s_waitcnt vmcnt(0)
	v_pk_mov_b32 v[6:7], v[16:17], v[16:17] op_sel:[0,1]
.LBB9_75:                               ; =>This Inner Loop Header: Depth=1
	v_cvt_f64_u32_e32 v[18:19], s15
	v_cvt_f64_u32_e32 v[20:21], s14
	v_ldexp_f64 v[18:19], v[18:19], 32
	s_add_u32 s14, s14, 1
	v_add_f64 v[18:19], v[18:19], v[20:21]
	s_addc_u32 s15, s15, 0
	v_mul_f64 v[18:19], v[14:15], v[18:19]
	s_cmp_lg_u64 s[8:9], s[14:15]
	v_pk_mov_b32 v[14:15], v[6:7], v[6:7] op_sel:[0,1]
	v_fma_f64 v[6:7], v[16:17], v[6:7], -v[18:19]
	s_cbranch_scc1 .LBB9_75
.LBB9_76:
	s_mov_b64 s[14:15], 0
	s_branch .LBB9_78
.LBB9_77:
	s_mov_b64 s[14:15], -1
.LBB9_78:
	s_andn2_b64 vcc, exec, s[14:15]
	s_cbranch_vccnz .LBB9_80
; %bb.79:
	s_waitcnt vmcnt(0)
	v_pk_mov_b32 v[6:7], v[16:17], v[16:17] op_sel:[0,1]
.LBB9_80:
	;; [unrolled: 53-line block ×3, first 2 shown]
	s_or_b64 exec, exec, s[12:13]
	s_and_saveexec_b64 s[2:3], s[0:1]
	s_xor_b64 s[0:1], exec, s[2:3]
	s_cbranch_execnz .LBB9_97
; %bb.92:
	s_or_b64 exec, exec, s[0:1]
	v_cmp_gt_i32_e32 vcc, s18, v0
	s_and_saveexec_b64 s[0:1], vcc
	s_cbranch_execnz .LBB9_98
.LBB9_93:
	s_or_b64 exec, exec, s[0:1]
	v_cmp_gt_i32_e32 vcc, s18, v0
	s_and_saveexec_b64 s[0:1], vcc
	s_cbranch_execnz .LBB9_99
.LBB9_94:
	s_or_b64 exec, exec, s[0:1]
	v_cmp_gt_i32_e32 vcc, s18, v0
	s_and_saveexec_b64 s[0:1], vcc
	s_cbranch_execz .LBB9_96
.LBB9_95:
	v_add_u32_e32 v0, s6, v0
	v_mov_b32_e32 v1, 0
	v_lshlrev_b64 v[0:1], 3, v[0:1]
	v_mov_b32_e32 v2, s11
	v_add_co_u32_e32 v0, vcc, s10, v0
	v_addc_co_u32_e32 v1, vcc, v2, v1, vcc
	global_store_dwordx2 v[0:1], v[8:9], off
.LBB9_96:
	s_endpgm
.LBB9_97:
	v_mov_b32_e32 v11, 0
	v_lshlrev_b64 v[10:11], 3, v[10:11]
	v_mov_b32_e32 v0, s11
	v_add_co_u32_e32 v10, vcc, s10, v10
	v_addc_co_u32_e32 v11, vcc, v0, v11, vcc
	v_mov_b32_e32 v0, v1
	global_store_dwordx2 v[10:11], v[2:3], off
	s_or_b64 exec, exec, s[0:1]
	v_cmp_gt_i32_e32 vcc, s18, v0
	s_and_saveexec_b64 s[0:1], vcc
	s_cbranch_execz .LBB9_93
.LBB9_98:
	v_add_u32_e32 v2, s6, v0
	v_mov_b32_e32 v3, 0
	v_lshlrev_b64 v[2:3], 3, v[2:3]
	v_mov_b32_e32 v1, s11
	v_add_co_u32_e32 v2, vcc, s10, v2
	v_addc_co_u32_e32 v3, vcc, v1, v3, vcc
	v_add_u32_e32 v0, 0x100, v0
	global_store_dwordx2 v[2:3], v[4:5], off
	s_or_b64 exec, exec, s[0:1]
	v_cmp_gt_i32_e32 vcc, s18, v0
	s_and_saveexec_b64 s[0:1], vcc
	s_cbranch_execz .LBB9_94
.LBB9_99:
	v_add_u32_e32 v2, s6, v0
	v_mov_b32_e32 v3, 0
	v_lshlrev_b64 v[2:3], 3, v[2:3]
	v_mov_b32_e32 v1, s11
	v_add_co_u32_e32 v2, vcc, s10, v2
	v_addc_co_u32_e32 v3, vcc, v1, v3, vcc
	v_add_u32_e32 v0, 0x100, v0
	global_store_dwordx2 v[2:3], v[6:7], off
	s_or_b64 exec, exec, s[0:1]
	v_cmp_gt_i32_e32 vcc, s18, v0
	s_and_saveexec_b64 s[0:1], vcc
	s_cbranch_execnz .LBB9_95
	s_branch .LBB9_96
	.section	.rodata,"a",@progbits
	.p2align	6, 0x0
	.amdhsa_kernel _ZN2at6native29vectorized_elementwise_kernelILi8ENS0_13BUnaryFunctorIdddZZZNS0_12_GLOBAL__N_133hermite_polynomial_he_kernel_cudaERNS_18TensorIteratorBaseEENKUlvE_clEvENKUlvE_clEvEUlddE_EESt5arrayIPcLm2EEEEviT0_T1_
		.amdhsa_group_segment_fixed_size 0
		.amdhsa_private_segment_fixed_size 0
		.amdhsa_kernarg_size 40
		.amdhsa_user_sgpr_count 6
		.amdhsa_user_sgpr_private_segment_buffer 1
		.amdhsa_user_sgpr_dispatch_ptr 0
		.amdhsa_user_sgpr_queue_ptr 0
		.amdhsa_user_sgpr_kernarg_segment_ptr 1
		.amdhsa_user_sgpr_dispatch_id 0
		.amdhsa_user_sgpr_flat_scratch_init 0
		.amdhsa_user_sgpr_kernarg_preload_length 0
		.amdhsa_user_sgpr_kernarg_preload_offset 0
		.amdhsa_user_sgpr_private_segment_size 0
		.amdhsa_uses_dynamic_stack 0
		.amdhsa_system_sgpr_private_segment_wavefront_offset 0
		.amdhsa_system_sgpr_workgroup_id_x 1
		.amdhsa_system_sgpr_workgroup_id_y 0
		.amdhsa_system_sgpr_workgroup_id_z 0
		.amdhsa_system_sgpr_workgroup_info 0
		.amdhsa_system_vgpr_workitem_id 0
		.amdhsa_next_free_vgpr 24
		.amdhsa_next_free_sgpr 19
		.amdhsa_accum_offset 24
		.amdhsa_reserve_vcc 1
		.amdhsa_reserve_flat_scratch 0
		.amdhsa_float_round_mode_32 0
		.amdhsa_float_round_mode_16_64 0
		.amdhsa_float_denorm_mode_32 3
		.amdhsa_float_denorm_mode_16_64 3
		.amdhsa_dx10_clamp 1
		.amdhsa_ieee_mode 1
		.amdhsa_fp16_overflow 0
		.amdhsa_tg_split 0
		.amdhsa_exception_fp_ieee_invalid_op 0
		.amdhsa_exception_fp_denorm_src 0
		.amdhsa_exception_fp_ieee_div_zero 0
		.amdhsa_exception_fp_ieee_overflow 0
		.amdhsa_exception_fp_ieee_underflow 0
		.amdhsa_exception_fp_ieee_inexact 0
		.amdhsa_exception_int_div_zero 0
	.end_amdhsa_kernel
	.section	.text._ZN2at6native29vectorized_elementwise_kernelILi8ENS0_13BUnaryFunctorIdddZZZNS0_12_GLOBAL__N_133hermite_polynomial_he_kernel_cudaERNS_18TensorIteratorBaseEENKUlvE_clEvENKUlvE_clEvEUlddE_EESt5arrayIPcLm2EEEEviT0_T1_,"axG",@progbits,_ZN2at6native29vectorized_elementwise_kernelILi8ENS0_13BUnaryFunctorIdddZZZNS0_12_GLOBAL__N_133hermite_polynomial_he_kernel_cudaERNS_18TensorIteratorBaseEENKUlvE_clEvENKUlvE_clEvEUlddE_EESt5arrayIPcLm2EEEEviT0_T1_,comdat
.Lfunc_end9:
	.size	_ZN2at6native29vectorized_elementwise_kernelILi8ENS0_13BUnaryFunctorIdddZZZNS0_12_GLOBAL__N_133hermite_polynomial_he_kernel_cudaERNS_18TensorIteratorBaseEENKUlvE_clEvENKUlvE_clEvEUlddE_EESt5arrayIPcLm2EEEEviT0_T1_, .Lfunc_end9-_ZN2at6native29vectorized_elementwise_kernelILi8ENS0_13BUnaryFunctorIdddZZZNS0_12_GLOBAL__N_133hermite_polynomial_he_kernel_cudaERNS_18TensorIteratorBaseEENKUlvE_clEvENKUlvE_clEvEUlddE_EESt5arrayIPcLm2EEEEviT0_T1_
                                        ; -- End function
	.section	.AMDGPU.csdata,"",@progbits
; Kernel info:
; codeLenInByte = 2416
; NumSgprs: 23
; NumVgprs: 24
; NumAgprs: 0
; TotalNumVgprs: 24
; ScratchSize: 0
; MemoryBound: 0
; FloatMode: 240
; IeeeMode: 1
; LDSByteSize: 0 bytes/workgroup (compile time only)
; SGPRBlocks: 2
; VGPRBlocks: 2
; NumSGPRsForWavesPerEU: 23
; NumVGPRsForWavesPerEU: 24
; AccumOffset: 24
; Occupancy: 8
; WaveLimiterHint : 0
; COMPUTE_PGM_RSRC2:SCRATCH_EN: 0
; COMPUTE_PGM_RSRC2:USER_SGPR: 6
; COMPUTE_PGM_RSRC2:TRAP_HANDLER: 0
; COMPUTE_PGM_RSRC2:TGID_X_EN: 1
; COMPUTE_PGM_RSRC2:TGID_Y_EN: 0
; COMPUTE_PGM_RSRC2:TGID_Z_EN: 0
; COMPUTE_PGM_RSRC2:TIDIG_COMP_CNT: 0
; COMPUTE_PGM_RSRC3_GFX90A:ACCUM_OFFSET: 5
; COMPUTE_PGM_RSRC3_GFX90A:TG_SPLIT: 0
	.section	.text._ZN2at6native29vectorized_elementwise_kernelILi4ENS0_13BUnaryFunctorIdddZZZNS0_12_GLOBAL__N_133hermite_polynomial_he_kernel_cudaERNS_18TensorIteratorBaseEENKUlvE_clEvENKUlvE_clEvEUlddE_EESt5arrayIPcLm2EEEEviT0_T1_,"axG",@progbits,_ZN2at6native29vectorized_elementwise_kernelILi4ENS0_13BUnaryFunctorIdddZZZNS0_12_GLOBAL__N_133hermite_polynomial_he_kernel_cudaERNS_18TensorIteratorBaseEENKUlvE_clEvENKUlvE_clEvEUlddE_EESt5arrayIPcLm2EEEEviT0_T1_,comdat
	.globl	_ZN2at6native29vectorized_elementwise_kernelILi4ENS0_13BUnaryFunctorIdddZZZNS0_12_GLOBAL__N_133hermite_polynomial_he_kernel_cudaERNS_18TensorIteratorBaseEENKUlvE_clEvENKUlvE_clEvEUlddE_EESt5arrayIPcLm2EEEEviT0_T1_ ; -- Begin function _ZN2at6native29vectorized_elementwise_kernelILi4ENS0_13BUnaryFunctorIdddZZZNS0_12_GLOBAL__N_133hermite_polynomial_he_kernel_cudaERNS_18TensorIteratorBaseEENKUlvE_clEvENKUlvE_clEvEUlddE_EESt5arrayIPcLm2EEEEviT0_T1_
	.p2align	8
	.type	_ZN2at6native29vectorized_elementwise_kernelILi4ENS0_13BUnaryFunctorIdddZZZNS0_12_GLOBAL__N_133hermite_polynomial_he_kernel_cudaERNS_18TensorIteratorBaseEENKUlvE_clEvENKUlvE_clEvEUlddE_EESt5arrayIPcLm2EEEEviT0_T1_,@function
_ZN2at6native29vectorized_elementwise_kernelILi4ENS0_13BUnaryFunctorIdddZZZNS0_12_GLOBAL__N_133hermite_polynomial_he_kernel_cudaERNS_18TensorIteratorBaseEENKUlvE_clEvENKUlvE_clEvEUlddE_EESt5arrayIPcLm2EEEEviT0_T1_: ; @_ZN2at6native29vectorized_elementwise_kernelILi4ENS0_13BUnaryFunctorIdddZZZNS0_12_GLOBAL__N_133hermite_polynomial_he_kernel_cudaERNS_18TensorIteratorBaseEENKUlvE_clEvENKUlvE_clEvEUlddE_EESt5arrayIPcLm2EEEEviT0_T1_
; %bb.0:
	s_load_dword s0, s[4:5], 0x0
	s_load_dwordx4 s[8:11], s[4:5], 0x10
	s_load_dwordx2 s[12:13], s[4:5], 0x20
	s_lshl_b32 s6, s6, 10
	s_waitcnt lgkmcnt(0)
	s_sub_i32 s18, s0, s6
	s_mov_b64 s[0:1], -1
	s_cmpk_gt_i32 s18, 0x3ff
	v_trunc_f64_e32 v[14:15], s[8:9]
	s_cbranch_scc0 .LBB10_38
; %bb.1:
	s_ashr_i32 s7, s6, 31
	s_lshl_b64 s[4:5], s[6:7], 3
	s_add_u32 s0, s12, s4
	s_addc_u32 s1, s13, s5
	v_lshlrev_b32_e32 v1, 5, v0
	global_load_dwordx4 v[2:5], v1, s[0:1] offset:16
	global_load_dwordx4 v[8:11], v1, s[0:1]
	s_movk_i32 s0, 0xffe0
	v_ldexp_f64 v[6:7], v[14:15], s0
	v_floor_f64_e32 v[6:7], v[6:7]
	v_pk_mov_b32 v[12:13], v[14:15], v[14:15] op_sel:[0,1]
	v_fmac_f64_e32 v[12:13], 0xc1f00000, v[6:7]
	v_cvt_i32_f64_e32 v16, v[6:7]
	v_cvt_u32_f64_e32 v6, v[12:13]
	v_readfirstlane_b32 s8, v6
	v_readfirstlane_b32 s9, v16
	v_mov_b32_e32 v6, 0x201
	v_cmp_lt_i64_e64 s[2:3], s[8:9], 0
	v_mov_b32_e32 v7, 0
	v_cmp_gt_i64_e64 s[16:17], s[8:9], -1
	v_cmp_lt_u64_e64 s[0:1], s[8:9], v[6:7]
	s_and_b64 vcc, exec, s[2:3]
	v_pk_mov_b32 v[6:7], 0, 0
	v_cmp_lt_i64_e64 s[14:15], s[8:9], 1
	s_cbranch_vccnz .LBB10_10
; %bb.2:
	v_mov_b32_e32 v6, 0
	s_and_b64 vcc, exec, s[14:15]
	v_mov_b32_e32 v7, 0x3ff00000
	s_cbranch_vccnz .LBB10_10
; %bb.3:
	s_cmp_lg_u64 s[8:9], 1
	s_cbranch_scc0 .LBB10_8
; %bb.4:
	v_mov_b32_e32 v6, 0
	s_andn2_b64 vcc, exec, s[0:1]
	v_mov_b32_e32 v7, 0x7ff80000
	s_cbranch_vccnz .LBB10_7
; %bb.5:
	v_mov_b32_e32 v12, 0
	s_mov_b64 s[2:3], 1
	v_mov_b32_e32 v13, 0x3ff00000
	s_waitcnt vmcnt(0)
	v_pk_mov_b32 v[6:7], v[8:9], v[8:9] op_sel:[0,1]
.LBB10_6:                               ; =>This Inner Loop Header: Depth=1
	v_cvt_f64_u32_e32 v[16:17], s3
	v_cvt_f64_u32_e32 v[18:19], s2
	v_ldexp_f64 v[16:17], v[16:17], 32
	s_add_u32 s2, s2, 1
	v_add_f64 v[16:17], v[16:17], v[18:19]
	s_addc_u32 s3, s3, 0
	v_mul_f64 v[16:17], v[12:13], v[16:17]
	s_cmp_lg_u64 s[8:9], s[2:3]
	v_pk_mov_b32 v[12:13], v[6:7], v[6:7] op_sel:[0,1]
	v_fma_f64 v[6:7], v[8:9], v[6:7], -v[16:17]
	s_cbranch_scc1 .LBB10_6
.LBB10_7:
	s_cbranch_execz .LBB10_9
	s_branch .LBB10_10
.LBB10_8:
                                        ; implicit-def: $vgpr6_vgpr7
.LBB10_9:
	s_waitcnt vmcnt(0)
	v_pk_mov_b32 v[6:7], v[8:9], v[8:9] op_sel:[0,1]
.LBB10_10:
	s_waitcnt vmcnt(0)
	v_cndmask_b32_e64 v8, 0, 1, s[16:17]
	v_cmp_ne_u32_e64 s[2:3], 1, v8
	s_andn2_b64 vcc, exec, s[16:17]
	v_pk_mov_b32 v[8:9], 0, 0
	s_cbranch_vccnz .LBB10_19
; %bb.11:
	v_mov_b32_e32 v8, 0
	s_and_b64 vcc, exec, s[14:15]
	v_mov_b32_e32 v9, 0x3ff00000
	s_cbranch_vccnz .LBB10_19
; %bb.12:
	s_cmp_lg_u64 s[8:9], 1
	s_cbranch_scc0 .LBB10_17
; %bb.13:
	v_mov_b32_e32 v8, 0
	s_andn2_b64 vcc, exec, s[0:1]
	v_mov_b32_e32 v9, 0x7ff80000
	s_cbranch_vccnz .LBB10_16
; %bb.14:
	v_mov_b32_e32 v12, 0
	s_mov_b64 s[16:17], 1
	v_mov_b32_e32 v13, 0x3ff00000
	v_pk_mov_b32 v[8:9], v[10:11], v[10:11] op_sel:[0,1]
.LBB10_15:                              ; =>This Inner Loop Header: Depth=1
	v_cvt_f64_u32_e32 v[16:17], s17
	v_cvt_f64_u32_e32 v[18:19], s16
	v_ldexp_f64 v[16:17], v[16:17], 32
	s_add_u32 s16, s16, 1
	v_add_f64 v[16:17], v[16:17], v[18:19]
	s_addc_u32 s17, s17, 0
	v_mul_f64 v[16:17], v[12:13], v[16:17]
	s_cmp_lg_u64 s[8:9], s[16:17]
	v_pk_mov_b32 v[12:13], v[8:9], v[8:9] op_sel:[0,1]
	v_fma_f64 v[8:9], v[10:11], v[8:9], -v[16:17]
	s_cbranch_scc1 .LBB10_15
.LBB10_16:
	s_cbranch_execz .LBB10_18
	s_branch .LBB10_19
.LBB10_17:
.LBB10_18:
	v_pk_mov_b32 v[8:9], v[10:11], v[10:11] op_sel:[0,1]
.LBB10_19:
	s_and_b64 vcc, exec, s[2:3]
	v_pk_mov_b32 v[10:11], 0, 0
	s_cbranch_vccnz .LBB10_28
; %bb.20:
	v_mov_b32_e32 v10, 0
	s_and_b64 vcc, exec, s[14:15]
	v_mov_b32_e32 v11, 0x3ff00000
	s_cbranch_vccnz .LBB10_28
; %bb.21:
	s_cmp_lg_u64 s[8:9], 1
	s_cbranch_scc0 .LBB10_26
; %bb.22:
	v_mov_b32_e32 v10, 0
	s_andn2_b64 vcc, exec, s[0:1]
	v_mov_b32_e32 v11, 0x7ff80000
	s_cbranch_vccnz .LBB10_25
; %bb.23:
	v_mov_b32_e32 v12, 0
	s_mov_b64 s[16:17], 1
	v_mov_b32_e32 v13, 0x3ff00000
	v_pk_mov_b32 v[10:11], v[2:3], v[2:3] op_sel:[0,1]
.LBB10_24:                              ; =>This Inner Loop Header: Depth=1
	v_cvt_f64_u32_e32 v[16:17], s17
	v_cvt_f64_u32_e32 v[18:19], s16
	v_ldexp_f64 v[16:17], v[16:17], 32
	s_add_u32 s16, s16, 1
	v_add_f64 v[16:17], v[16:17], v[18:19]
	s_addc_u32 s17, s17, 0
	v_mul_f64 v[16:17], v[12:13], v[16:17]
	s_cmp_lg_u64 s[8:9], s[16:17]
	v_pk_mov_b32 v[12:13], v[10:11], v[10:11] op_sel:[0,1]
	v_fma_f64 v[10:11], v[2:3], v[10:11], -v[16:17]
	s_cbranch_scc1 .LBB10_24
.LBB10_25:
	s_cbranch_execz .LBB10_27
	s_branch .LBB10_28
.LBB10_26:
                                        ; implicit-def: $vgpr10_vgpr11
.LBB10_27:
	v_pk_mov_b32 v[10:11], v[2:3], v[2:3] op_sel:[0,1]
.LBB10_28:
	s_and_b64 vcc, exec, s[2:3]
	v_pk_mov_b32 v[12:13], 0, 0
	s_cbranch_vccnz .LBB10_37
; %bb.29:
	v_mov_b32_e32 v12, 0
	s_and_b64 vcc, exec, s[14:15]
	v_mov_b32_e32 v13, 0x3ff00000
	s_cbranch_vccnz .LBB10_37
; %bb.30:
	s_cmp_lg_u64 s[8:9], 1
	s_cbranch_scc0 .LBB10_35
; %bb.31:
	v_mov_b32_e32 v12, 0
	s_andn2_b64 vcc, exec, s[0:1]
	v_mov_b32_e32 v13, 0x7ff80000
	s_cbranch_vccnz .LBB10_34
; %bb.32:
	v_mov_b32_e32 v2, 0
	s_mov_b64 s[0:1], 1
	v_mov_b32_e32 v3, 0x3ff00000
	v_pk_mov_b32 v[12:13], v[4:5], v[4:5] op_sel:[0,1]
.LBB10_33:                              ; =>This Inner Loop Header: Depth=1
	v_cvt_f64_u32_e32 v[16:17], s1
	v_cvt_f64_u32_e32 v[18:19], s0
	v_ldexp_f64 v[16:17], v[16:17], 32
	s_add_u32 s0, s0, 1
	v_add_f64 v[16:17], v[16:17], v[18:19]
	s_addc_u32 s1, s1, 0
	v_mul_f64 v[16:17], v[2:3], v[16:17]
	s_cmp_lg_u64 s[8:9], s[0:1]
	v_pk_mov_b32 v[2:3], v[12:13], v[12:13] op_sel:[0,1]
	v_fma_f64 v[12:13], v[4:5], v[12:13], -v[16:17]
	s_cbranch_scc1 .LBB10_33
.LBB10_34:
	s_cbranch_execz .LBB10_36
	s_branch .LBB10_37
.LBB10_35:
.LBB10_36:
	v_pk_mov_b32 v[12:13], v[4:5], v[4:5] op_sel:[0,1]
.LBB10_37:
	s_add_u32 s0, s10, s4
	s_addc_u32 s1, s11, s5
	global_store_dwordx4 v1, v[6:9], s[0:1]
	global_store_dwordx4 v1, v[10:13], s[0:1] offset:16
	s_mov_b64 s[0:1], 0
.LBB10_38:
	s_and_b64 vcc, exec, s[0:1]
	s_cbranch_vccz .LBB10_96
; %bb.39:
	v_pk_mov_b32 v[18:19], 0, 0
	v_cmp_gt_i32_e64 s[0:1], s18, v0
	v_or_b32_e32 v10, s6, v0
	v_pk_mov_b32 v[20:21], v[18:19], v[18:19] op_sel:[0,1]
	v_mov_b32_e32 v1, v0
	s_and_saveexec_b64 s[2:3], s[0:1]
	s_cbranch_execz .LBB10_41
; %bb.40:
	v_mov_b32_e32 v11, 0
	v_lshlrev_b64 v[2:3], 3, v[10:11]
	v_mov_b32_e32 v1, s13
	v_add_co_u32_e32 v2, vcc, s12, v2
	v_addc_co_u32_e32 v3, vcc, v1, v3, vcc
	global_load_dwordx2 v[20:21], v[2:3], off
	v_or_b32_e32 v1, 0x100, v0
.LBB10_41:
	s_or_b64 exec, exec, s[2:3]
	v_cmp_gt_i32_e32 vcc, s18, v1
	s_and_saveexec_b64 s[2:3], vcc
	s_cbranch_execz .LBB10_43
; %bb.42:
	v_add_u32_e32 v2, s6, v1
	v_mov_b32_e32 v3, 0
	v_lshlrev_b64 v[2:3], 3, v[2:3]
	v_mov_b32_e32 v4, s13
	v_add_co_u32_e32 v2, vcc, s12, v2
	v_addc_co_u32_e32 v3, vcc, v4, v3, vcc
	global_load_dwordx2 v[18:19], v[2:3], off
	v_add_u32_e32 v1, 0x100, v1
.LBB10_43:
	s_or_b64 exec, exec, s[2:3]
	v_pk_mov_b32 v[12:13], 0, 0
	v_cmp_gt_i32_e32 vcc, s18, v1
	v_pk_mov_b32 v[16:17], v[12:13], v[12:13] op_sel:[0,1]
	s_and_saveexec_b64 s[2:3], vcc
	s_cbranch_execz .LBB10_45
; %bb.44:
	v_add_u32_e32 v2, s6, v1
	v_mov_b32_e32 v3, 0
	v_lshlrev_b64 v[2:3], 3, v[2:3]
	v_mov_b32_e32 v4, s13
	v_add_co_u32_e32 v2, vcc, s12, v2
	v_addc_co_u32_e32 v3, vcc, v4, v3, vcc
	global_load_dwordx2 v[16:17], v[2:3], off
	v_add_u32_e32 v1, 0x100, v1
.LBB10_45:
	s_or_b64 exec, exec, s[2:3]
	v_cmp_gt_i32_e32 vcc, s18, v1
	s_and_saveexec_b64 s[2:3], vcc
	s_cbranch_execz .LBB10_47
; %bb.46:
	v_add_u32_e32 v2, s6, v1
	v_mov_b32_e32 v3, 0
	v_lshlrev_b64 v[2:3], 3, v[2:3]
	v_mov_b32_e32 v1, s13
	v_add_co_u32_e32 v2, vcc, s12, v2
	v_addc_co_u32_e32 v3, vcc, v1, v3, vcc
	global_load_dwordx2 v[12:13], v[2:3], off
.LBB10_47:
	s_or_b64 exec, exec, s[2:3]
	s_movk_i32 s2, 0xffe0
	v_ldexp_f64 v[2:3], v[14:15], s2
	v_floor_f64_e32 v[2:3], v[2:3]
	v_fmac_f64_e32 v[14:15], 0xc1f00000, v[2:3]
	v_cvt_i32_f64_e32 v1, v[2:3]
	v_cvt_u32_f64_e32 v2, v[14:15]
	v_readfirstlane_b32 s8, v2
	v_readfirstlane_b32 s9, v1
	v_mov_b32_e32 v2, 0x201
	v_cmp_gt_i64_e64 s[4:5], s[8:9], -1
	v_mov_b32_e32 v3, 0
	v_cndmask_b32_e64 v1, 0, 1, s[4:5]
	v_cmp_lt_u64_e64 s[2:3], s[8:9], v[2:3]
	v_cmp_ne_u32_e64 s[4:5], 1, v1
                                        ; implicit-def: $vgpr2_vgpr3_vgpr4_vgpr5_vgpr6_vgpr7_vgpr8_vgpr9
	s_and_saveexec_b64 s[12:13], s[0:1]
	s_cbranch_execz .LBB10_58
; %bb.48:
	s_and_b64 vcc, exec, s[4:5]
	v_pk_mov_b32 v[2:3], 0, 0
	s_cbranch_vccnz .LBB10_58
; %bb.49:
	v_cmp_lt_i64_e64 s[14:15], s[8:9], 1
	v_mov_b32_e32 v2, 0
	s_and_b64 vcc, exec, s[14:15]
	v_mov_b32_e32 v3, 0x3ff00000
	s_cbranch_vccnz .LBB10_58
; %bb.50:
	s_cmp_lg_u64 s[8:9], 1
	s_cbranch_scc0 .LBB10_55
; %bb.51:
	v_mov_b32_e32 v2, 0
	s_andn2_b64 vcc, exec, s[2:3]
	v_mov_b32_e32 v3, 0x7ff80000
	s_cbranch_vccnz .LBB10_54
; %bb.52:
	v_mov_b32_e32 v4, 0
	s_mov_b64 s[14:15], 1
	v_mov_b32_e32 v5, 0x3ff00000
	s_waitcnt vmcnt(0)
	v_pk_mov_b32 v[2:3], v[20:21], v[20:21] op_sel:[0,1]
.LBB10_53:                              ; =>This Inner Loop Header: Depth=1
	v_cvt_f64_u32_e32 v[6:7], s15
	v_cvt_f64_u32_e32 v[8:9], s14
	v_ldexp_f64 v[6:7], v[6:7], 32
	s_add_u32 s14, s14, 1
	v_add_f64 v[6:7], v[6:7], v[8:9]
	s_addc_u32 s15, s15, 0
	v_mul_f64 v[6:7], v[4:5], v[6:7]
	s_cmp_lg_u64 s[8:9], s[14:15]
	v_pk_mov_b32 v[4:5], v[2:3], v[2:3] op_sel:[0,1]
	v_fma_f64 v[2:3], v[20:21], v[2:3], -v[6:7]
	s_cbranch_scc1 .LBB10_53
.LBB10_54:
	s_mov_b64 s[14:15], 0
	s_branch .LBB10_56
.LBB10_55:
	s_mov_b64 s[14:15], -1
                                        ; implicit-def: $vgpr2_vgpr3
.LBB10_56:
	s_andn2_b64 vcc, exec, s[14:15]
	s_cbranch_vccnz .LBB10_58
; %bb.57:
	s_waitcnt vmcnt(0)
	v_pk_mov_b32 v[2:3], v[20:21], v[20:21] op_sel:[0,1]
.LBB10_58:
	s_or_b64 exec, exec, s[12:13]
	v_or_b32_e32 v1, 0x100, v0
	v_cmp_gt_i32_e32 vcc, s18, v1
	s_and_saveexec_b64 s[12:13], vcc
	s_cbranch_execz .LBB10_69
; %bb.59:
	s_and_b64 vcc, exec, s[4:5]
	v_pk_mov_b32 v[4:5], 0, 0
	s_cbranch_vccnz .LBB10_69
; %bb.60:
	v_cmp_lt_i64_e64 s[14:15], s[8:9], 1
	v_mov_b32_e32 v4, 0
	s_and_b64 vcc, exec, s[14:15]
	v_mov_b32_e32 v5, 0x3ff00000
	s_cbranch_vccnz .LBB10_69
; %bb.61:
	s_cmp_lg_u64 s[8:9], 1
	s_cbranch_scc0 .LBB10_66
; %bb.62:
	v_mov_b32_e32 v4, 0
	s_andn2_b64 vcc, exec, s[2:3]
	v_mov_b32_e32 v5, 0x7ff80000
	s_cbranch_vccnz .LBB10_65
; %bb.63:
	v_mov_b32_e32 v14, 0
	s_mov_b64 s[14:15], 1
	v_mov_b32_e32 v15, 0x3ff00000
	s_waitcnt vmcnt(0)
	v_pk_mov_b32 v[4:5], v[18:19], v[18:19] op_sel:[0,1]
.LBB10_64:                              ; =>This Inner Loop Header: Depth=1
	v_cvt_f64_u32_e32 v[20:21], s15
	v_cvt_f64_u32_e32 v[22:23], s14
	v_ldexp_f64 v[20:21], v[20:21], 32
	s_add_u32 s14, s14, 1
	v_add_f64 v[20:21], v[20:21], v[22:23]
	s_addc_u32 s15, s15, 0
	v_mul_f64 v[20:21], v[14:15], v[20:21]
	s_cmp_lg_u64 s[8:9], s[14:15]
	v_pk_mov_b32 v[14:15], v[4:5], v[4:5] op_sel:[0,1]
	v_fma_f64 v[4:5], v[18:19], v[4:5], -v[20:21]
	s_cbranch_scc1 .LBB10_64
.LBB10_65:
	s_mov_b64 s[14:15], 0
	s_branch .LBB10_67
.LBB10_66:
	s_mov_b64 s[14:15], -1
.LBB10_67:
	s_andn2_b64 vcc, exec, s[14:15]
	s_cbranch_vccnz .LBB10_69
; %bb.68:
	s_waitcnt vmcnt(0)
	v_pk_mov_b32 v[4:5], v[18:19], v[18:19] op_sel:[0,1]
.LBB10_69:
	s_or_b64 exec, exec, s[12:13]
	v_or_b32_e32 v11, 0x200, v0
	v_cmp_gt_i32_e32 vcc, s18, v11
	s_and_saveexec_b64 s[12:13], vcc
	s_cbranch_execz .LBB10_80
; %bb.70:
	s_and_b64 vcc, exec, s[4:5]
	v_pk_mov_b32 v[6:7], 0, 0
	s_cbranch_vccnz .LBB10_80
; %bb.71:
	v_cmp_lt_i64_e64 s[14:15], s[8:9], 1
	v_mov_b32_e32 v6, 0
	s_and_b64 vcc, exec, s[14:15]
	v_mov_b32_e32 v7, 0x3ff00000
	s_cbranch_vccnz .LBB10_80
; %bb.72:
	s_cmp_lg_u64 s[8:9], 1
	s_cbranch_scc0 .LBB10_77
; %bb.73:
	v_mov_b32_e32 v6, 0
	s_andn2_b64 vcc, exec, s[2:3]
	v_mov_b32_e32 v7, 0x7ff80000
	s_cbranch_vccnz .LBB10_76
; %bb.74:
	v_mov_b32_e32 v14, 0
	s_mov_b64 s[14:15], 1
	v_mov_b32_e32 v15, 0x3ff00000
	s_waitcnt vmcnt(0)
	v_pk_mov_b32 v[6:7], v[16:17], v[16:17] op_sel:[0,1]
.LBB10_75:                              ; =>This Inner Loop Header: Depth=1
	v_cvt_f64_u32_e32 v[18:19], s15
	v_cvt_f64_u32_e32 v[20:21], s14
	v_ldexp_f64 v[18:19], v[18:19], 32
	s_add_u32 s14, s14, 1
	v_add_f64 v[18:19], v[18:19], v[20:21]
	s_addc_u32 s15, s15, 0
	v_mul_f64 v[18:19], v[14:15], v[18:19]
	s_cmp_lg_u64 s[8:9], s[14:15]
	v_pk_mov_b32 v[14:15], v[6:7], v[6:7] op_sel:[0,1]
	v_fma_f64 v[6:7], v[16:17], v[6:7], -v[18:19]
	s_cbranch_scc1 .LBB10_75
.LBB10_76:
	s_mov_b64 s[14:15], 0
	s_branch .LBB10_78
.LBB10_77:
	s_mov_b64 s[14:15], -1
.LBB10_78:
	s_andn2_b64 vcc, exec, s[14:15]
	s_cbranch_vccnz .LBB10_80
; %bb.79:
	s_waitcnt vmcnt(0)
	v_pk_mov_b32 v[6:7], v[16:17], v[16:17] op_sel:[0,1]
.LBB10_80:
	;; [unrolled: 53-line block ×3, first 2 shown]
	s_or_b64 exec, exec, s[12:13]
	s_and_saveexec_b64 s[2:3], s[0:1]
	s_xor_b64 s[0:1], exec, s[2:3]
	s_cbranch_execnz .LBB10_97
; %bb.92:
	s_or_b64 exec, exec, s[0:1]
	v_cmp_gt_i32_e32 vcc, s18, v0
	s_and_saveexec_b64 s[0:1], vcc
	s_cbranch_execnz .LBB10_98
.LBB10_93:
	s_or_b64 exec, exec, s[0:1]
	v_cmp_gt_i32_e32 vcc, s18, v0
	s_and_saveexec_b64 s[0:1], vcc
	s_cbranch_execnz .LBB10_99
.LBB10_94:
	s_or_b64 exec, exec, s[0:1]
	v_cmp_gt_i32_e32 vcc, s18, v0
	s_and_saveexec_b64 s[0:1], vcc
	s_cbranch_execz .LBB10_96
.LBB10_95:
	v_add_u32_e32 v0, s6, v0
	v_mov_b32_e32 v1, 0
	v_lshlrev_b64 v[0:1], 3, v[0:1]
	v_mov_b32_e32 v2, s11
	v_add_co_u32_e32 v0, vcc, s10, v0
	v_addc_co_u32_e32 v1, vcc, v2, v1, vcc
	global_store_dwordx2 v[0:1], v[8:9], off
.LBB10_96:
	s_endpgm
.LBB10_97:
	v_mov_b32_e32 v11, 0
	v_lshlrev_b64 v[10:11], 3, v[10:11]
	v_mov_b32_e32 v0, s11
	v_add_co_u32_e32 v10, vcc, s10, v10
	v_addc_co_u32_e32 v11, vcc, v0, v11, vcc
	v_mov_b32_e32 v0, v1
	global_store_dwordx2 v[10:11], v[2:3], off
	s_or_b64 exec, exec, s[0:1]
	v_cmp_gt_i32_e32 vcc, s18, v0
	s_and_saveexec_b64 s[0:1], vcc
	s_cbranch_execz .LBB10_93
.LBB10_98:
	v_add_u32_e32 v2, s6, v0
	v_mov_b32_e32 v3, 0
	v_lshlrev_b64 v[2:3], 3, v[2:3]
	v_mov_b32_e32 v1, s11
	v_add_co_u32_e32 v2, vcc, s10, v2
	v_addc_co_u32_e32 v3, vcc, v1, v3, vcc
	v_add_u32_e32 v0, 0x100, v0
	global_store_dwordx2 v[2:3], v[4:5], off
	s_or_b64 exec, exec, s[0:1]
	v_cmp_gt_i32_e32 vcc, s18, v0
	s_and_saveexec_b64 s[0:1], vcc
	s_cbranch_execz .LBB10_94
.LBB10_99:
	v_add_u32_e32 v2, s6, v0
	v_mov_b32_e32 v3, 0
	v_lshlrev_b64 v[2:3], 3, v[2:3]
	v_mov_b32_e32 v1, s11
	v_add_co_u32_e32 v2, vcc, s10, v2
	v_addc_co_u32_e32 v3, vcc, v1, v3, vcc
	v_add_u32_e32 v0, 0x100, v0
	global_store_dwordx2 v[2:3], v[6:7], off
	s_or_b64 exec, exec, s[0:1]
	v_cmp_gt_i32_e32 vcc, s18, v0
	s_and_saveexec_b64 s[0:1], vcc
	s_cbranch_execnz .LBB10_95
	s_branch .LBB10_96
	.section	.rodata,"a",@progbits
	.p2align	6, 0x0
	.amdhsa_kernel _ZN2at6native29vectorized_elementwise_kernelILi4ENS0_13BUnaryFunctorIdddZZZNS0_12_GLOBAL__N_133hermite_polynomial_he_kernel_cudaERNS_18TensorIteratorBaseEENKUlvE_clEvENKUlvE_clEvEUlddE_EESt5arrayIPcLm2EEEEviT0_T1_
		.amdhsa_group_segment_fixed_size 0
		.amdhsa_private_segment_fixed_size 0
		.amdhsa_kernarg_size 40
		.amdhsa_user_sgpr_count 6
		.amdhsa_user_sgpr_private_segment_buffer 1
		.amdhsa_user_sgpr_dispatch_ptr 0
		.amdhsa_user_sgpr_queue_ptr 0
		.amdhsa_user_sgpr_kernarg_segment_ptr 1
		.amdhsa_user_sgpr_dispatch_id 0
		.amdhsa_user_sgpr_flat_scratch_init 0
		.amdhsa_user_sgpr_kernarg_preload_length 0
		.amdhsa_user_sgpr_kernarg_preload_offset 0
		.amdhsa_user_sgpr_private_segment_size 0
		.amdhsa_uses_dynamic_stack 0
		.amdhsa_system_sgpr_private_segment_wavefront_offset 0
		.amdhsa_system_sgpr_workgroup_id_x 1
		.amdhsa_system_sgpr_workgroup_id_y 0
		.amdhsa_system_sgpr_workgroup_id_z 0
		.amdhsa_system_sgpr_workgroup_info 0
		.amdhsa_system_vgpr_workitem_id 0
		.amdhsa_next_free_vgpr 24
		.amdhsa_next_free_sgpr 19
		.amdhsa_accum_offset 24
		.amdhsa_reserve_vcc 1
		.amdhsa_reserve_flat_scratch 0
		.amdhsa_float_round_mode_32 0
		.amdhsa_float_round_mode_16_64 0
		.amdhsa_float_denorm_mode_32 3
		.amdhsa_float_denorm_mode_16_64 3
		.amdhsa_dx10_clamp 1
		.amdhsa_ieee_mode 1
		.amdhsa_fp16_overflow 0
		.amdhsa_tg_split 0
		.amdhsa_exception_fp_ieee_invalid_op 0
		.amdhsa_exception_fp_denorm_src 0
		.amdhsa_exception_fp_ieee_div_zero 0
		.amdhsa_exception_fp_ieee_overflow 0
		.amdhsa_exception_fp_ieee_underflow 0
		.amdhsa_exception_fp_ieee_inexact 0
		.amdhsa_exception_int_div_zero 0
	.end_amdhsa_kernel
	.section	.text._ZN2at6native29vectorized_elementwise_kernelILi4ENS0_13BUnaryFunctorIdddZZZNS0_12_GLOBAL__N_133hermite_polynomial_he_kernel_cudaERNS_18TensorIteratorBaseEENKUlvE_clEvENKUlvE_clEvEUlddE_EESt5arrayIPcLm2EEEEviT0_T1_,"axG",@progbits,_ZN2at6native29vectorized_elementwise_kernelILi4ENS0_13BUnaryFunctorIdddZZZNS0_12_GLOBAL__N_133hermite_polynomial_he_kernel_cudaERNS_18TensorIteratorBaseEENKUlvE_clEvENKUlvE_clEvEUlddE_EESt5arrayIPcLm2EEEEviT0_T1_,comdat
.Lfunc_end10:
	.size	_ZN2at6native29vectorized_elementwise_kernelILi4ENS0_13BUnaryFunctorIdddZZZNS0_12_GLOBAL__N_133hermite_polynomial_he_kernel_cudaERNS_18TensorIteratorBaseEENKUlvE_clEvENKUlvE_clEvEUlddE_EESt5arrayIPcLm2EEEEviT0_T1_, .Lfunc_end10-_ZN2at6native29vectorized_elementwise_kernelILi4ENS0_13BUnaryFunctorIdddZZZNS0_12_GLOBAL__N_133hermite_polynomial_he_kernel_cudaERNS_18TensorIteratorBaseEENKUlvE_clEvENKUlvE_clEvEUlddE_EESt5arrayIPcLm2EEEEviT0_T1_
                                        ; -- End function
	.section	.AMDGPU.csdata,"",@progbits
; Kernel info:
; codeLenInByte = 2416
; NumSgprs: 23
; NumVgprs: 24
; NumAgprs: 0
; TotalNumVgprs: 24
; ScratchSize: 0
; MemoryBound: 0
; FloatMode: 240
; IeeeMode: 1
; LDSByteSize: 0 bytes/workgroup (compile time only)
; SGPRBlocks: 2
; VGPRBlocks: 2
; NumSGPRsForWavesPerEU: 23
; NumVGPRsForWavesPerEU: 24
; AccumOffset: 24
; Occupancy: 8
; WaveLimiterHint : 0
; COMPUTE_PGM_RSRC2:SCRATCH_EN: 0
; COMPUTE_PGM_RSRC2:USER_SGPR: 6
; COMPUTE_PGM_RSRC2:TRAP_HANDLER: 0
; COMPUTE_PGM_RSRC2:TGID_X_EN: 1
; COMPUTE_PGM_RSRC2:TGID_Y_EN: 0
; COMPUTE_PGM_RSRC2:TGID_Z_EN: 0
; COMPUTE_PGM_RSRC2:TIDIG_COMP_CNT: 0
; COMPUTE_PGM_RSRC3_GFX90A:ACCUM_OFFSET: 5
; COMPUTE_PGM_RSRC3_GFX90A:TG_SPLIT: 0
	.section	.text._ZN2at6native29vectorized_elementwise_kernelILi2ENS0_13BUnaryFunctorIdddZZZNS0_12_GLOBAL__N_133hermite_polynomial_he_kernel_cudaERNS_18TensorIteratorBaseEENKUlvE_clEvENKUlvE_clEvEUlddE_EESt5arrayIPcLm2EEEEviT0_T1_,"axG",@progbits,_ZN2at6native29vectorized_elementwise_kernelILi2ENS0_13BUnaryFunctorIdddZZZNS0_12_GLOBAL__N_133hermite_polynomial_he_kernel_cudaERNS_18TensorIteratorBaseEENKUlvE_clEvENKUlvE_clEvEUlddE_EESt5arrayIPcLm2EEEEviT0_T1_,comdat
	.globl	_ZN2at6native29vectorized_elementwise_kernelILi2ENS0_13BUnaryFunctorIdddZZZNS0_12_GLOBAL__N_133hermite_polynomial_he_kernel_cudaERNS_18TensorIteratorBaseEENKUlvE_clEvENKUlvE_clEvEUlddE_EESt5arrayIPcLm2EEEEviT0_T1_ ; -- Begin function _ZN2at6native29vectorized_elementwise_kernelILi2ENS0_13BUnaryFunctorIdddZZZNS0_12_GLOBAL__N_133hermite_polynomial_he_kernel_cudaERNS_18TensorIteratorBaseEENKUlvE_clEvENKUlvE_clEvEUlddE_EESt5arrayIPcLm2EEEEviT0_T1_
	.p2align	8
	.type	_ZN2at6native29vectorized_elementwise_kernelILi2ENS0_13BUnaryFunctorIdddZZZNS0_12_GLOBAL__N_133hermite_polynomial_he_kernel_cudaERNS_18TensorIteratorBaseEENKUlvE_clEvENKUlvE_clEvEUlddE_EESt5arrayIPcLm2EEEEviT0_T1_,@function
_ZN2at6native29vectorized_elementwise_kernelILi2ENS0_13BUnaryFunctorIdddZZZNS0_12_GLOBAL__N_133hermite_polynomial_he_kernel_cudaERNS_18TensorIteratorBaseEENKUlvE_clEvENKUlvE_clEvEUlddE_EESt5arrayIPcLm2EEEEviT0_T1_: ; @_ZN2at6native29vectorized_elementwise_kernelILi2ENS0_13BUnaryFunctorIdddZZZNS0_12_GLOBAL__N_133hermite_polynomial_he_kernel_cudaERNS_18TensorIteratorBaseEENKUlvE_clEvENKUlvE_clEvEUlddE_EESt5arrayIPcLm2EEEEviT0_T1_
; %bb.0:
	s_load_dword s0, s[4:5], 0x0
	s_load_dwordx4 s[8:11], s[4:5], 0x10
	s_load_dwordx2 s[12:13], s[4:5], 0x20
	s_lshl_b32 s6, s6, 10
	s_waitcnt lgkmcnt(0)
	s_sub_i32 s18, s0, s6
	s_mov_b64 s[0:1], -1
	s_cmpk_gt_i32 s18, 0x3ff
	v_trunc_f64_e32 v[14:15], s[8:9]
	s_cbranch_scc0 .LBB11_38
; %bb.1:
	s_ashr_i32 s7, s6, 31
	s_lshl_b64 s[4:5], s[6:7], 3
	s_add_u32 s0, s12, s4
	s_addc_u32 s1, s13, s5
	v_lshlrev_b32_e32 v1, 4, v0
	v_mov_b32_e32 v2, s1
	v_add_co_u32_e32 v3, vcc, s0, v1
	v_addc_co_u32_e32 v2, vcc, 0, v2, vcc
	v_add_co_u32_e32 v6, vcc, 0x1000, v3
	v_addc_co_u32_e32 v7, vcc, 0, v2, vcc
	global_load_dwordx4 v[8:11], v1, s[0:1]
	global_load_dwordx4 v[2:5], v[6:7], off
	s_movk_i32 s0, 0xffe0
	v_ldexp_f64 v[6:7], v[14:15], s0
	v_floor_f64_e32 v[6:7], v[6:7]
	v_pk_mov_b32 v[12:13], v[14:15], v[14:15] op_sel:[0,1]
	v_fmac_f64_e32 v[12:13], 0xc1f00000, v[6:7]
	v_cvt_i32_f64_e32 v16, v[6:7]
	v_cvt_u32_f64_e32 v6, v[12:13]
	v_readfirstlane_b32 s8, v6
	v_readfirstlane_b32 s9, v16
	v_mov_b32_e32 v6, 0x201
	v_cmp_lt_i64_e64 s[2:3], s[8:9], 0
	v_mov_b32_e32 v7, 0
	v_cmp_gt_i64_e64 s[16:17], s[8:9], -1
	v_cmp_lt_u64_e64 s[0:1], s[8:9], v[6:7]
	s_and_b64 vcc, exec, s[2:3]
	v_pk_mov_b32 v[6:7], 0, 0
	v_cmp_lt_i64_e64 s[14:15], s[8:9], 1
	s_cbranch_vccnz .LBB11_10
; %bb.2:
	v_mov_b32_e32 v6, 0
	s_and_b64 vcc, exec, s[14:15]
	v_mov_b32_e32 v7, 0x3ff00000
	s_cbranch_vccnz .LBB11_10
; %bb.3:
	s_cmp_lg_u64 s[8:9], 1
	s_cbranch_scc0 .LBB11_8
; %bb.4:
	v_mov_b32_e32 v6, 0
	s_andn2_b64 vcc, exec, s[0:1]
	v_mov_b32_e32 v7, 0x7ff80000
	s_cbranch_vccnz .LBB11_7
; %bb.5:
	v_mov_b32_e32 v12, 0
	s_mov_b64 s[2:3], 1
	v_mov_b32_e32 v13, 0x3ff00000
	s_waitcnt vmcnt(1)
	v_pk_mov_b32 v[6:7], v[8:9], v[8:9] op_sel:[0,1]
.LBB11_6:                               ; =>This Inner Loop Header: Depth=1
	v_cvt_f64_u32_e32 v[16:17], s3
	v_cvt_f64_u32_e32 v[18:19], s2
	v_ldexp_f64 v[16:17], v[16:17], 32
	s_add_u32 s2, s2, 1
	v_add_f64 v[16:17], v[16:17], v[18:19]
	s_addc_u32 s3, s3, 0
	v_mul_f64 v[16:17], v[12:13], v[16:17]
	s_cmp_lg_u64 s[8:9], s[2:3]
	v_pk_mov_b32 v[12:13], v[6:7], v[6:7] op_sel:[0,1]
	v_fma_f64 v[6:7], v[8:9], v[6:7], -v[16:17]
	s_cbranch_scc1 .LBB11_6
.LBB11_7:
	s_cbranch_execz .LBB11_9
	s_branch .LBB11_10
.LBB11_8:
                                        ; implicit-def: $vgpr6_vgpr7
.LBB11_9:
	s_waitcnt vmcnt(1)
	v_pk_mov_b32 v[6:7], v[8:9], v[8:9] op_sel:[0,1]
.LBB11_10:
	s_waitcnt vmcnt(1)
	v_cndmask_b32_e64 v8, 0, 1, s[16:17]
	v_cmp_ne_u32_e64 s[2:3], 1, v8
	s_andn2_b64 vcc, exec, s[16:17]
	v_pk_mov_b32 v[8:9], 0, 0
	s_cbranch_vccnz .LBB11_19
; %bb.11:
	v_mov_b32_e32 v8, 0
	s_and_b64 vcc, exec, s[14:15]
	v_mov_b32_e32 v9, 0x3ff00000
	s_cbranch_vccnz .LBB11_19
; %bb.12:
	s_cmp_lg_u64 s[8:9], 1
	s_cbranch_scc0 .LBB11_17
; %bb.13:
	v_mov_b32_e32 v8, 0
	s_andn2_b64 vcc, exec, s[0:1]
	v_mov_b32_e32 v9, 0x7ff80000
	s_cbranch_vccnz .LBB11_16
; %bb.14:
	v_mov_b32_e32 v12, 0
	s_mov_b64 s[16:17], 1
	v_mov_b32_e32 v13, 0x3ff00000
	v_pk_mov_b32 v[8:9], v[10:11], v[10:11] op_sel:[0,1]
.LBB11_15:                              ; =>This Inner Loop Header: Depth=1
	v_cvt_f64_u32_e32 v[16:17], s17
	v_cvt_f64_u32_e32 v[18:19], s16
	v_ldexp_f64 v[16:17], v[16:17], 32
	s_add_u32 s16, s16, 1
	v_add_f64 v[16:17], v[16:17], v[18:19]
	s_addc_u32 s17, s17, 0
	v_mul_f64 v[16:17], v[12:13], v[16:17]
	s_cmp_lg_u64 s[8:9], s[16:17]
	v_pk_mov_b32 v[12:13], v[8:9], v[8:9] op_sel:[0,1]
	v_fma_f64 v[8:9], v[10:11], v[8:9], -v[16:17]
	s_cbranch_scc1 .LBB11_15
.LBB11_16:
	s_cbranch_execz .LBB11_18
	s_branch .LBB11_19
.LBB11_17:
.LBB11_18:
	v_pk_mov_b32 v[8:9], v[10:11], v[10:11] op_sel:[0,1]
.LBB11_19:
	s_and_b64 vcc, exec, s[2:3]
	v_pk_mov_b32 v[10:11], 0, 0
	s_cbranch_vccnz .LBB11_28
; %bb.20:
	v_mov_b32_e32 v10, 0
	s_and_b64 vcc, exec, s[14:15]
	v_mov_b32_e32 v11, 0x3ff00000
	s_cbranch_vccnz .LBB11_28
; %bb.21:
	s_cmp_lg_u64 s[8:9], 1
	s_cbranch_scc0 .LBB11_26
; %bb.22:
	v_mov_b32_e32 v10, 0
	s_andn2_b64 vcc, exec, s[0:1]
	v_mov_b32_e32 v11, 0x7ff80000
	s_cbranch_vccnz .LBB11_25
; %bb.23:
	v_mov_b32_e32 v12, 0
	s_mov_b64 s[16:17], 1
	v_mov_b32_e32 v13, 0x3ff00000
	s_waitcnt vmcnt(0)
	v_pk_mov_b32 v[10:11], v[2:3], v[2:3] op_sel:[0,1]
.LBB11_24:                              ; =>This Inner Loop Header: Depth=1
	v_cvt_f64_u32_e32 v[16:17], s17
	v_cvt_f64_u32_e32 v[18:19], s16
	v_ldexp_f64 v[16:17], v[16:17], 32
	s_add_u32 s16, s16, 1
	v_add_f64 v[16:17], v[16:17], v[18:19]
	s_addc_u32 s17, s17, 0
	v_mul_f64 v[16:17], v[12:13], v[16:17]
	s_cmp_lg_u64 s[8:9], s[16:17]
	v_pk_mov_b32 v[12:13], v[10:11], v[10:11] op_sel:[0,1]
	v_fma_f64 v[10:11], v[2:3], v[10:11], -v[16:17]
	s_cbranch_scc1 .LBB11_24
.LBB11_25:
	s_cbranch_execz .LBB11_27
	s_branch .LBB11_28
.LBB11_26:
                                        ; implicit-def: $vgpr10_vgpr11
.LBB11_27:
	s_waitcnt vmcnt(0)
	v_pk_mov_b32 v[10:11], v[2:3], v[2:3] op_sel:[0,1]
.LBB11_28:
	s_and_b64 vcc, exec, s[2:3]
	v_pk_mov_b32 v[12:13], 0, 0
	s_cbranch_vccnz .LBB11_37
; %bb.29:
	v_mov_b32_e32 v12, 0
	s_and_b64 vcc, exec, s[14:15]
	v_mov_b32_e32 v13, 0x3ff00000
	s_cbranch_vccnz .LBB11_37
; %bb.30:
	s_cmp_lg_u64 s[8:9], 1
	s_cbranch_scc0 .LBB11_35
; %bb.31:
	v_mov_b32_e32 v12, 0
	s_andn2_b64 vcc, exec, s[0:1]
	v_mov_b32_e32 v13, 0x7ff80000
	s_cbranch_vccnz .LBB11_34
; %bb.32:
	s_waitcnt vmcnt(0)
	v_mov_b32_e32 v2, 0
	s_mov_b64 s[0:1], 1
	v_mov_b32_e32 v3, 0x3ff00000
	v_pk_mov_b32 v[12:13], v[4:5], v[4:5] op_sel:[0,1]
.LBB11_33:                              ; =>This Inner Loop Header: Depth=1
	v_cvt_f64_u32_e32 v[16:17], s1
	v_cvt_f64_u32_e32 v[18:19], s0
	v_ldexp_f64 v[16:17], v[16:17], 32
	s_add_u32 s0, s0, 1
	v_add_f64 v[16:17], v[16:17], v[18:19]
	s_addc_u32 s1, s1, 0
	v_mul_f64 v[16:17], v[2:3], v[16:17]
	s_cmp_lg_u64 s[8:9], s[0:1]
	v_pk_mov_b32 v[2:3], v[12:13], v[12:13] op_sel:[0,1]
	v_fma_f64 v[12:13], v[4:5], v[12:13], -v[16:17]
	s_cbranch_scc1 .LBB11_33
.LBB11_34:
	s_cbranch_execz .LBB11_36
	s_branch .LBB11_37
.LBB11_35:
.LBB11_36:
	s_waitcnt vmcnt(0)
	v_pk_mov_b32 v[12:13], v[4:5], v[4:5] op_sel:[0,1]
.LBB11_37:
	s_add_u32 s0, s10, s4
	s_addc_u32 s1, s11, s5
	s_waitcnt vmcnt(0)
	v_mov_b32_e32 v2, s1
	v_add_co_u32_e32 v3, vcc, s0, v1
	v_addc_co_u32_e32 v4, vcc, 0, v2, vcc
	v_add_co_u32_e32 v2, vcc, 0x1000, v3
	global_store_dwordx4 v1, v[6:9], s[0:1]
	v_addc_co_u32_e32 v3, vcc, 0, v4, vcc
	s_mov_b64 s[0:1], 0
	global_store_dwordx4 v[2:3], v[10:13], off
.LBB11_38:
	s_and_b64 vcc, exec, s[0:1]
	s_cbranch_vccz .LBB11_96
; %bb.39:
	v_pk_mov_b32 v[18:19], 0, 0
	v_cmp_gt_i32_e64 s[0:1], s18, v0
	v_or_b32_e32 v10, s6, v0
	v_pk_mov_b32 v[20:21], v[18:19], v[18:19] op_sel:[0,1]
	v_mov_b32_e32 v1, v0
	s_and_saveexec_b64 s[2:3], s[0:1]
	s_cbranch_execz .LBB11_41
; %bb.40:
	v_mov_b32_e32 v11, 0
	v_lshlrev_b64 v[2:3], 3, v[10:11]
	v_mov_b32_e32 v1, s13
	v_add_co_u32_e32 v2, vcc, s12, v2
	v_addc_co_u32_e32 v3, vcc, v1, v3, vcc
	global_load_dwordx2 v[20:21], v[2:3], off
	v_or_b32_e32 v1, 0x100, v0
.LBB11_41:
	s_or_b64 exec, exec, s[2:3]
	v_cmp_gt_i32_e32 vcc, s18, v1
	s_and_saveexec_b64 s[2:3], vcc
	s_cbranch_execz .LBB11_43
; %bb.42:
	v_add_u32_e32 v2, s6, v1
	v_mov_b32_e32 v3, 0
	v_lshlrev_b64 v[2:3], 3, v[2:3]
	v_mov_b32_e32 v4, s13
	v_add_co_u32_e32 v2, vcc, s12, v2
	v_addc_co_u32_e32 v3, vcc, v4, v3, vcc
	global_load_dwordx2 v[18:19], v[2:3], off
	v_add_u32_e32 v1, 0x100, v1
.LBB11_43:
	s_or_b64 exec, exec, s[2:3]
	v_pk_mov_b32 v[12:13], 0, 0
	v_cmp_gt_i32_e32 vcc, s18, v1
	v_pk_mov_b32 v[16:17], v[12:13], v[12:13] op_sel:[0,1]
	s_and_saveexec_b64 s[2:3], vcc
	s_cbranch_execz .LBB11_45
; %bb.44:
	v_add_u32_e32 v2, s6, v1
	v_mov_b32_e32 v3, 0
	v_lshlrev_b64 v[2:3], 3, v[2:3]
	v_mov_b32_e32 v4, s13
	v_add_co_u32_e32 v2, vcc, s12, v2
	v_addc_co_u32_e32 v3, vcc, v4, v3, vcc
	global_load_dwordx2 v[16:17], v[2:3], off
	v_add_u32_e32 v1, 0x100, v1
.LBB11_45:
	s_or_b64 exec, exec, s[2:3]
	v_cmp_gt_i32_e32 vcc, s18, v1
	s_and_saveexec_b64 s[2:3], vcc
	s_cbranch_execz .LBB11_47
; %bb.46:
	v_add_u32_e32 v2, s6, v1
	v_mov_b32_e32 v3, 0
	v_lshlrev_b64 v[2:3], 3, v[2:3]
	v_mov_b32_e32 v1, s13
	v_add_co_u32_e32 v2, vcc, s12, v2
	v_addc_co_u32_e32 v3, vcc, v1, v3, vcc
	global_load_dwordx2 v[12:13], v[2:3], off
.LBB11_47:
	s_or_b64 exec, exec, s[2:3]
	s_movk_i32 s2, 0xffe0
	v_ldexp_f64 v[2:3], v[14:15], s2
	v_floor_f64_e32 v[2:3], v[2:3]
	v_fmac_f64_e32 v[14:15], 0xc1f00000, v[2:3]
	v_cvt_i32_f64_e32 v1, v[2:3]
	v_cvt_u32_f64_e32 v2, v[14:15]
	v_readfirstlane_b32 s8, v2
	v_readfirstlane_b32 s9, v1
	v_mov_b32_e32 v2, 0x201
	v_cmp_gt_i64_e64 s[4:5], s[8:9], -1
	v_mov_b32_e32 v3, 0
	v_cndmask_b32_e64 v1, 0, 1, s[4:5]
	v_cmp_lt_u64_e64 s[2:3], s[8:9], v[2:3]
	v_cmp_ne_u32_e64 s[4:5], 1, v1
                                        ; implicit-def: $vgpr2_vgpr3_vgpr4_vgpr5_vgpr6_vgpr7_vgpr8_vgpr9
	s_and_saveexec_b64 s[12:13], s[0:1]
	s_cbranch_execz .LBB11_58
; %bb.48:
	s_and_b64 vcc, exec, s[4:5]
	v_pk_mov_b32 v[2:3], 0, 0
	s_cbranch_vccnz .LBB11_58
; %bb.49:
	v_cmp_lt_i64_e64 s[14:15], s[8:9], 1
	v_mov_b32_e32 v2, 0
	s_and_b64 vcc, exec, s[14:15]
	v_mov_b32_e32 v3, 0x3ff00000
	s_cbranch_vccnz .LBB11_58
; %bb.50:
	s_cmp_lg_u64 s[8:9], 1
	s_cbranch_scc0 .LBB11_55
; %bb.51:
	v_mov_b32_e32 v2, 0
	s_andn2_b64 vcc, exec, s[2:3]
	v_mov_b32_e32 v3, 0x7ff80000
	s_cbranch_vccnz .LBB11_54
; %bb.52:
	v_mov_b32_e32 v4, 0
	s_mov_b64 s[14:15], 1
	v_mov_b32_e32 v5, 0x3ff00000
	s_waitcnt vmcnt(0)
	v_pk_mov_b32 v[2:3], v[20:21], v[20:21] op_sel:[0,1]
.LBB11_53:                              ; =>This Inner Loop Header: Depth=1
	v_cvt_f64_u32_e32 v[6:7], s15
	v_cvt_f64_u32_e32 v[8:9], s14
	v_ldexp_f64 v[6:7], v[6:7], 32
	s_add_u32 s14, s14, 1
	v_add_f64 v[6:7], v[6:7], v[8:9]
	s_addc_u32 s15, s15, 0
	v_mul_f64 v[6:7], v[4:5], v[6:7]
	s_cmp_lg_u64 s[8:9], s[14:15]
	v_pk_mov_b32 v[4:5], v[2:3], v[2:3] op_sel:[0,1]
	v_fma_f64 v[2:3], v[20:21], v[2:3], -v[6:7]
	s_cbranch_scc1 .LBB11_53
.LBB11_54:
	s_mov_b64 s[14:15], 0
	s_branch .LBB11_56
.LBB11_55:
	s_mov_b64 s[14:15], -1
                                        ; implicit-def: $vgpr2_vgpr3
.LBB11_56:
	s_andn2_b64 vcc, exec, s[14:15]
	s_cbranch_vccnz .LBB11_58
; %bb.57:
	s_waitcnt vmcnt(0)
	v_pk_mov_b32 v[2:3], v[20:21], v[20:21] op_sel:[0,1]
.LBB11_58:
	s_or_b64 exec, exec, s[12:13]
	v_or_b32_e32 v1, 0x100, v0
	v_cmp_gt_i32_e32 vcc, s18, v1
	s_and_saveexec_b64 s[12:13], vcc
	s_cbranch_execz .LBB11_69
; %bb.59:
	s_and_b64 vcc, exec, s[4:5]
	v_pk_mov_b32 v[4:5], 0, 0
	s_cbranch_vccnz .LBB11_69
; %bb.60:
	v_cmp_lt_i64_e64 s[14:15], s[8:9], 1
	v_mov_b32_e32 v4, 0
	s_and_b64 vcc, exec, s[14:15]
	v_mov_b32_e32 v5, 0x3ff00000
	s_cbranch_vccnz .LBB11_69
; %bb.61:
	s_cmp_lg_u64 s[8:9], 1
	s_cbranch_scc0 .LBB11_66
; %bb.62:
	v_mov_b32_e32 v4, 0
	s_andn2_b64 vcc, exec, s[2:3]
	v_mov_b32_e32 v5, 0x7ff80000
	s_cbranch_vccnz .LBB11_65
; %bb.63:
	v_mov_b32_e32 v14, 0
	s_mov_b64 s[14:15], 1
	v_mov_b32_e32 v15, 0x3ff00000
	s_waitcnt vmcnt(0)
	v_pk_mov_b32 v[4:5], v[18:19], v[18:19] op_sel:[0,1]
.LBB11_64:                              ; =>This Inner Loop Header: Depth=1
	v_cvt_f64_u32_e32 v[20:21], s15
	v_cvt_f64_u32_e32 v[22:23], s14
	v_ldexp_f64 v[20:21], v[20:21], 32
	s_add_u32 s14, s14, 1
	v_add_f64 v[20:21], v[20:21], v[22:23]
	s_addc_u32 s15, s15, 0
	v_mul_f64 v[20:21], v[14:15], v[20:21]
	s_cmp_lg_u64 s[8:9], s[14:15]
	v_pk_mov_b32 v[14:15], v[4:5], v[4:5] op_sel:[0,1]
	v_fma_f64 v[4:5], v[18:19], v[4:5], -v[20:21]
	s_cbranch_scc1 .LBB11_64
.LBB11_65:
	s_mov_b64 s[14:15], 0
	s_branch .LBB11_67
.LBB11_66:
	s_mov_b64 s[14:15], -1
.LBB11_67:
	s_andn2_b64 vcc, exec, s[14:15]
	s_cbranch_vccnz .LBB11_69
; %bb.68:
	s_waitcnt vmcnt(0)
	v_pk_mov_b32 v[4:5], v[18:19], v[18:19] op_sel:[0,1]
.LBB11_69:
	s_or_b64 exec, exec, s[12:13]
	v_or_b32_e32 v11, 0x200, v0
	v_cmp_gt_i32_e32 vcc, s18, v11
	s_and_saveexec_b64 s[12:13], vcc
	s_cbranch_execz .LBB11_80
; %bb.70:
	s_and_b64 vcc, exec, s[4:5]
	v_pk_mov_b32 v[6:7], 0, 0
	s_cbranch_vccnz .LBB11_80
; %bb.71:
	v_cmp_lt_i64_e64 s[14:15], s[8:9], 1
	v_mov_b32_e32 v6, 0
	s_and_b64 vcc, exec, s[14:15]
	v_mov_b32_e32 v7, 0x3ff00000
	s_cbranch_vccnz .LBB11_80
; %bb.72:
	s_cmp_lg_u64 s[8:9], 1
	s_cbranch_scc0 .LBB11_77
; %bb.73:
	v_mov_b32_e32 v6, 0
	s_andn2_b64 vcc, exec, s[2:3]
	v_mov_b32_e32 v7, 0x7ff80000
	s_cbranch_vccnz .LBB11_76
; %bb.74:
	v_mov_b32_e32 v14, 0
	s_mov_b64 s[14:15], 1
	v_mov_b32_e32 v15, 0x3ff00000
	s_waitcnt vmcnt(0)
	v_pk_mov_b32 v[6:7], v[16:17], v[16:17] op_sel:[0,1]
.LBB11_75:                              ; =>This Inner Loop Header: Depth=1
	v_cvt_f64_u32_e32 v[18:19], s15
	v_cvt_f64_u32_e32 v[20:21], s14
	v_ldexp_f64 v[18:19], v[18:19], 32
	s_add_u32 s14, s14, 1
	v_add_f64 v[18:19], v[18:19], v[20:21]
	s_addc_u32 s15, s15, 0
	v_mul_f64 v[18:19], v[14:15], v[18:19]
	s_cmp_lg_u64 s[8:9], s[14:15]
	v_pk_mov_b32 v[14:15], v[6:7], v[6:7] op_sel:[0,1]
	v_fma_f64 v[6:7], v[16:17], v[6:7], -v[18:19]
	s_cbranch_scc1 .LBB11_75
.LBB11_76:
	s_mov_b64 s[14:15], 0
	s_branch .LBB11_78
.LBB11_77:
	s_mov_b64 s[14:15], -1
.LBB11_78:
	s_andn2_b64 vcc, exec, s[14:15]
	s_cbranch_vccnz .LBB11_80
; %bb.79:
	s_waitcnt vmcnt(0)
	v_pk_mov_b32 v[6:7], v[16:17], v[16:17] op_sel:[0,1]
.LBB11_80:
	s_or_b64 exec, exec, s[12:13]
	v_or_b32_e32 v11, 0x300, v0
	v_cmp_gt_i32_e32 vcc, s18, v11
	s_and_saveexec_b64 s[12:13], vcc
	s_cbranch_execz .LBB11_91
; %bb.81:
	s_and_b64 vcc, exec, s[4:5]
	v_pk_mov_b32 v[8:9], 0, 0
	s_cbranch_vccnz .LBB11_91
; %bb.82:
	v_cmp_lt_i64_e64 s[4:5], s[8:9], 1
	v_mov_b32_e32 v8, 0
	s_and_b64 vcc, exec, s[4:5]
	v_mov_b32_e32 v9, 0x3ff00000
	s_cbranch_vccnz .LBB11_91
; %bb.83:
	s_cmp_lg_u64 s[8:9], 1
	s_cbranch_scc0 .LBB11_88
; %bb.84:
	v_mov_b32_e32 v8, 0
	s_andn2_b64 vcc, exec, s[2:3]
	v_mov_b32_e32 v9, 0x7ff80000
	s_cbranch_vccnz .LBB11_87
; %bb.85:
	v_mov_b32_e32 v14, 0
	s_mov_b64 s[2:3], 1
	v_mov_b32_e32 v15, 0x3ff00000
	s_waitcnt vmcnt(0)
	v_pk_mov_b32 v[8:9], v[12:13], v[12:13] op_sel:[0,1]
.LBB11_86:                              ; =>This Inner Loop Header: Depth=1
	v_cvt_f64_u32_e32 v[16:17], s3
	v_cvt_f64_u32_e32 v[18:19], s2
	v_ldexp_f64 v[16:17], v[16:17], 32
	s_add_u32 s2, s2, 1
	v_add_f64 v[16:17], v[16:17], v[18:19]
	s_addc_u32 s3, s3, 0
	v_mul_f64 v[16:17], v[14:15], v[16:17]
	s_cmp_lg_u64 s[8:9], s[2:3]
	v_pk_mov_b32 v[14:15], v[8:9], v[8:9] op_sel:[0,1]
	v_fma_f64 v[8:9], v[12:13], v[8:9], -v[16:17]
	s_cbranch_scc1 .LBB11_86
.LBB11_87:
	s_mov_b64 s[2:3], 0
	s_branch .LBB11_89
.LBB11_88:
	s_mov_b64 s[2:3], -1
.LBB11_89:
	s_andn2_b64 vcc, exec, s[2:3]
	s_cbranch_vccnz .LBB11_91
; %bb.90:
	s_waitcnt vmcnt(0)
	v_pk_mov_b32 v[8:9], v[12:13], v[12:13] op_sel:[0,1]
.LBB11_91:
	s_or_b64 exec, exec, s[12:13]
	s_and_saveexec_b64 s[2:3], s[0:1]
	s_xor_b64 s[0:1], exec, s[2:3]
	s_cbranch_execnz .LBB11_97
; %bb.92:
	s_or_b64 exec, exec, s[0:1]
	v_cmp_gt_i32_e32 vcc, s18, v0
	s_and_saveexec_b64 s[0:1], vcc
	s_cbranch_execnz .LBB11_98
.LBB11_93:
	s_or_b64 exec, exec, s[0:1]
	v_cmp_gt_i32_e32 vcc, s18, v0
	s_and_saveexec_b64 s[0:1], vcc
	s_cbranch_execnz .LBB11_99
.LBB11_94:
	s_or_b64 exec, exec, s[0:1]
	v_cmp_gt_i32_e32 vcc, s18, v0
	s_and_saveexec_b64 s[0:1], vcc
	s_cbranch_execz .LBB11_96
.LBB11_95:
	v_add_u32_e32 v0, s6, v0
	v_mov_b32_e32 v1, 0
	v_lshlrev_b64 v[0:1], 3, v[0:1]
	v_mov_b32_e32 v2, s11
	v_add_co_u32_e32 v0, vcc, s10, v0
	v_addc_co_u32_e32 v1, vcc, v2, v1, vcc
	global_store_dwordx2 v[0:1], v[8:9], off
.LBB11_96:
	s_endpgm
.LBB11_97:
	v_mov_b32_e32 v11, 0
	v_lshlrev_b64 v[10:11], 3, v[10:11]
	v_mov_b32_e32 v0, s11
	v_add_co_u32_e32 v10, vcc, s10, v10
	v_addc_co_u32_e32 v11, vcc, v0, v11, vcc
	v_mov_b32_e32 v0, v1
	global_store_dwordx2 v[10:11], v[2:3], off
	s_or_b64 exec, exec, s[0:1]
	v_cmp_gt_i32_e32 vcc, s18, v0
	s_and_saveexec_b64 s[0:1], vcc
	s_cbranch_execz .LBB11_93
.LBB11_98:
	v_add_u32_e32 v2, s6, v0
	v_mov_b32_e32 v3, 0
	v_lshlrev_b64 v[2:3], 3, v[2:3]
	v_mov_b32_e32 v1, s11
	v_add_co_u32_e32 v2, vcc, s10, v2
	v_addc_co_u32_e32 v3, vcc, v1, v3, vcc
	v_add_u32_e32 v0, 0x100, v0
	global_store_dwordx2 v[2:3], v[4:5], off
	s_or_b64 exec, exec, s[0:1]
	v_cmp_gt_i32_e32 vcc, s18, v0
	s_and_saveexec_b64 s[0:1], vcc
	s_cbranch_execz .LBB11_94
.LBB11_99:
	v_add_u32_e32 v2, s6, v0
	v_mov_b32_e32 v3, 0
	v_lshlrev_b64 v[2:3], 3, v[2:3]
	v_mov_b32_e32 v1, s11
	v_add_co_u32_e32 v2, vcc, s10, v2
	v_addc_co_u32_e32 v3, vcc, v1, v3, vcc
	v_add_u32_e32 v0, 0x100, v0
	global_store_dwordx2 v[2:3], v[6:7], off
	s_or_b64 exec, exec, s[0:1]
	v_cmp_gt_i32_e32 vcc, s18, v0
	s_and_saveexec_b64 s[0:1], vcc
	s_cbranch_execnz .LBB11_95
	s_branch .LBB11_96
	.section	.rodata,"a",@progbits
	.p2align	6, 0x0
	.amdhsa_kernel _ZN2at6native29vectorized_elementwise_kernelILi2ENS0_13BUnaryFunctorIdddZZZNS0_12_GLOBAL__N_133hermite_polynomial_he_kernel_cudaERNS_18TensorIteratorBaseEENKUlvE_clEvENKUlvE_clEvEUlddE_EESt5arrayIPcLm2EEEEviT0_T1_
		.amdhsa_group_segment_fixed_size 0
		.amdhsa_private_segment_fixed_size 0
		.amdhsa_kernarg_size 40
		.amdhsa_user_sgpr_count 6
		.amdhsa_user_sgpr_private_segment_buffer 1
		.amdhsa_user_sgpr_dispatch_ptr 0
		.amdhsa_user_sgpr_queue_ptr 0
		.amdhsa_user_sgpr_kernarg_segment_ptr 1
		.amdhsa_user_sgpr_dispatch_id 0
		.amdhsa_user_sgpr_flat_scratch_init 0
		.amdhsa_user_sgpr_kernarg_preload_length 0
		.amdhsa_user_sgpr_kernarg_preload_offset 0
		.amdhsa_user_sgpr_private_segment_size 0
		.amdhsa_uses_dynamic_stack 0
		.amdhsa_system_sgpr_private_segment_wavefront_offset 0
		.amdhsa_system_sgpr_workgroup_id_x 1
		.amdhsa_system_sgpr_workgroup_id_y 0
		.amdhsa_system_sgpr_workgroup_id_z 0
		.amdhsa_system_sgpr_workgroup_info 0
		.amdhsa_system_vgpr_workitem_id 0
		.amdhsa_next_free_vgpr 24
		.amdhsa_next_free_sgpr 19
		.amdhsa_accum_offset 24
		.amdhsa_reserve_vcc 1
		.amdhsa_reserve_flat_scratch 0
		.amdhsa_float_round_mode_32 0
		.amdhsa_float_round_mode_16_64 0
		.amdhsa_float_denorm_mode_32 3
		.amdhsa_float_denorm_mode_16_64 3
		.amdhsa_dx10_clamp 1
		.amdhsa_ieee_mode 1
		.amdhsa_fp16_overflow 0
		.amdhsa_tg_split 0
		.amdhsa_exception_fp_ieee_invalid_op 0
		.amdhsa_exception_fp_denorm_src 0
		.amdhsa_exception_fp_ieee_div_zero 0
		.amdhsa_exception_fp_ieee_overflow 0
		.amdhsa_exception_fp_ieee_underflow 0
		.amdhsa_exception_fp_ieee_inexact 0
		.amdhsa_exception_int_div_zero 0
	.end_amdhsa_kernel
	.section	.text._ZN2at6native29vectorized_elementwise_kernelILi2ENS0_13BUnaryFunctorIdddZZZNS0_12_GLOBAL__N_133hermite_polynomial_he_kernel_cudaERNS_18TensorIteratorBaseEENKUlvE_clEvENKUlvE_clEvEUlddE_EESt5arrayIPcLm2EEEEviT0_T1_,"axG",@progbits,_ZN2at6native29vectorized_elementwise_kernelILi2ENS0_13BUnaryFunctorIdddZZZNS0_12_GLOBAL__N_133hermite_polynomial_he_kernel_cudaERNS_18TensorIteratorBaseEENKUlvE_clEvENKUlvE_clEvEUlddE_EESt5arrayIPcLm2EEEEviT0_T1_,comdat
.Lfunc_end11:
	.size	_ZN2at6native29vectorized_elementwise_kernelILi2ENS0_13BUnaryFunctorIdddZZZNS0_12_GLOBAL__N_133hermite_polynomial_he_kernel_cudaERNS_18TensorIteratorBaseEENKUlvE_clEvENKUlvE_clEvEUlddE_EESt5arrayIPcLm2EEEEviT0_T1_, .Lfunc_end11-_ZN2at6native29vectorized_elementwise_kernelILi2ENS0_13BUnaryFunctorIdddZZZNS0_12_GLOBAL__N_133hermite_polynomial_he_kernel_cudaERNS_18TensorIteratorBaseEENKUlvE_clEvENKUlvE_clEvEUlddE_EESt5arrayIPcLm2EEEEviT0_T1_
                                        ; -- End function
	.section	.AMDGPU.csdata,"",@progbits
; Kernel info:
; codeLenInByte = 2484
; NumSgprs: 23
; NumVgprs: 24
; NumAgprs: 0
; TotalNumVgprs: 24
; ScratchSize: 0
; MemoryBound: 0
; FloatMode: 240
; IeeeMode: 1
; LDSByteSize: 0 bytes/workgroup (compile time only)
; SGPRBlocks: 2
; VGPRBlocks: 2
; NumSGPRsForWavesPerEU: 23
; NumVGPRsForWavesPerEU: 24
; AccumOffset: 24
; Occupancy: 8
; WaveLimiterHint : 1
; COMPUTE_PGM_RSRC2:SCRATCH_EN: 0
; COMPUTE_PGM_RSRC2:USER_SGPR: 6
; COMPUTE_PGM_RSRC2:TRAP_HANDLER: 0
; COMPUTE_PGM_RSRC2:TGID_X_EN: 1
; COMPUTE_PGM_RSRC2:TGID_Y_EN: 0
; COMPUTE_PGM_RSRC2:TGID_Z_EN: 0
; COMPUTE_PGM_RSRC2:TIDIG_COMP_CNT: 0
; COMPUTE_PGM_RSRC3_GFX90A:ACCUM_OFFSET: 5
; COMPUTE_PGM_RSRC3_GFX90A:TG_SPLIT: 0
	.section	.text._ZN2at6native27unrolled_elementwise_kernelINS0_13BUnaryFunctorIdddZZZNS0_12_GLOBAL__N_133hermite_polynomial_he_kernel_cudaERNS_18TensorIteratorBaseEENKUlvE_clEvENKUlvE_clEvEUlddE_EESt5arrayIPcLm2EELi4E23TrivialOffsetCalculatorILi1EjESE_NS0_6memory15LoadWithoutCastENSF_16StoreWithoutCastEEEviT_T0_T2_T3_T4_T5_,"axG",@progbits,_ZN2at6native27unrolled_elementwise_kernelINS0_13BUnaryFunctorIdddZZZNS0_12_GLOBAL__N_133hermite_polynomial_he_kernel_cudaERNS_18TensorIteratorBaseEENKUlvE_clEvENKUlvE_clEvEUlddE_EESt5arrayIPcLm2EELi4E23TrivialOffsetCalculatorILi1EjESE_NS0_6memory15LoadWithoutCastENSF_16StoreWithoutCastEEEviT_T0_T2_T3_T4_T5_,comdat
	.globl	_ZN2at6native27unrolled_elementwise_kernelINS0_13BUnaryFunctorIdddZZZNS0_12_GLOBAL__N_133hermite_polynomial_he_kernel_cudaERNS_18TensorIteratorBaseEENKUlvE_clEvENKUlvE_clEvEUlddE_EESt5arrayIPcLm2EELi4E23TrivialOffsetCalculatorILi1EjESE_NS0_6memory15LoadWithoutCastENSF_16StoreWithoutCastEEEviT_T0_T2_T3_T4_T5_ ; -- Begin function _ZN2at6native27unrolled_elementwise_kernelINS0_13BUnaryFunctorIdddZZZNS0_12_GLOBAL__N_133hermite_polynomial_he_kernel_cudaERNS_18TensorIteratorBaseEENKUlvE_clEvENKUlvE_clEvEUlddE_EESt5arrayIPcLm2EELi4E23TrivialOffsetCalculatorILi1EjESE_NS0_6memory15LoadWithoutCastENSF_16StoreWithoutCastEEEviT_T0_T2_T3_T4_T5_
	.p2align	8
	.type	_ZN2at6native27unrolled_elementwise_kernelINS0_13BUnaryFunctorIdddZZZNS0_12_GLOBAL__N_133hermite_polynomial_he_kernel_cudaERNS_18TensorIteratorBaseEENKUlvE_clEvENKUlvE_clEvEUlddE_EESt5arrayIPcLm2EELi4E23TrivialOffsetCalculatorILi1EjESE_NS0_6memory15LoadWithoutCastENSF_16StoreWithoutCastEEEviT_T0_T2_T3_T4_T5_,@function
_ZN2at6native27unrolled_elementwise_kernelINS0_13BUnaryFunctorIdddZZZNS0_12_GLOBAL__N_133hermite_polynomial_he_kernel_cudaERNS_18TensorIteratorBaseEENKUlvE_clEvENKUlvE_clEvEUlddE_EESt5arrayIPcLm2EELi4E23TrivialOffsetCalculatorILi1EjESE_NS0_6memory15LoadWithoutCastENSF_16StoreWithoutCastEEEviT_T0_T2_T3_T4_T5_: ; @_ZN2at6native27unrolled_elementwise_kernelINS0_13BUnaryFunctorIdddZZZNS0_12_GLOBAL__N_133hermite_polynomial_he_kernel_cudaERNS_18TensorIteratorBaseEENKUlvE_clEvENKUlvE_clEvEUlddE_EESt5arrayIPcLm2EELi4E23TrivialOffsetCalculatorILi1EjESE_NS0_6memory15LoadWithoutCastENSF_16StoreWithoutCastEEEviT_T0_T2_T3_T4_T5_
; %bb.0:
	s_load_dword s0, s[4:5], 0x0
	s_load_dwordx2 s[2:3], s[4:5], 0x20
	s_lshl_b32 s14, s6, 10
	v_pk_mov_b32 v[16:17], 0, 0
	v_or_b32_e32 v10, s14, v0
	s_waitcnt lgkmcnt(0)
	s_sub_i32 s15, s0, s14
	v_cmp_gt_i32_e64 s[0:1], s15, v0
	v_pk_mov_b32 v[18:19], v[16:17], v[16:17] op_sel:[0,1]
	v_mov_b32_e32 v1, v0
	s_and_saveexec_b64 s[6:7], s[0:1]
	s_cbranch_execz .LBB12_2
; %bb.1:
	v_mov_b32_e32 v11, 0
	v_lshlrev_b64 v[2:3], 3, v[10:11]
	v_mov_b32_e32 v1, s3
	v_add_co_u32_e32 v2, vcc, s2, v2
	v_addc_co_u32_e32 v3, vcc, v1, v3, vcc
	global_load_dwordx2 v[18:19], v[2:3], off
	v_or_b32_e32 v1, 0x100, v0
.LBB12_2:
	s_or_b64 exec, exec, s[6:7]
	s_load_dwordx4 s[4:7], s[4:5], 0x10
	v_cmp_gt_i32_e32 vcc, s15, v1
	s_and_saveexec_b64 s[8:9], vcc
	s_cbranch_execz .LBB12_4
; %bb.3:
	v_add_u32_e32 v2, s14, v1
	v_mov_b32_e32 v3, 0
	v_lshlrev_b64 v[2:3], 3, v[2:3]
	v_mov_b32_e32 v4, s3
	v_add_co_u32_e32 v2, vcc, s2, v2
	v_addc_co_u32_e32 v3, vcc, v4, v3, vcc
	global_load_dwordx2 v[16:17], v[2:3], off
	v_add_u32_e32 v1, 0x100, v1
.LBB12_4:
	s_or_b64 exec, exec, s[8:9]
	v_pk_mov_b32 v[12:13], 0, 0
	v_cmp_gt_i32_e32 vcc, s15, v1
	v_pk_mov_b32 v[14:15], v[12:13], v[12:13] op_sel:[0,1]
	s_and_saveexec_b64 s[8:9], vcc
	s_cbranch_execz .LBB12_6
; %bb.5:
	v_add_u32_e32 v2, s14, v1
	v_mov_b32_e32 v3, 0
	v_lshlrev_b64 v[2:3], 3, v[2:3]
	v_mov_b32_e32 v4, s3
	v_add_co_u32_e32 v2, vcc, s2, v2
	v_addc_co_u32_e32 v3, vcc, v4, v3, vcc
	global_load_dwordx2 v[14:15], v[2:3], off
	v_add_u32_e32 v1, 0x100, v1
.LBB12_6:
	s_or_b64 exec, exec, s[8:9]
	v_cmp_gt_i32_e32 vcc, s15, v1
	s_and_saveexec_b64 s[8:9], vcc
	s_cbranch_execz .LBB12_8
; %bb.7:
	v_add_u32_e32 v2, s14, v1
	v_mov_b32_e32 v3, 0
	v_lshlrev_b64 v[2:3], 3, v[2:3]
	v_mov_b32_e32 v1, s3
	v_add_co_u32_e32 v2, vcc, s2, v2
	v_addc_co_u32_e32 v3, vcc, v1, v3, vcc
	global_load_dwordx2 v[12:13], v[2:3], off
.LBB12_8:
	s_or_b64 exec, exec, s[8:9]
	s_waitcnt lgkmcnt(0)
	v_trunc_f64_e32 v[2:3], s[4:5]
	s_movk_i32 s2, 0xffe0
	v_ldexp_f64 v[4:5], v[2:3], s2
	v_floor_f64_e32 v[4:5], v[4:5]
	v_fmac_f64_e32 v[2:3], 0xc1f00000, v[4:5]
	v_cvt_u32_f64_e32 v1, v[2:3]
	v_cvt_i32_f64_e32 v2, v[4:5]
	v_readfirstlane_b32 s8, v1
	v_readfirstlane_b32 s9, v2
	v_mov_b32_e32 v2, 0x201
	v_cmp_gt_i64_e64 s[4:5], s[8:9], -1
	v_mov_b32_e32 v3, 0
	v_cndmask_b32_e64 v1, 0, 1, s[4:5]
	v_cmp_lt_u64_e64 s[2:3], s[8:9], v[2:3]
	v_cmp_ne_u32_e64 s[4:5], 1, v1
                                        ; implicit-def: $vgpr2_vgpr3_vgpr4_vgpr5_vgpr6_vgpr7_vgpr8_vgpr9
	s_and_saveexec_b64 s[10:11], s[0:1]
	s_cbranch_execz .LBB12_18
; %bb.9:
	s_and_b64 vcc, exec, s[4:5]
	v_pk_mov_b32 v[2:3], 0, 0
	s_cbranch_vccnz .LBB12_18
; %bb.10:
	v_cmp_lt_i64_e64 s[12:13], s[8:9], 1
	v_mov_b32_e32 v2, 0
	s_and_b64 vcc, exec, s[12:13]
	v_mov_b32_e32 v3, 0x3ff00000
	s_cbranch_vccnz .LBB12_18
; %bb.11:
	s_cmp_lg_u64 s[8:9], 1
	s_cbranch_scc0 .LBB12_16
; %bb.12:
	v_mov_b32_e32 v2, 0
	s_andn2_b64 vcc, exec, s[2:3]
	v_mov_b32_e32 v3, 0x7ff80000
	s_cbranch_vccnz .LBB12_15
; %bb.13:
	v_mov_b32_e32 v4, 0
	s_mov_b64 s[12:13], 1
	v_mov_b32_e32 v5, 0x3ff00000
	s_waitcnt vmcnt(0)
	v_pk_mov_b32 v[2:3], v[18:19], v[18:19] op_sel:[0,1]
.LBB12_14:                              ; =>This Inner Loop Header: Depth=1
	v_cvt_f64_u32_e32 v[6:7], s13
	v_cvt_f64_u32_e32 v[8:9], s12
	v_ldexp_f64 v[6:7], v[6:7], 32
	s_add_u32 s12, s12, 1
	v_add_f64 v[6:7], v[6:7], v[8:9]
	s_addc_u32 s13, s13, 0
	v_mul_f64 v[6:7], v[4:5], v[6:7]
	s_cmp_lg_u64 s[8:9], s[12:13]
	v_pk_mov_b32 v[4:5], v[2:3], v[2:3] op_sel:[0,1]
	v_fma_f64 v[2:3], v[18:19], v[2:3], -v[6:7]
	s_cbranch_scc1 .LBB12_14
.LBB12_15:
	s_cbranch_execz .LBB12_17
	s_branch .LBB12_18
.LBB12_16:
                                        ; implicit-def: $vgpr2_vgpr3
.LBB12_17:
	s_waitcnt vmcnt(0)
	v_pk_mov_b32 v[2:3], v[18:19], v[18:19] op_sel:[0,1]
.LBB12_18:
	s_or_b64 exec, exec, s[10:11]
	v_or_b32_e32 v1, 0x100, v0
	v_cmp_gt_i32_e32 vcc, s15, v1
	s_and_saveexec_b64 s[10:11], vcc
	s_cbranch_execz .LBB12_28
; %bb.19:
	s_and_b64 vcc, exec, s[4:5]
	v_pk_mov_b32 v[4:5], 0, 0
	s_cbranch_vccnz .LBB12_28
; %bb.20:
	v_cmp_lt_i64_e64 s[12:13], s[8:9], 1
	v_mov_b32_e32 v4, 0
	s_and_b64 vcc, exec, s[12:13]
	v_mov_b32_e32 v5, 0x3ff00000
	s_cbranch_vccnz .LBB12_28
; %bb.21:
	s_cmp_lg_u64 s[8:9], 1
	s_cbranch_scc0 .LBB12_26
; %bb.22:
	v_mov_b32_e32 v4, 0
	s_andn2_b64 vcc, exec, s[2:3]
	v_mov_b32_e32 v5, 0x7ff80000
	s_cbranch_vccnz .LBB12_25
; %bb.23:
	s_waitcnt vmcnt(0)
	v_mov_b32_e32 v18, 0
	s_mov_b64 s[12:13], 1
	v_mov_b32_e32 v19, 0x3ff00000
	v_pk_mov_b32 v[4:5], v[16:17], v[16:17] op_sel:[0,1]
.LBB12_24:                              ; =>This Inner Loop Header: Depth=1
	v_cvt_f64_u32_e32 v[20:21], s13
	v_cvt_f64_u32_e32 v[22:23], s12
	v_ldexp_f64 v[20:21], v[20:21], 32
	s_add_u32 s12, s12, 1
	v_add_f64 v[20:21], v[20:21], v[22:23]
	s_addc_u32 s13, s13, 0
	v_mul_f64 v[20:21], v[18:19], v[20:21]
	s_cmp_lg_u64 s[8:9], s[12:13]
	v_pk_mov_b32 v[18:19], v[4:5], v[4:5] op_sel:[0,1]
	v_fma_f64 v[4:5], v[16:17], v[4:5], -v[20:21]
	s_cbranch_scc1 .LBB12_24
.LBB12_25:
	s_cbranch_execz .LBB12_27
	s_branch .LBB12_28
.LBB12_26:
.LBB12_27:
	s_waitcnt vmcnt(0)
	v_pk_mov_b32 v[4:5], v[16:17], v[16:17] op_sel:[0,1]
.LBB12_28:
	s_or_b64 exec, exec, s[10:11]
	v_or_b32_e32 v11, 0x200, v0
	v_cmp_gt_i32_e32 vcc, s15, v11
	s_and_saveexec_b64 s[10:11], vcc
	s_cbranch_execz .LBB12_38
; %bb.29:
	s_and_b64 vcc, exec, s[4:5]
	v_pk_mov_b32 v[6:7], 0, 0
	s_cbranch_vccnz .LBB12_38
; %bb.30:
	v_cmp_lt_i64_e64 s[12:13], s[8:9], 1
	v_mov_b32_e32 v6, 0
	s_and_b64 vcc, exec, s[12:13]
	v_mov_b32_e32 v7, 0x3ff00000
	s_cbranch_vccnz .LBB12_38
; %bb.31:
	s_cmp_lg_u64 s[8:9], 1
	s_cbranch_scc0 .LBB12_36
; %bb.32:
	v_mov_b32_e32 v6, 0
	s_andn2_b64 vcc, exec, s[2:3]
	v_mov_b32_e32 v7, 0x7ff80000
	s_cbranch_vccnz .LBB12_35
; %bb.33:
	s_waitcnt vmcnt(0)
	v_mov_b32_e32 v16, 0
	s_mov_b64 s[12:13], 1
	v_mov_b32_e32 v17, 0x3ff00000
	v_pk_mov_b32 v[6:7], v[14:15], v[14:15] op_sel:[0,1]
.LBB12_34:                              ; =>This Inner Loop Header: Depth=1
	v_cvt_f64_u32_e32 v[18:19], s13
	v_cvt_f64_u32_e32 v[20:21], s12
	v_ldexp_f64 v[18:19], v[18:19], 32
	s_add_u32 s12, s12, 1
	v_add_f64 v[18:19], v[18:19], v[20:21]
	s_addc_u32 s13, s13, 0
	v_mul_f64 v[18:19], v[16:17], v[18:19]
	s_cmp_lg_u64 s[8:9], s[12:13]
	v_pk_mov_b32 v[16:17], v[6:7], v[6:7] op_sel:[0,1]
	v_fma_f64 v[6:7], v[14:15], v[6:7], -v[18:19]
	s_cbranch_scc1 .LBB12_34
.LBB12_35:
	s_cbranch_execz .LBB12_37
	s_branch .LBB12_38
.LBB12_36:
.LBB12_37:
	s_waitcnt vmcnt(0)
	v_pk_mov_b32 v[6:7], v[14:15], v[14:15] op_sel:[0,1]
.LBB12_38:
	;; [unrolled: 49-line block ×3, first 2 shown]
	s_or_b64 exec, exec, s[10:11]
	s_and_saveexec_b64 s[2:3], s[0:1]
	s_xor_b64 s[0:1], exec, s[2:3]
	s_cbranch_execnz .LBB12_53
; %bb.49:
	s_or_b64 exec, exec, s[0:1]
	v_cmp_gt_i32_e32 vcc, s15, v0
	s_and_saveexec_b64 s[0:1], vcc
	s_cbranch_execnz .LBB12_54
.LBB12_50:
	s_or_b64 exec, exec, s[0:1]
	v_cmp_gt_i32_e32 vcc, s15, v0
	s_and_saveexec_b64 s[0:1], vcc
	s_cbranch_execnz .LBB12_55
.LBB12_51:
	s_or_b64 exec, exec, s[0:1]
	v_cmp_gt_i32_e32 vcc, s15, v0
	s_and_saveexec_b64 s[0:1], vcc
	s_cbranch_execnz .LBB12_56
.LBB12_52:
	s_endpgm
.LBB12_53:
	v_mov_b32_e32 v11, 0
	v_lshlrev_b64 v[10:11], 3, v[10:11]
	v_mov_b32_e32 v0, s7
	v_add_co_u32_e32 v10, vcc, s6, v10
	v_addc_co_u32_e32 v11, vcc, v0, v11, vcc
	v_mov_b32_e32 v0, v1
	global_store_dwordx2 v[10:11], v[2:3], off
	s_or_b64 exec, exec, s[0:1]
	v_cmp_gt_i32_e32 vcc, s15, v0
	s_and_saveexec_b64 s[0:1], vcc
	s_cbranch_execz .LBB12_50
.LBB12_54:
	v_add_u32_e32 v2, 0x100, v0
	v_add_u32_e32 v0, s14, v0
	v_mov_b32_e32 v1, 0
	v_lshlrev_b64 v[0:1], 3, v[0:1]
	v_mov_b32_e32 v3, s7
	v_add_co_u32_e32 v0, vcc, s6, v0
	v_addc_co_u32_e32 v1, vcc, v3, v1, vcc
	global_store_dwordx2 v[0:1], v[4:5], off
	v_mov_b32_e32 v0, v2
	s_or_b64 exec, exec, s[0:1]
	v_cmp_gt_i32_e32 vcc, s15, v0
	s_and_saveexec_b64 s[0:1], vcc
	s_cbranch_execz .LBB12_51
.LBB12_55:
	v_add_u32_e32 v2, 0x100, v0
	v_add_u32_e32 v0, s14, v0
	v_mov_b32_e32 v1, 0
	v_lshlrev_b64 v[0:1], 3, v[0:1]
	v_mov_b32_e32 v3, s7
	v_add_co_u32_e32 v0, vcc, s6, v0
	v_addc_co_u32_e32 v1, vcc, v3, v1, vcc
	global_store_dwordx2 v[0:1], v[6:7], off
	v_mov_b32_e32 v0, v2
	s_or_b64 exec, exec, s[0:1]
	v_cmp_gt_i32_e32 vcc, s15, v0
	s_and_saveexec_b64 s[0:1], vcc
	s_cbranch_execz .LBB12_52
.LBB12_56:
	v_add_u32_e32 v0, s14, v0
	v_mov_b32_e32 v1, 0
	v_lshlrev_b64 v[0:1], 3, v[0:1]
	v_mov_b32_e32 v2, s7
	v_add_co_u32_e32 v0, vcc, s6, v0
	v_addc_co_u32_e32 v1, vcc, v2, v1, vcc
	global_store_dwordx2 v[0:1], v[8:9], off
	s_endpgm
	.section	.rodata,"a",@progbits
	.p2align	6, 0x0
	.amdhsa_kernel _ZN2at6native27unrolled_elementwise_kernelINS0_13BUnaryFunctorIdddZZZNS0_12_GLOBAL__N_133hermite_polynomial_he_kernel_cudaERNS_18TensorIteratorBaseEENKUlvE_clEvENKUlvE_clEvEUlddE_EESt5arrayIPcLm2EELi4E23TrivialOffsetCalculatorILi1EjESE_NS0_6memory15LoadWithoutCastENSF_16StoreWithoutCastEEEviT_T0_T2_T3_T4_T5_
		.amdhsa_group_segment_fixed_size 0
		.amdhsa_private_segment_fixed_size 0
		.amdhsa_kernarg_size 44
		.amdhsa_user_sgpr_count 6
		.amdhsa_user_sgpr_private_segment_buffer 1
		.amdhsa_user_sgpr_dispatch_ptr 0
		.amdhsa_user_sgpr_queue_ptr 0
		.amdhsa_user_sgpr_kernarg_segment_ptr 1
		.amdhsa_user_sgpr_dispatch_id 0
		.amdhsa_user_sgpr_flat_scratch_init 0
		.amdhsa_user_sgpr_kernarg_preload_length 0
		.amdhsa_user_sgpr_kernarg_preload_offset 0
		.amdhsa_user_sgpr_private_segment_size 0
		.amdhsa_uses_dynamic_stack 0
		.amdhsa_system_sgpr_private_segment_wavefront_offset 0
		.amdhsa_system_sgpr_workgroup_id_x 1
		.amdhsa_system_sgpr_workgroup_id_y 0
		.amdhsa_system_sgpr_workgroup_id_z 0
		.amdhsa_system_sgpr_workgroup_info 0
		.amdhsa_system_vgpr_workitem_id 0
		.amdhsa_next_free_vgpr 24
		.amdhsa_next_free_sgpr 16
		.amdhsa_accum_offset 24
		.amdhsa_reserve_vcc 1
		.amdhsa_reserve_flat_scratch 0
		.amdhsa_float_round_mode_32 0
		.amdhsa_float_round_mode_16_64 0
		.amdhsa_float_denorm_mode_32 3
		.amdhsa_float_denorm_mode_16_64 3
		.amdhsa_dx10_clamp 1
		.amdhsa_ieee_mode 1
		.amdhsa_fp16_overflow 0
		.amdhsa_tg_split 0
		.amdhsa_exception_fp_ieee_invalid_op 0
		.amdhsa_exception_fp_denorm_src 0
		.amdhsa_exception_fp_ieee_div_zero 0
		.amdhsa_exception_fp_ieee_overflow 0
		.amdhsa_exception_fp_ieee_underflow 0
		.amdhsa_exception_fp_ieee_inexact 0
		.amdhsa_exception_int_div_zero 0
	.end_amdhsa_kernel
	.section	.text._ZN2at6native27unrolled_elementwise_kernelINS0_13BUnaryFunctorIdddZZZNS0_12_GLOBAL__N_133hermite_polynomial_he_kernel_cudaERNS_18TensorIteratorBaseEENKUlvE_clEvENKUlvE_clEvEUlddE_EESt5arrayIPcLm2EELi4E23TrivialOffsetCalculatorILi1EjESE_NS0_6memory15LoadWithoutCastENSF_16StoreWithoutCastEEEviT_T0_T2_T3_T4_T5_,"axG",@progbits,_ZN2at6native27unrolled_elementwise_kernelINS0_13BUnaryFunctorIdddZZZNS0_12_GLOBAL__N_133hermite_polynomial_he_kernel_cudaERNS_18TensorIteratorBaseEENKUlvE_clEvENKUlvE_clEvEUlddE_EESt5arrayIPcLm2EELi4E23TrivialOffsetCalculatorILi1EjESE_NS0_6memory15LoadWithoutCastENSF_16StoreWithoutCastEEEviT_T0_T2_T3_T4_T5_,comdat
.Lfunc_end12:
	.size	_ZN2at6native27unrolled_elementwise_kernelINS0_13BUnaryFunctorIdddZZZNS0_12_GLOBAL__N_133hermite_polynomial_he_kernel_cudaERNS_18TensorIteratorBaseEENKUlvE_clEvENKUlvE_clEvEUlddE_EESt5arrayIPcLm2EELi4E23TrivialOffsetCalculatorILi1EjESE_NS0_6memory15LoadWithoutCastENSF_16StoreWithoutCastEEEviT_T0_T2_T3_T4_T5_, .Lfunc_end12-_ZN2at6native27unrolled_elementwise_kernelINS0_13BUnaryFunctorIdddZZZNS0_12_GLOBAL__N_133hermite_polynomial_he_kernel_cudaERNS_18TensorIteratorBaseEENKUlvE_clEvENKUlvE_clEvEUlddE_EESt5arrayIPcLm2EELi4E23TrivialOffsetCalculatorILi1EjESE_NS0_6memory15LoadWithoutCastENSF_16StoreWithoutCastEEEviT_T0_T2_T3_T4_T5_
                                        ; -- End function
	.section	.AMDGPU.csdata,"",@progbits
; Kernel info:
; codeLenInByte = 1504
; NumSgprs: 20
; NumVgprs: 24
; NumAgprs: 0
; TotalNumVgprs: 24
; ScratchSize: 0
; MemoryBound: 0
; FloatMode: 240
; IeeeMode: 1
; LDSByteSize: 0 bytes/workgroup (compile time only)
; SGPRBlocks: 2
; VGPRBlocks: 2
; NumSGPRsForWavesPerEU: 20
; NumVGPRsForWavesPerEU: 24
; AccumOffset: 24
; Occupancy: 8
; WaveLimiterHint : 0
; COMPUTE_PGM_RSRC2:SCRATCH_EN: 0
; COMPUTE_PGM_RSRC2:USER_SGPR: 6
; COMPUTE_PGM_RSRC2:TRAP_HANDLER: 0
; COMPUTE_PGM_RSRC2:TGID_X_EN: 1
; COMPUTE_PGM_RSRC2:TGID_Y_EN: 0
; COMPUTE_PGM_RSRC2:TGID_Z_EN: 0
; COMPUTE_PGM_RSRC2:TIDIG_COMP_CNT: 0
; COMPUTE_PGM_RSRC3_GFX90A:ACCUM_OFFSET: 5
; COMPUTE_PGM_RSRC3_GFX90A:TG_SPLIT: 0
	.section	.text._ZN2at6native32elementwise_kernel_manual_unrollILi128ELi4EZNS0_22gpu_kernel_impl_nocastINS0_13BUnaryFunctorIdddZZZNS0_12_GLOBAL__N_133hermite_polynomial_he_kernel_cudaERNS_18TensorIteratorBaseEENKUlvE_clEvENKUlvE_clEvEUlddE_EEEEvS6_RKT_EUlibE_EEviT1_,"axG",@progbits,_ZN2at6native32elementwise_kernel_manual_unrollILi128ELi4EZNS0_22gpu_kernel_impl_nocastINS0_13BUnaryFunctorIdddZZZNS0_12_GLOBAL__N_133hermite_polynomial_he_kernel_cudaERNS_18TensorIteratorBaseEENKUlvE_clEvENKUlvE_clEvEUlddE_EEEEvS6_RKT_EUlibE_EEviT1_,comdat
	.globl	_ZN2at6native32elementwise_kernel_manual_unrollILi128ELi4EZNS0_22gpu_kernel_impl_nocastINS0_13BUnaryFunctorIdddZZZNS0_12_GLOBAL__N_133hermite_polynomial_he_kernel_cudaERNS_18TensorIteratorBaseEENKUlvE_clEvENKUlvE_clEvEUlddE_EEEEvS6_RKT_EUlibE_EEviT1_ ; -- Begin function _ZN2at6native32elementwise_kernel_manual_unrollILi128ELi4EZNS0_22gpu_kernel_impl_nocastINS0_13BUnaryFunctorIdddZZZNS0_12_GLOBAL__N_133hermite_polynomial_he_kernel_cudaERNS_18TensorIteratorBaseEENKUlvE_clEvENKUlvE_clEvEUlddE_EEEEvS6_RKT_EUlibE_EEviT1_
	.p2align	8
	.type	_ZN2at6native32elementwise_kernel_manual_unrollILi128ELi4EZNS0_22gpu_kernel_impl_nocastINS0_13BUnaryFunctorIdddZZZNS0_12_GLOBAL__N_133hermite_polynomial_he_kernel_cudaERNS_18TensorIteratorBaseEENKUlvE_clEvENKUlvE_clEvEUlddE_EEEEvS6_RKT_EUlibE_EEviT1_,@function
_ZN2at6native32elementwise_kernel_manual_unrollILi128ELi4EZNS0_22gpu_kernel_impl_nocastINS0_13BUnaryFunctorIdddZZZNS0_12_GLOBAL__N_133hermite_polynomial_he_kernel_cudaERNS_18TensorIteratorBaseEENKUlvE_clEvENKUlvE_clEvEUlddE_EEEEvS6_RKT_EUlibE_EEviT1_: ; @_ZN2at6native32elementwise_kernel_manual_unrollILi128ELi4EZNS0_22gpu_kernel_impl_nocastINS0_13BUnaryFunctorIdddZZZNS0_12_GLOBAL__N_133hermite_polynomial_he_kernel_cudaERNS_18TensorIteratorBaseEENKUlvE_clEvENKUlvE_clEvEUlddE_EEEEvS6_RKT_EUlibE_EEviT1_
; %bb.0:
	s_load_dword s63, s[4:5], 0x0
	s_load_dword s33, s[4:5], 0x8
	s_or_b32 s4, s4, 8
	v_lshl_or_b32 v10, s6, 9, v0
	v_or_b32_e32 v15, 0x180, v10
	s_waitcnt lgkmcnt(0)
	v_cmp_le_i32_e32 vcc, s63, v15
	s_add_i32 s62, s33, -1
	s_cmp_gt_u32 s62, 1
	s_cselect_b64 s[2:3], -1, 0
	s_and_saveexec_b64 s[0:1], vcc
	s_xor_b64 s[6:7], exec, s[0:1]
	s_cbranch_execz .LBB13_8
; %bb.1:
	s_load_dwordx4 s[28:31], s[4:5], 0x4
	s_load_dwordx2 s[44:45], s[4:5], 0x14
	s_load_dwordx2 s[0:1], s[4:5], 0x160
	s_cmp_lg_u32 s33, 0
	s_load_dwordx4 s[36:39], s[4:5], 0xc4
	s_load_dwordx4 s[24:27], s[4:5], 0x148
	s_cselect_b64 s[52:53], -1, 0
	s_add_u32 s50, s4, 0xc4
	s_waitcnt lgkmcnt(0)
	v_trunc_f64_e32 v[0:1], s[0:1]
	s_movk_i32 s0, 0xffe0
	v_ldexp_f64 v[2:3], v[0:1], s0
	v_floor_f64_e32 v[2:3], v[2:3]
	v_fmac_f64_e32 v[0:1], 0xc1f00000, v[2:3]
	v_cvt_u32_f64_e32 v0, v[0:1]
	s_addc_u32 s51, s5, 0
	s_min_u32 s64, s62, 15
	v_cvt_i32_f64_e32 v4, v[2:3]
	v_readfirstlane_b32 s34, v0
	v_mov_b32_e32 v0, 0x201
	s_cmp_gt_u32 s33, 1
	v_readfirstlane_b32 s35, v4
	v_mov_b32_e32 v1, 0
	s_cselect_b64 s[48:49], -1, 0
	s_mov_b64 s[8:9], -1
	v_cmp_gt_i64_e64 s[46:47], s[34:35], -1
	v_cmp_lt_u64_e64 s[0:1], s[34:35], v[0:1]
	v_cmp_gt_i32_e32 vcc, s63, v10
	s_and_saveexec_b64 s[54:55], vcc
	s_cbranch_execz .LBB13_16
; %bb.2:
	s_andn2_b64 vcc, exec, s[2:3]
	s_cbranch_vccnz .LBB13_24
; %bb.3:
	s_mov_b32 s56, 0
	s_andn2_b64 vcc, exec, s[52:53]
	v_mov_b32_e32 v2, 0
	v_mov_b32_e32 v0, 0
	s_cbranch_vccnz .LBB13_116
; %bb.4:
	s_add_i32 s65, s64, 1
	s_cmp_eq_u32 s62, 2
	s_cbranch_scc1 .LBB13_111
; %bb.5:
	s_and_b32 s56, s65, 28
	s_mov_b32 s57, 0
	v_mov_b32_e32 v0, 0
	s_mov_b64 s[58:59], s[4:5]
	s_mov_b64 s[60:61], s[50:51]
	v_mov_b32_e32 v3, v10
	v_mov_b32_e32 v2, 0
.LBB13_6:                               ; =>This Inner Loop Header: Depth=1
	s_load_dwordx8 s[16:23], s[58:59], 0x4
	s_load_dwordx4 s[40:43], s[58:59], 0x24
	s_load_dwordx8 s[8:15], s[60:61], 0x0
	s_add_u32 s58, s58, 48
	s_addc_u32 s59, s59, 0
	s_waitcnt lgkmcnt(0)
	v_mul_hi_u32 v1, s17, v3
	v_add_u32_e32 v1, v3, v1
	v_lshrrev_b32_e32 v1, s18, v1
	v_mul_lo_u32 v4, v1, s16
	v_mul_hi_u32 v5, s20, v1
	v_sub_u32_e32 v3, v3, v4
	v_add_u32_e32 v4, v1, v5
	v_lshrrev_b32_e32 v4, s21, v4
	v_mul_lo_u32 v6, v4, s19
	v_mul_hi_u32 v7, s23, v4
	v_sub_u32_e32 v1, v1, v6
	v_add_u32_e32 v6, v4, v7
	v_mul_lo_u32 v5, v3, s9
	v_mul_lo_u32 v3, v3, s8
	;; [unrolled: 1-line block ×4, first 2 shown]
	v_lshrrev_b32_e32 v6, s40, v6
	v_add3_u32 v0, v3, v0, v1
	v_mul_hi_u32 v3, s42, v6
	v_add_u32_e32 v3, v6, v3
	v_lshrrev_b32_e32 v3, s43, v3
	s_add_i32 s57, s57, 4
	v_add3_u32 v1, v5, v2, v7
	v_mul_lo_u32 v2, v6, s22
	v_mul_lo_u32 v5, v3, s41
	s_add_u32 s60, s60, 32
	v_sub_u32_e32 v2, v4, v2
	v_sub_u32_e32 v5, v6, v5
	s_addc_u32 s61, s61, 0
	v_mul_lo_u32 v4, v2, s12
	v_mul_lo_u32 v2, v2, s13
	;; [unrolled: 1-line block ×4, first 2 shown]
	s_cmp_lg_u32 s56, s57
	v_add3_u32 v2, v2, v1, v5
	v_add3_u32 v0, v4, v0, v6
	s_cbranch_scc1 .LBB13_6
; %bb.7:
	v_mov_b32_e32 v1, v2
	s_branch .LBB13_112
.LBB13_8:
	s_andn2_saveexec_b64 s[0:1], s[6:7]
	s_cbranch_execz .LBB13_174
.LBB13_9:
	v_cndmask_b32_e64 v0, 0, 1, s[2:3]
	v_cmp_ne_u32_e64 s[0:1], 1, v0
	s_andn2_b64 vcc, exec, s[2:3]
	s_cbranch_vccnz .LBB13_23
; %bb.10:
	s_mov_b32 s2, 0
	s_cmp_lg_u32 s33, 0
	v_mov_b32_e32 v4, 0
	v_mov_b32_e32 v0, 0
	s_cbranch_scc0 .LBB13_15
; %bb.11:
	s_min_u32 s30, s62, 15
	s_add_i32 s30, s30, 1
	s_cmp_eq_u32 s62, 2
	s_cbranch_scc1 .LBB13_26
; %bb.12:
	s_add_u32 s6, s4, 0xc4
	s_addc_u32 s7, s5, 0
	s_and_b32 s2, s30, 28
	s_mov_b32 s3, 0
	v_mov_b32_e32 v0, 0
	s_mov_b64 s[28:29], s[4:5]
	s_waitcnt vmcnt(1)
	v_mov_b32_e32 v2, v10
	v_mov_b32_e32 v4, 0
.LBB13_13:                              ; =>This Inner Loop Header: Depth=1
	s_load_dwordx8 s[16:23], s[28:29], 0x4
	s_load_dwordx4 s[24:27], s[28:29], 0x24
	s_load_dwordx8 s[8:15], s[6:7], 0x0
	s_add_u32 s28, s28, 48
	s_addc_u32 s29, s29, 0
	s_waitcnt lgkmcnt(0)
	v_mul_hi_u32 v1, s17, v2
	v_add_u32_e32 v1, v2, v1
	v_lshrrev_b32_e32 v1, s18, v1
	v_mul_lo_u32 v3, v1, s16
	v_mul_hi_u32 v5, s20, v1
	v_sub_u32_e32 v2, v2, v3
	v_add_u32_e32 v3, v1, v5
	v_lshrrev_b32_e32 v3, s21, v3
	v_mul_lo_u32 v6, v3, s19
	v_mul_hi_u32 v7, s23, v3
	v_sub_u32_e32 v1, v1, v6
	v_add_u32_e32 v6, v3, v7
	v_mul_lo_u32 v5, v2, s9
	v_mul_lo_u32 v2, v2, s8
	;; [unrolled: 1-line block ×4, first 2 shown]
	v_lshrrev_b32_e32 v6, s24, v6
	v_add3_u32 v0, v2, v0, v1
	v_add3_u32 v1, v5, v4, v7
	v_mul_lo_u32 v2, v6, s22
	v_mul_hi_u32 v4, s26, v6
	v_sub_u32_e32 v2, v3, v2
	v_add_u32_e32 v3, v6, v4
	v_mul_lo_u32 v5, v2, s12
	v_mul_lo_u32 v4, v2, s13
	v_lshrrev_b32_e32 v2, s27, v3
	s_add_i32 s3, s3, 4
	v_mul_lo_u32 v3, v2, s25
	s_add_u32 s6, s6, 32
	v_sub_u32_e32 v3, v6, v3
	s_addc_u32 s7, s7, 0
	v_mul_lo_u32 v6, v3, s14
	v_mul_lo_u32 v3, v3, s15
	s_cmp_lg_u32 s2, s3
	v_add3_u32 v4, v4, v1, v3
	v_add3_u32 v0, v5, v0, v6
	s_cbranch_scc1 .LBB13_13
; %bb.14:
	v_mov_b32_e32 v1, v4
	s_and_b32 s8, s30, 3
	s_cmp_eq_u32 s8, 0
	s_cbranch_scc0 .LBB13_27
.LBB13_15:
	s_cbranch_execz .LBB13_30
	s_branch .LBB13_32
.LBB13_16:
	s_or_b64 exec, exec, s[54:55]
	v_cmp_gt_i32_e32 vcc, s63, v10
	s_and_saveexec_b64 s[54:55], vcc
	s_cbranch_execz .LBB13_145
.LBB13_17:
	s_andn2_b64 vcc, exec, s[2:3]
	s_cbranch_vccnz .LBB13_25
; %bb.18:
	s_mov_b32 s56, 0
	s_andn2_b64 vcc, exec, s[52:53]
	s_waitcnt vmcnt(1)
	v_mov_b32_e32 v2, 0
	v_mov_b32_e32 v0, 0
	s_cbranch_vccnz .LBB13_131
; %bb.19:
	s_add_i32 s65, s64, 1
	s_cmp_eq_u32 s62, 2
	s_cbranch_scc1 .LBB13_126
; %bb.20:
	s_and_b32 s56, s65, 28
	s_mov_b32 s57, 0
	v_mov_b32_e32 v0, 0
	s_mov_b64 s[58:59], s[4:5]
	s_mov_b64 s[60:61], s[50:51]
	v_mov_b32_e32 v3, v10
	v_mov_b32_e32 v2, 0
.LBB13_21:                              ; =>This Inner Loop Header: Depth=1
	s_load_dwordx8 s[16:23], s[58:59], 0x4
	s_load_dwordx4 s[40:43], s[58:59], 0x24
	s_load_dwordx8 s[8:15], s[60:61], 0x0
	s_add_u32 s58, s58, 48
	s_addc_u32 s59, s59, 0
	s_waitcnt lgkmcnt(0)
	v_mul_hi_u32 v1, s17, v3
	v_add_u32_e32 v1, v3, v1
	v_lshrrev_b32_e32 v1, s18, v1
	v_mul_lo_u32 v4, v1, s16
	v_mul_hi_u32 v5, s20, v1
	v_sub_u32_e32 v3, v3, v4
	v_add_u32_e32 v4, v1, v5
	v_lshrrev_b32_e32 v4, s21, v4
	v_mul_lo_u32 v6, v4, s19
	v_mul_hi_u32 v7, s23, v4
	v_sub_u32_e32 v1, v1, v6
	v_add_u32_e32 v6, v4, v7
	v_mul_lo_u32 v5, v3, s9
	v_mul_lo_u32 v3, v3, s8
	;; [unrolled: 1-line block ×4, first 2 shown]
	v_lshrrev_b32_e32 v6, s40, v6
	v_add3_u32 v0, v3, v0, v1
	v_mul_hi_u32 v3, s42, v6
	v_add_u32_e32 v3, v6, v3
	v_lshrrev_b32_e32 v3, s43, v3
	s_add_i32 s57, s57, 4
	v_add3_u32 v1, v5, v2, v7
	v_mul_lo_u32 v2, v6, s22
	v_mul_lo_u32 v5, v3, s41
	s_add_u32 s60, s60, 32
	v_sub_u32_e32 v2, v4, v2
	v_sub_u32_e32 v5, v6, v5
	s_addc_u32 s61, s61, 0
	v_mul_lo_u32 v4, v2, s12
	v_mul_lo_u32 v2, v2, s13
	v_mul_lo_u32 v6, v5, s14
	v_mul_lo_u32 v5, v5, s15
	s_cmp_eq_u32 s56, s57
	v_add3_u32 v2, v2, v1, v5
	v_add3_u32 v0, v4, v0, v6
	s_cbranch_scc0 .LBB13_21
; %bb.22:
	v_mov_b32_e32 v1, v2
	s_branch .LBB13_127
.LBB13_23:
                                        ; implicit-def: $vgpr4
                                        ; implicit-def: $vgpr0
	s_branch .LBB13_30
.LBB13_24:
                                        ; implicit-def: $vgpr2
                                        ; implicit-def: $vgpr0
	s_andn2_b64 vcc, exec, s[8:9]
	s_cbranch_vccz .LBB13_117
	s_branch .LBB13_119
.LBB13_25:
                                        ; implicit-def: $vgpr2
                                        ; implicit-def: $vgpr0
	s_branch .LBB13_132
.LBB13_26:
	s_mov_b32 s3, s2
	v_pk_mov_b32 v[0:1], s[2:3], s[2:3] op_sel:[0,1]
                                        ; implicit-def: $vgpr4
	s_waitcnt vmcnt(1)
	v_mov_b32_e32 v2, v10
	s_and_b32 s8, s30, 3
	s_cmp_eq_u32 s8, 0
	s_cbranch_scc1 .LBB13_15
.LBB13_27:
	s_lshl_b32 s3, s2, 3
	s_add_u32 s3, s3, s4
	s_addc_u32 s7, 0, s5
	s_add_u32 s6, s3, 0xc4
	s_addc_u32 s7, s7, 0
	s_mul_i32 s2, s2, 12
	s_add_u32 s2, s4, s2
	s_addc_u32 s3, 0, s5
.LBB13_28:                              ; =>This Inner Loop Header: Depth=1
	s_load_dwordx2 s[10:11], s[2:3], 0x4
	s_load_dword s9, s[2:3], 0xc
	s_load_dwordx2 s[12:13], s[6:7], 0x0
	v_mov_b32_e32 v4, v1
	s_add_u32 s2, s2, 12
	s_waitcnt lgkmcnt(0)
	v_mul_hi_u32 v1, s11, v2
	v_add_u32_e32 v1, v2, v1
	v_lshrrev_b32_e32 v1, s9, v1
	s_addc_u32 s3, s3, 0
	v_mul_lo_u32 v3, v1, s10
	s_add_u32 s6, s6, 8
	v_sub_u32_e32 v3, v2, v3
	s_addc_u32 s7, s7, 0
	s_add_i32 s8, s8, -1
	v_mov_b32_e32 v2, v1
	v_mad_u64_u32 v[4:5], s[10:11], v3, s13, v[4:5]
	v_mad_u64_u32 v[0:1], s[10:11], v3, s12, v[0:1]
	s_cmp_lg_u32 s8, 0
	v_mov_b32_e32 v1, v4
	s_cbranch_scc1 .LBB13_28
; %bb.29:
	v_mov_b32_e32 v4, v1
	s_cbranch_execnz .LBB13_32
.LBB13_30:
	s_load_dwordx4 s[8:11], s[4:5], 0x4
	s_load_dwordx2 s[2:3], s[4:5], 0xc4
	s_cmp_lt_u32 s33, 2
	s_waitcnt lgkmcnt(0)
	v_mul_hi_u32 v0, s9, v10
	v_add_u32_e32 v0, v10, v0
	v_lshrrev_b32_e32 v1, s10, v0
	v_mul_lo_u32 v0, v1, s8
	v_sub_u32_e32 v0, v10, v0
	v_mul_lo_u32 v4, v0, s3
	v_mul_lo_u32 v0, v0, s2
	s_cbranch_scc1 .LBB13_32
; %bb.31:
	s_load_dwordx4 s[8:11], s[4:5], 0x10
	s_load_dwordx2 s[2:3], s[4:5], 0xcc
	s_waitcnt vmcnt(1) lgkmcnt(0)
	v_mul_hi_u32 v2, s9, v1
	v_add_u32_e32 v2, v1, v2
	v_lshrrev_b32_e32 v2, s10, v2
	v_mul_lo_u32 v2, v2, s8
	v_sub_u32_e32 v2, v1, v2
	v_mad_u64_u32 v[0:1], s[6:7], v2, s2, v[0:1]
	v_mad_u64_u32 v[4:5], s[2:3], v2, s3, v[4:5]
.LBB13_32:
	s_and_b64 vcc, exec, s[0:1]
	v_add_u32_e32 v1, 0x80, v10
	s_cbranch_vccnz .LBB13_39
; %bb.33:
	s_mov_b32 s2, 0
	s_cmp_lg_u32 s33, 0
	v_mov_b32_e32 v8, 0
	s_waitcnt vmcnt(1)
	v_mov_b32_e32 v2, 0
	s_cbranch_scc0 .LBB13_38
; %bb.34:
	s_min_u32 s30, s62, 15
	s_add_i32 s30, s30, 1
	s_cmp_eq_u32 s62, 2
	s_cbranch_scc1 .LBB13_40
; %bb.35:
	s_add_u32 s6, s4, 0xc4
	s_addc_u32 s7, s5, 0
	s_and_b32 s2, s30, 28
	s_mov_b32 s3, 0
	v_mov_b32_e32 v2, 0
	s_mov_b64 s[28:29], s[4:5]
	v_mov_b32_e32 v5, v1
	v_mov_b32_e32 v8, 0
.LBB13_36:                              ; =>This Inner Loop Header: Depth=1
	s_load_dwordx8 s[16:23], s[28:29], 0x4
	s_load_dwordx4 s[24:27], s[28:29], 0x24
	s_load_dwordx8 s[8:15], s[6:7], 0x0
	s_add_u32 s28, s28, 48
	s_addc_u32 s29, s29, 0
	s_waitcnt lgkmcnt(0)
	v_mul_hi_u32 v3, s17, v5
	v_add_u32_e32 v3, v5, v3
	v_lshrrev_b32_e32 v3, s18, v3
	v_mul_lo_u32 v6, v3, s16
	v_mul_hi_u32 v7, s20, v3
	v_sub_u32_e32 v5, v5, v6
	v_add_u32_e32 v6, v3, v7
	v_lshrrev_b32_e32 v6, s21, v6
	v_mul_lo_u32 v9, v6, s19
	v_mul_hi_u32 v11, s23, v6
	v_sub_u32_e32 v3, v3, v9
	v_add_u32_e32 v9, v6, v11
	v_mul_lo_u32 v7, v5, s9
	v_mul_lo_u32 v5, v5, s8
	v_mul_lo_u32 v11, v3, s11
	v_mul_lo_u32 v3, v3, s10
	v_lshrrev_b32_e32 v9, s24, v9
	v_add3_u32 v2, v5, v2, v3
	v_add3_u32 v3, v7, v8, v11
	v_mul_lo_u32 v5, v9, s22
	v_mul_hi_u32 v7, s26, v9
	v_sub_u32_e32 v5, v6, v5
	v_add_u32_e32 v6, v9, v7
	v_mul_lo_u32 v7, v5, s12
	v_mul_lo_u32 v8, v5, s13
	v_lshrrev_b32_e32 v5, s27, v6
	s_add_i32 s3, s3, 4
	v_mul_lo_u32 v6, v5, s25
	s_add_u32 s6, s6, 32
	v_sub_u32_e32 v6, v9, v6
	s_addc_u32 s7, s7, 0
	v_mul_lo_u32 v9, v6, s14
	v_mul_lo_u32 v6, v6, s15
	s_cmp_lg_u32 s2, s3
	v_add3_u32 v8, v8, v3, v6
	v_add3_u32 v2, v7, v2, v9
	s_cbranch_scc1 .LBB13_36
; %bb.37:
	v_mov_b32_e32 v3, v8
	s_and_b32 s8, s30, 3
	s_cmp_eq_u32 s8, 0
	s_cbranch_scc0 .LBB13_41
.LBB13_38:
	s_cbranch_execz .LBB13_44
	s_branch .LBB13_46
.LBB13_39:
                                        ; implicit-def: $vgpr8
                                        ; implicit-def: $vgpr2
	s_branch .LBB13_44
.LBB13_40:
	s_mov_b32 s3, s2
	v_pk_mov_b32 v[2:3], s[2:3], s[2:3] op_sel:[0,1]
                                        ; implicit-def: $vgpr8
	v_mov_b32_e32 v5, v1
	s_and_b32 s8, s30, 3
	s_cmp_eq_u32 s8, 0
	s_cbranch_scc1 .LBB13_38
.LBB13_41:
	s_lshl_b32 s3, s2, 3
	s_add_u32 s3, s3, s4
	s_addc_u32 s7, 0, s5
	s_add_u32 s6, s3, 0xc4
	s_addc_u32 s7, s7, 0
	s_mul_i32 s2, s2, 12
	s_add_u32 s2, s4, s2
	s_addc_u32 s3, 0, s5
.LBB13_42:                              ; =>This Inner Loop Header: Depth=1
	s_load_dwordx2 s[10:11], s[2:3], 0x4
	s_load_dword s9, s[2:3], 0xc
	s_load_dwordx2 s[12:13], s[6:7], 0x0
	v_mov_b32_e32 v6, v3
	s_add_u32 s2, s2, 12
	s_waitcnt lgkmcnt(0)
	v_mul_hi_u32 v3, s11, v5
	v_add_u32_e32 v3, v5, v3
	v_lshrrev_b32_e32 v3, s9, v3
	s_addc_u32 s3, s3, 0
	v_mul_lo_u32 v7, v3, s10
	s_add_u32 s6, s6, 8
	v_sub_u32_e32 v8, v5, v7
	s_addc_u32 s7, s7, 0
	s_add_i32 s8, s8, -1
	v_mov_b32_e32 v5, v3
	v_mad_u64_u32 v[6:7], s[10:11], v8, s13, v[6:7]
	v_mad_u64_u32 v[2:3], s[10:11], v8, s12, v[2:3]
	s_cmp_lg_u32 s8, 0
	v_mov_b32_e32 v3, v6
	s_cbranch_scc1 .LBB13_42
; %bb.43:
	v_mov_b32_e32 v8, v3
	s_cbranch_execnz .LBB13_46
.LBB13_44:
	s_load_dwordx4 s[8:11], s[4:5], 0x4
	s_load_dwordx2 s[2:3], s[4:5], 0xc4
	s_cmp_lt_u32 s33, 2
	s_waitcnt vmcnt(1) lgkmcnt(0)
	v_mul_hi_u32 v2, s9, v1
	v_add_u32_e32 v2, v1, v2
	v_lshrrev_b32_e32 v3, s10, v2
	v_mul_lo_u32 v2, v3, s8
	v_sub_u32_e32 v1, v1, v2
	v_mul_lo_u32 v8, v1, s3
	v_mul_lo_u32 v2, v1, s2
	s_cbranch_scc1 .LBB13_46
; %bb.45:
	s_load_dwordx4 s[8:11], s[4:5], 0x10
	s_load_dwordx2 s[2:3], s[4:5], 0xcc
	s_waitcnt lgkmcnt(0)
	v_mul_hi_u32 v1, s9, v3
	v_add_u32_e32 v1, v3, v1
	v_lshrrev_b32_e32 v1, s10, v1
	v_mul_lo_u32 v1, v1, s8
	v_sub_u32_e32 v1, v3, v1
	v_mad_u64_u32 v[2:3], s[6:7], v1, s2, v[2:3]
	v_mad_u64_u32 v[8:9], s[2:3], v1, s3, v[8:9]
.LBB13_46:
	s_and_b64 vcc, exec, s[0:1]
	v_add_u32_e32 v1, 0x100, v10
	s_cbranch_vccnz .LBB13_53
; %bb.47:
	s_mov_b32 s2, 0
	s_cmp_lg_u32 s33, 0
	v_mov_b32_e32 v10, 0
	v_mov_b32_e32 v6, 0
	s_cbranch_scc0 .LBB13_52
; %bb.48:
	s_min_u32 s30, s62, 15
	s_add_i32 s30, s30, 1
	s_cmp_eq_u32 s62, 2
	s_cbranch_scc1 .LBB13_54
; %bb.49:
	s_add_u32 s6, s4, 0xc4
	s_addc_u32 s7, s5, 0
	s_and_b32 s2, s30, 28
	s_mov_b32 s3, 0
	v_mov_b32_e32 v6, 0
	s_mov_b64 s[28:29], s[4:5]
	s_waitcnt vmcnt(1)
	v_mov_b32_e32 v3, v1
	v_mov_b32_e32 v10, 0
.LBB13_50:                              ; =>This Inner Loop Header: Depth=1
	s_load_dwordx8 s[16:23], s[28:29], 0x4
	s_load_dwordx4 s[24:27], s[28:29], 0x24
	s_load_dwordx8 s[8:15], s[6:7], 0x0
	s_add_u32 s28, s28, 48
	s_addc_u32 s29, s29, 0
	s_waitcnt lgkmcnt(0)
	v_mul_hi_u32 v5, s17, v3
	v_add_u32_e32 v5, v3, v5
	v_lshrrev_b32_e32 v5, s18, v5
	v_mul_lo_u32 v7, v5, s16
	v_mul_hi_u32 v9, s20, v5
	v_sub_u32_e32 v3, v3, v7
	v_add_u32_e32 v7, v5, v9
	v_lshrrev_b32_e32 v7, s21, v7
	v_mul_lo_u32 v11, v7, s19
	v_mul_hi_u32 v12, s23, v7
	v_sub_u32_e32 v5, v5, v11
	v_add_u32_e32 v11, v7, v12
	v_mul_lo_u32 v9, v3, s9
	v_mul_lo_u32 v3, v3, s8
	;; [unrolled: 1-line block ×4, first 2 shown]
	v_lshrrev_b32_e32 v11, s24, v11
	v_add3_u32 v5, v3, v6, v5
	v_add3_u32 v6, v9, v10, v12
	v_mul_lo_u32 v3, v11, s22
	v_mul_hi_u32 v9, s26, v11
	v_sub_u32_e32 v3, v7, v3
	v_add_u32_e32 v7, v11, v9
	v_mul_lo_u32 v9, v3, s12
	v_mul_lo_u32 v10, v3, s13
	v_lshrrev_b32_e32 v3, s27, v7
	s_add_i32 s3, s3, 4
	v_mul_lo_u32 v7, v3, s25
	s_add_u32 s6, s6, 32
	v_sub_u32_e32 v7, v11, v7
	s_addc_u32 s7, s7, 0
	v_mul_lo_u32 v11, v7, s14
	v_mul_lo_u32 v7, v7, s15
	s_cmp_lg_u32 s2, s3
	v_add3_u32 v10, v10, v6, v7
	v_add3_u32 v6, v9, v5, v11
	s_cbranch_scc1 .LBB13_50
; %bb.51:
	v_mov_b32_e32 v7, v10
	s_and_b32 s8, s30, 3
	s_cmp_eq_u32 s8, 0
	s_cbranch_scc0 .LBB13_55
.LBB13_52:
	s_cbranch_execz .LBB13_58
	s_branch .LBB13_60
.LBB13_53:
                                        ; implicit-def: $vgpr10
                                        ; implicit-def: $vgpr6
	s_branch .LBB13_58
.LBB13_54:
	s_mov_b32 s3, s2
	v_pk_mov_b32 v[6:7], s[2:3], s[2:3] op_sel:[0,1]
                                        ; implicit-def: $vgpr10
	s_waitcnt vmcnt(1)
	v_mov_b32_e32 v3, v1
	s_and_b32 s8, s30, 3
	s_cmp_eq_u32 s8, 0
	s_cbranch_scc1 .LBB13_52
.LBB13_55:
	s_lshl_b32 s3, s2, 3
	s_add_u32 s3, s3, s4
	s_addc_u32 s7, 0, s5
	s_add_u32 s6, s3, 0xc4
	s_addc_u32 s7, s7, 0
	s_mul_i32 s2, s2, 12
	s_add_u32 s2, s4, s2
	s_addc_u32 s3, 0, s5
.LBB13_56:                              ; =>This Inner Loop Header: Depth=1
	s_load_dwordx2 s[10:11], s[2:3], 0x4
	s_load_dword s9, s[2:3], 0xc
	s_load_dwordx2 s[12:13], s[6:7], 0x0
	s_add_u32 s2, s2, 12
	v_mov_b32_e32 v10, v7
	s_waitcnt lgkmcnt(0)
	v_mul_hi_u32 v5, s11, v3
	v_add_u32_e32 v5, v3, v5
	v_lshrrev_b32_e32 v5, s9, v5
	s_addc_u32 s3, s3, 0
	v_mul_lo_u32 v7, v5, s10
	s_add_u32 s6, s6, 8
	v_sub_u32_e32 v7, v3, v7
	s_addc_u32 s7, s7, 0
	s_add_i32 s8, s8, -1
	v_mad_u64_u32 v[10:11], s[10:11], v7, s13, v[10:11]
	v_mad_u64_u32 v[6:7], s[10:11], v7, s12, v[6:7]
	s_cmp_lg_u32 s8, 0
	v_mov_b32_e32 v3, v5
	v_mov_b32_e32 v7, v10
	s_cbranch_scc1 .LBB13_56
; %bb.57:
	v_mov_b32_e32 v10, v7
	s_cbranch_execnz .LBB13_60
.LBB13_58:
	s_load_dwordx4 s[8:11], s[4:5], 0x4
	s_load_dwordx2 s[2:3], s[4:5], 0xc4
	s_cmp_lt_u32 s33, 2
	s_waitcnt vmcnt(1) lgkmcnt(0)
	v_mul_hi_u32 v3, s9, v1
	v_add_u32_e32 v3, v1, v3
	v_lshrrev_b32_e32 v3, s10, v3
	v_mul_lo_u32 v5, v3, s8
	v_sub_u32_e32 v1, v1, v5
	v_mul_lo_u32 v10, v1, s3
	v_mul_lo_u32 v6, v1, s2
	s_cbranch_scc1 .LBB13_60
; %bb.59:
	s_load_dwordx4 s[8:11], s[4:5], 0x10
	s_load_dwordx2 s[2:3], s[4:5], 0xcc
	s_waitcnt lgkmcnt(0)
	v_mul_hi_u32 v1, s9, v3
	v_add_u32_e32 v1, v3, v1
	v_lshrrev_b32_e32 v1, s10, v1
	v_mul_lo_u32 v1, v1, s8
	v_sub_u32_e32 v1, v3, v1
	v_mad_u64_u32 v[6:7], s[6:7], v1, s2, v[6:7]
	v_mad_u64_u32 v[10:11], s[2:3], v1, s3, v[10:11]
.LBB13_60:
	s_and_b64 vcc, exec, s[0:1]
	s_cbranch_vccnz .LBB13_67
; %bb.61:
	s_mov_b32 s6, 0
	s_cmp_lg_u32 s33, 0
	v_mov_b32_e32 v14, 0
	v_mov_b32_e32 v12, 0
	s_cbranch_scc0 .LBB13_66
; %bb.62:
	s_min_u32 s28, s62, 15
	s_add_i32 s28, s28, 1
	s_cmp_eq_u32 s62, 2
	s_cbranch_scc1 .LBB13_68
; %bb.63:
	s_add_u32 s24, s4, 0xc4
	s_addc_u32 s25, s5, 0
	s_and_b32 s6, s28, 28
	s_mov_b32 s7, 0
	v_mov_b32_e32 v12, 0
	s_mov_b64 s[26:27], s[4:5]
	v_mov_b32_e32 v1, v15
	v_mov_b32_e32 v14, 0
.LBB13_64:                              ; =>This Inner Loop Header: Depth=1
	s_load_dwordx8 s[16:23], s[26:27], 0x4
	s_load_dwordx4 s[0:3], s[26:27], 0x24
	s_load_dwordx8 s[8:15], s[24:25], 0x0
	s_add_u32 s26, s26, 48
	s_addc_u32 s27, s27, 0
	s_waitcnt vmcnt(1) lgkmcnt(0)
	v_mul_hi_u32 v3, s17, v1
	v_add_u32_e32 v3, v1, v3
	v_lshrrev_b32_e32 v3, s18, v3
	v_mul_lo_u32 v5, v3, s16
	v_mul_hi_u32 v7, s20, v3
	v_sub_u32_e32 v1, v1, v5
	v_add_u32_e32 v5, v3, v7
	v_lshrrev_b32_e32 v5, s21, v5
	v_mul_lo_u32 v9, v5, s19
	v_mul_hi_u32 v11, s23, v5
	v_sub_u32_e32 v3, v3, v9
	v_add_u32_e32 v9, v5, v11
	v_mul_lo_u32 v7, v1, s9
	v_mul_lo_u32 v1, v1, s8
	v_mul_lo_u32 v11, v3, s11
	v_mul_lo_u32 v3, v3, s10
	v_lshrrev_b32_e32 v9, s0, v9
	v_add3_u32 v3, v1, v12, v3
	v_add3_u32 v7, v7, v14, v11
	v_mul_lo_u32 v1, v9, s22
	v_mul_hi_u32 v11, s2, v9
	v_sub_u32_e32 v1, v5, v1
	v_add_u32_e32 v5, v9, v11
	v_mul_lo_u32 v11, v1, s12
	v_mul_lo_u32 v12, v1, s13
	v_lshrrev_b32_e32 v1, s3, v5
	s_add_i32 s7, s7, 4
	v_mul_lo_u32 v5, v1, s1
	s_add_u32 s24, s24, 32
	v_sub_u32_e32 v5, v9, v5
	s_addc_u32 s25, s25, 0
	v_mul_lo_u32 v9, v5, s14
	v_mul_lo_u32 v5, v5, s15
	s_cmp_lg_u32 s6, s7
	v_add3_u32 v14, v12, v7, v5
	v_add3_u32 v12, v11, v3, v9
	s_cbranch_scc1 .LBB13_64
; %bb.65:
	v_mov_b32_e32 v13, v14
	s_and_b32 s7, s28, 3
	s_cmp_eq_u32 s7, 0
	s_cbranch_scc0 .LBB13_69
.LBB13_66:
	s_cbranch_execz .LBB13_72
	s_branch .LBB13_74
.LBB13_67:
                                        ; implicit-def: $vgpr14
                                        ; implicit-def: $vgpr12
	s_branch .LBB13_72
.LBB13_68:
	s_mov_b32 s7, s6
	v_pk_mov_b32 v[12:13], s[6:7], s[6:7] op_sel:[0,1]
                                        ; implicit-def: $vgpr14
	v_mov_b32_e32 v1, v15
	s_and_b32 s7, s28, 3
	s_cmp_eq_u32 s7, 0
	s_cbranch_scc1 .LBB13_66
.LBB13_69:
	s_lshl_b32 s0, s6, 3
	s_add_u32 s0, s0, s4
	s_addc_u32 s1, 0, s5
	s_add_u32 s0, s0, 0xc4
	s_addc_u32 s1, s1, 0
	s_mul_i32 s2, s6, 12
	s_add_u32 s2, s4, s2
	s_addc_u32 s3, 0, s5
.LBB13_70:                              ; =>This Inner Loop Header: Depth=1
	s_load_dwordx2 s[8:9], s[2:3], 0x4
	s_load_dword s6, s[2:3], 0xc
	s_load_dwordx2 s[10:11], s[0:1], 0x0
	s_add_u32 s2, s2, 12
	s_addc_u32 s3, s3, 0
	s_waitcnt vmcnt(1) lgkmcnt(0)
	v_mul_hi_u32 v3, s9, v1
	v_add_u32_e32 v3, v1, v3
	v_lshrrev_b32_e32 v3, s6, v3
	v_mul_lo_u32 v5, v3, s8
	v_mov_b32_e32 v14, v13
	s_add_u32 s0, s0, 8
	v_sub_u32_e32 v5, v1, v5
	s_addc_u32 s1, s1, 0
	s_add_i32 s7, s7, -1
	v_mad_u64_u32 v[16:17], s[8:9], v5, s11, v[14:15]
	v_mad_u64_u32 v[12:13], s[8:9], v5, s10, v[12:13]
	s_cmp_lg_u32 s7, 0
	v_mov_b32_e32 v1, v3
	v_mov_b32_e32 v13, v16
	s_cbranch_scc1 .LBB13_70
; %bb.71:
	v_mov_b32_e32 v14, v13
	s_cbranch_execnz .LBB13_74
.LBB13_72:
	s_load_dwordx4 s[0:3], s[4:5], 0x4
	s_load_dwordx2 s[6:7], s[4:5], 0xc4
	s_cmp_lt_u32 s33, 2
	s_waitcnt lgkmcnt(0)
	v_mul_hi_u32 v1, s1, v15
	v_add_u32_e32 v1, v15, v1
	v_lshrrev_b32_e32 v1, s2, v1
	s_waitcnt vmcnt(1)
	v_mul_lo_u32 v3, v1, s0
	v_sub_u32_e32 v3, v15, v3
	v_mul_lo_u32 v14, v3, s7
	v_mul_lo_u32 v12, v3, s6
	s_cbranch_scc1 .LBB13_74
; %bb.73:
	s_load_dwordx4 s[0:3], s[4:5], 0x10
	s_load_dwordx2 s[6:7], s[4:5], 0xcc
	s_waitcnt lgkmcnt(0)
	v_mul_hi_u32 v3, s1, v1
	v_add_u32_e32 v3, v1, v3
	v_lshrrev_b32_e32 v3, s2, v3
	v_mul_lo_u32 v3, v3, s0
	v_sub_u32_e32 v1, v1, v3
	v_mad_u64_u32 v[12:13], s[0:1], v1, s6, v[12:13]
	v_mad_u64_u32 v[14:15], s[0:1], v1, s7, v[14:15]
.LBB13_74:
	s_load_dwordx2 s[0:1], s[4:5], 0x160
	s_load_dwordx4 s[8:11], s[4:5], 0x148
	s_movk_i32 s2, 0xffe0
	s_waitcnt lgkmcnt(0)
	v_trunc_f64_e32 v[16:17], s[0:1]
	v_ldexp_f64 v[18:19], v[16:17], s2
	v_floor_f64_e32 v[18:19], v[18:19]
	v_fmac_f64_e32 v[16:17], 0xc1f00000, v[18:19]
	v_cvt_i32_f64_e32 v1, v[18:19]
	s_waitcnt vmcnt(1)
	v_cvt_u32_f64_e32 v3, v[16:17]
	v_readfirstlane_b32 s3, v1
	v_readfirstlane_b32 s2, v3
	v_cmp_lt_i64_e64 s[0:1], s[2:3], 0
	v_cmp_gt_i64_e64 s[4:5], s[2:3], -1
	s_and_b64 vcc, exec, s[0:1]
	v_pk_mov_b32 v[16:17], 0, 0
	s_cbranch_vccnz .LBB13_83
; %bb.75:
	v_cmp_lt_i64_e64 s[0:1], s[2:3], 1
	v_mov_b32_e32 v16, 0
	s_and_b64 vcc, exec, s[0:1]
	v_mov_b32_e32 v17, 0x3ff00000
	s_cbranch_vccnz .LBB13_83
; %bb.76:
	global_load_dwordx2 v[4:5], v4, s[10:11]
	s_cmp_lg_u64 s[2:3], 1
	s_cbranch_scc0 .LBB13_81
; %bb.77:
	v_mov_b32_e32 v16, 0x200
	v_mov_b32_e32 v17, 0
	v_cmp_gt_u64_e32 vcc, s[2:3], v[16:17]
	v_mov_b32_e32 v16, 0
	v_mov_b32_e32 v17, 0x7ff80000
	s_cbranch_vccnz .LBB13_80
; %bb.78:
	v_mov_b32_e32 v18, 0
	s_mov_b64 s[0:1], 1
	v_mov_b32_e32 v19, 0x3ff00000
	s_waitcnt vmcnt(0)
	v_pk_mov_b32 v[16:17], v[4:5], v[4:5] op_sel:[0,1]
.LBB13_79:                              ; =>This Inner Loop Header: Depth=1
	v_cvt_f64_u32_e32 v[20:21], s1
	v_cvt_f64_u32_e32 v[22:23], s0
	v_ldexp_f64 v[20:21], v[20:21], 32
	s_add_u32 s0, s0, 1
	v_add_f64 v[20:21], v[20:21], v[22:23]
	s_addc_u32 s1, s1, 0
	v_mul_f64 v[20:21], v[18:19], v[20:21]
	s_cmp_lg_u64 s[2:3], s[0:1]
	v_pk_mov_b32 v[18:19], v[16:17], v[16:17] op_sel:[0,1]
	v_fma_f64 v[16:17], v[4:5], v[16:17], -v[20:21]
	s_cbranch_scc1 .LBB13_79
.LBB13_80:
	s_cbranch_execz .LBB13_82
	s_branch .LBB13_83
.LBB13_81:
                                        ; implicit-def: $vgpr16_vgpr17
.LBB13_82:
	s_waitcnt vmcnt(0)
	v_pk_mov_b32 v[16:17], v[4:5], v[4:5] op_sel:[0,1]
.LBB13_83:
	v_cndmask_b32_e64 v1, 0, 1, s[4:5]
	v_cmp_ne_u32_e64 s[0:1], 1, v1
	s_andn2_b64 vcc, exec, s[4:5]
	s_waitcnt vmcnt(0)
	v_pk_mov_b32 v[4:5], 0, 0
	s_cbranch_vccnz .LBB13_92
; %bb.84:
	v_cmp_lt_i64_e64 s[4:5], s[2:3], 1
	v_mov_b32_e32 v4, 0
	s_and_b64 vcc, exec, s[4:5]
	v_mov_b32_e32 v5, 0x3ff00000
	s_cbranch_vccnz .LBB13_92
; %bb.85:
	global_load_dwordx2 v[8:9], v8, s[10:11]
	s_cmp_lg_u64 s[2:3], 1
	s_cbranch_scc0 .LBB13_90
; %bb.86:
	v_mov_b32_e32 v4, 0x200
	v_mov_b32_e32 v5, 0
	v_cmp_gt_u64_e32 vcc, s[2:3], v[4:5]
	v_mov_b32_e32 v4, 0
	v_mov_b32_e32 v5, 0x7ff80000
	s_cbranch_vccnz .LBB13_89
; %bb.87:
	v_mov_b32_e32 v18, 0
	s_mov_b64 s[4:5], 1
	v_mov_b32_e32 v19, 0x3ff00000
	s_waitcnt vmcnt(0)
	v_pk_mov_b32 v[4:5], v[8:9], v[8:9] op_sel:[0,1]
.LBB13_88:                              ; =>This Inner Loop Header: Depth=1
	v_cvt_f64_u32_e32 v[20:21], s5
	v_cvt_f64_u32_e32 v[22:23], s4
	v_ldexp_f64 v[20:21], v[20:21], 32
	s_add_u32 s4, s4, 1
	v_add_f64 v[20:21], v[20:21], v[22:23]
	s_addc_u32 s5, s5, 0
	v_mul_f64 v[20:21], v[18:19], v[20:21]
	s_cmp_lg_u64 s[2:3], s[4:5]
	v_pk_mov_b32 v[18:19], v[4:5], v[4:5] op_sel:[0,1]
	v_fma_f64 v[4:5], v[8:9], v[4:5], -v[20:21]
	s_cbranch_scc1 .LBB13_88
.LBB13_89:
	s_cbranch_execz .LBB13_91
	s_branch .LBB13_92
.LBB13_90:
                                        ; implicit-def: $vgpr4_vgpr5
.LBB13_91:
	s_waitcnt vmcnt(0)
	v_pk_mov_b32 v[4:5], v[8:9], v[8:9] op_sel:[0,1]
.LBB13_92:
	s_and_b64 vcc, exec, s[0:1]
	s_waitcnt vmcnt(0)
	v_pk_mov_b32 v[8:9], 0, 0
	s_cbranch_vccnz .LBB13_101
; %bb.93:
	v_cmp_lt_i64_e64 s[4:5], s[2:3], 1
	v_mov_b32_e32 v8, 0
	s_and_b64 vcc, exec, s[4:5]
	v_mov_b32_e32 v9, 0x3ff00000
	s_cbranch_vccnz .LBB13_101
; %bb.94:
	global_load_dwordx2 v[10:11], v10, s[10:11]
	s_cmp_lg_u64 s[2:3], 1
	s_cbranch_scc0 .LBB13_99
; %bb.95:
	v_mov_b32_e32 v8, 0x200
	v_mov_b32_e32 v9, 0
	v_cmp_gt_u64_e32 vcc, s[2:3], v[8:9]
	v_mov_b32_e32 v8, 0
	v_mov_b32_e32 v9, 0x7ff80000
	s_cbranch_vccnz .LBB13_98
; %bb.96:
	v_mov_b32_e32 v18, 0
	s_mov_b64 s[4:5], 1
	v_mov_b32_e32 v19, 0x3ff00000
	s_waitcnt vmcnt(0)
	v_pk_mov_b32 v[8:9], v[10:11], v[10:11] op_sel:[0,1]
.LBB13_97:                              ; =>This Inner Loop Header: Depth=1
	v_cvt_f64_u32_e32 v[20:21], s5
	v_cvt_f64_u32_e32 v[22:23], s4
	v_ldexp_f64 v[20:21], v[20:21], 32
	s_add_u32 s4, s4, 1
	v_add_f64 v[20:21], v[20:21], v[22:23]
	s_addc_u32 s5, s5, 0
	v_mul_f64 v[20:21], v[18:19], v[20:21]
	s_cmp_lg_u64 s[2:3], s[4:5]
	v_pk_mov_b32 v[18:19], v[8:9], v[8:9] op_sel:[0,1]
	v_fma_f64 v[8:9], v[10:11], v[8:9], -v[20:21]
	s_cbranch_scc1 .LBB13_97
.LBB13_98:
	s_cbranch_execz .LBB13_100
	s_branch .LBB13_101
.LBB13_99:
                                        ; implicit-def: $vgpr8_vgpr9
.LBB13_100:
	s_waitcnt vmcnt(0)
	v_pk_mov_b32 v[8:9], v[10:11], v[10:11] op_sel:[0,1]
.LBB13_101:
	s_and_b64 vcc, exec, s[0:1]
	v_pk_mov_b32 v[18:19], 0, 0
	s_cbranch_vccnz .LBB13_110
; %bb.102:
	v_cmp_lt_i64_e64 s[0:1], s[2:3], 1
	v_mov_b32_e32 v18, 0
	s_and_b64 vcc, exec, s[0:1]
	v_mov_b32_e32 v19, 0x3ff00000
	s_cbranch_vccnz .LBB13_110
; %bb.103:
	global_load_dwordx2 v[10:11], v14, s[10:11]
	s_cmp_lg_u64 s[2:3], 1
	s_cbranch_scc0 .LBB13_108
; %bb.104:
	v_mov_b32_e32 v14, 0x200
	v_mov_b32_e32 v15, 0
	v_cmp_gt_u64_e32 vcc, s[2:3], v[14:15]
	v_mov_b32_e32 v18, 0
	v_mov_b32_e32 v19, 0x7ff80000
	s_cbranch_vccnz .LBB13_107
; %bb.105:
	v_mov_b32_e32 v14, 0
	s_mov_b64 s[0:1], 1
	v_mov_b32_e32 v15, 0x3ff00000
	s_waitcnt vmcnt(0)
	v_pk_mov_b32 v[18:19], v[10:11], v[10:11] op_sel:[0,1]
.LBB13_106:                             ; =>This Inner Loop Header: Depth=1
	v_cvt_f64_u32_e32 v[20:21], s1
	v_cvt_f64_u32_e32 v[22:23], s0
	v_ldexp_f64 v[20:21], v[20:21], 32
	s_add_u32 s0, s0, 1
	v_add_f64 v[20:21], v[20:21], v[22:23]
	s_addc_u32 s1, s1, 0
	v_mul_f64 v[20:21], v[14:15], v[20:21]
	s_cmp_lg_u64 s[2:3], s[0:1]
	v_pk_mov_b32 v[14:15], v[18:19], v[18:19] op_sel:[0,1]
	v_fma_f64 v[18:19], v[10:11], v[18:19], -v[20:21]
	s_cbranch_scc1 .LBB13_106
.LBB13_107:
	s_cbranch_execz .LBB13_109
	s_branch .LBB13_110
.LBB13_108:
                                        ; implicit-def: $vgpr18_vgpr19
.LBB13_109:
	s_waitcnt vmcnt(0)
	v_pk_mov_b32 v[18:19], v[10:11], v[10:11] op_sel:[0,1]
.LBB13_110:
	global_store_dwordx2 v0, v[16:17], s[8:9]
	global_store_dwordx2 v2, v[4:5], s[8:9]
	;; [unrolled: 1-line block ×4, first 2 shown]
	s_endpgm
.LBB13_111:
	s_mov_b32 s57, s56
	v_pk_mov_b32 v[0:1], s[56:57], s[56:57] op_sel:[0,1]
                                        ; implicit-def: $vgpr2
	v_mov_b32_e32 v3, v10
.LBB13_112:
	s_and_b32 s12, s65, 3
	s_cmp_eq_u32 s12, 0
	s_cbranch_scc1 .LBB13_116
; %bb.113:
	s_lshl_b32 s8, s56, 3
	s_add_u32 s8, s8, s4
	s_addc_u32 s9, s5, 0
	s_add_u32 s8, s8, 0xc4
	s_addc_u32 s9, s9, 0
	s_mul_i32 s10, s56, 12
	s_add_u32 s10, s4, s10
	s_addc_u32 s11, s5, 0
.LBB13_114:                             ; =>This Inner Loop Header: Depth=1
	s_load_dwordx2 s[14:15], s[10:11], 0x4
	s_load_dword s13, s[10:11], 0xc
	s_load_dwordx2 s[16:17], s[8:9], 0x0
	v_mov_b32_e32 v2, v1
	s_add_u32 s10, s10, 12
	s_waitcnt lgkmcnt(0)
	v_mul_hi_u32 v1, s15, v3
	v_add_u32_e32 v1, v3, v1
	v_lshrrev_b32_e32 v1, s13, v1
	s_addc_u32 s11, s11, 0
	v_mul_lo_u32 v4, v1, s14
	s_add_u32 s8, s8, 8
	v_sub_u32_e32 v6, v3, v4
	v_mov_b32_e32 v3, v1
	s_addc_u32 s9, s9, 0
	s_add_i32 s12, s12, -1
	v_mad_u64_u32 v[4:5], s[14:15], v6, s17, v[2:3]
	v_mad_u64_u32 v[0:1], s[14:15], v6, s16, v[0:1]
	s_cmp_lg_u32 s12, 0
	v_mov_b32_e32 v1, v4
	s_cbranch_scc1 .LBB13_114
; %bb.115:
	v_mov_b32_e32 v2, v1
.LBB13_116:
	s_cbranch_execnz .LBB13_119
.LBB13_117:
	v_mul_hi_u32 v0, s29, v10
	v_add_u32_e32 v0, v10, v0
	v_lshrrev_b32_e32 v1, s30, v0
	v_mul_lo_u32 v0, v1, s28
	v_sub_u32_e32 v0, v10, v0
	v_mul_lo_u32 v2, v0, s37
	s_andn2_b64 vcc, exec, s[48:49]
	v_mul_lo_u32 v0, v0, s36
	s_cbranch_vccnz .LBB13_119
; %bb.118:
	v_mul_hi_u32 v3, s44, v1
	v_add_u32_e32 v3, v1, v3
	v_lshrrev_b32_e32 v3, s45, v3
	v_mul_lo_u32 v3, v3, s31
	v_sub_u32_e32 v3, v1, v3
	v_mad_u64_u32 v[0:1], s[8:9], v3, s38, v[0:1]
	v_mad_u64_u32 v[2:3], s[8:9], v3, s39, v[2:3]
.LBB13_119:
	s_andn2_b64 vcc, exec, s[46:47]
	v_pk_mov_b32 v[4:5], 0, 0
	s_cbranch_vccnz .LBB13_144
; %bb.120:
	v_cmp_lt_i64_e64 s[8:9], s[34:35], 1
	v_mov_b32_e32 v4, 0
	s_and_b64 vcc, exec, s[8:9]
	v_mov_b32_e32 v5, 0x3ff00000
	s_cbranch_vccnz .LBB13_144
; %bb.121:
	global_load_dwordx2 v[2:3], v2, s[26:27]
	s_cmp_lg_u64 s[34:35], 1
	s_cbranch_scc0 .LBB13_141
; %bb.122:
	v_mov_b32_e32 v4, 0
	s_andn2_b64 vcc, exec, s[0:1]
	v_mov_b32_e32 v5, 0x7ff80000
	s_cbranch_vccnz .LBB13_125
; %bb.123:
	v_mov_b32_e32 v6, 0
	s_mov_b64 s[8:9], 1
	v_mov_b32_e32 v7, 0x3ff00000
	s_waitcnt vmcnt(0)
	v_pk_mov_b32 v[4:5], v[2:3], v[2:3] op_sel:[0,1]
.LBB13_124:                             ; =>This Inner Loop Header: Depth=1
	v_cvt_f64_u32_e32 v[8:9], s9
	v_cvt_f64_u32_e32 v[12:13], s8
	v_ldexp_f64 v[8:9], v[8:9], 32
	s_add_u32 s8, s8, 1
	v_add_f64 v[8:9], v[8:9], v[12:13]
	s_addc_u32 s9, s9, 0
	v_mul_f64 v[8:9], v[6:7], v[8:9]
	s_cmp_lg_u64 s[34:35], s[8:9]
	v_pk_mov_b32 v[6:7], v[4:5], v[4:5] op_sel:[0,1]
	v_fma_f64 v[4:5], v[2:3], v[4:5], -v[8:9]
	s_cbranch_scc1 .LBB13_124
.LBB13_125:
	s_mov_b64 s[8:9], 0
	s_branch .LBB13_142
.LBB13_126:
	s_mov_b32 s57, s56
	v_pk_mov_b32 v[0:1], s[56:57], s[56:57] op_sel:[0,1]
                                        ; implicit-def: $vgpr2
	v_mov_b32_e32 v3, v10
.LBB13_127:
	s_and_b32 s12, s65, 3
	s_cmp_eq_u32 s12, 0
	s_cbranch_scc1 .LBB13_131
; %bb.128:
	s_lshl_b32 s8, s56, 3
	s_add_u32 s8, s8, s4
	s_addc_u32 s9, s5, 0
	s_add_u32 s8, s8, 0xc4
	s_addc_u32 s9, s9, 0
	s_mul_i32 s10, s56, 12
	s_add_u32 s10, s4, s10
	s_addc_u32 s11, s5, 0
.LBB13_129:                             ; =>This Inner Loop Header: Depth=1
	s_load_dwordx2 s[14:15], s[10:11], 0x4
	s_load_dword s13, s[10:11], 0xc
	s_load_dwordx2 s[16:17], s[8:9], 0x0
	v_mov_b32_e32 v2, v1
	s_add_u32 s10, s10, 12
	s_waitcnt lgkmcnt(0)
	v_mul_hi_u32 v1, s15, v3
	v_add_u32_e32 v1, v3, v1
	v_lshrrev_b32_e32 v1, s13, v1
	s_addc_u32 s11, s11, 0
	v_mul_lo_u32 v4, v1, s14
	s_add_u32 s8, s8, 8
	v_sub_u32_e32 v6, v3, v4
	v_mov_b32_e32 v3, v1
	s_addc_u32 s9, s9, 0
	s_add_i32 s12, s12, -1
	v_mad_u64_u32 v[4:5], s[14:15], v6, s17, v[2:3]
	v_mad_u64_u32 v[0:1], s[14:15], v6, s16, v[0:1]
	s_cmp_lg_u32 s12, 0
	v_mov_b32_e32 v1, v4
	s_cbranch_scc1 .LBB13_129
; %bb.130:
	v_mov_b32_e32 v2, v1
.LBB13_131:
	s_cbranch_execnz .LBB13_134
.LBB13_132:
	v_mul_hi_u32 v0, s29, v10
	v_add_u32_e32 v0, v10, v0
	v_lshrrev_b32_e32 v1, s30, v0
	v_mul_lo_u32 v0, v1, s28
	v_sub_u32_e32 v0, v10, v0
	s_waitcnt vmcnt(1)
	v_mul_lo_u32 v2, v0, s37
	s_andn2_b64 vcc, exec, s[48:49]
	v_mul_lo_u32 v0, v0, s36
	s_cbranch_vccnz .LBB13_134
; %bb.133:
	v_mul_hi_u32 v3, s44, v1
	v_add_u32_e32 v3, v1, v3
	v_lshrrev_b32_e32 v3, s45, v3
	v_mul_lo_u32 v3, v3, s31
	v_sub_u32_e32 v3, v1, v3
	v_mad_u64_u32 v[0:1], s[8:9], v3, s38, v[0:1]
	v_mad_u64_u32 v[2:3], s[8:9], v3, s39, v[2:3]
.LBB13_134:
	s_andn2_b64 vcc, exec, s[46:47]
	v_pk_mov_b32 v[4:5], 0, 0
	s_cbranch_vccnz .LBB13_171
; %bb.135:
	v_cmp_lt_i64_e64 s[8:9], s[34:35], 1
	v_mov_b32_e32 v4, 0
	s_and_b64 vcc, exec, s[8:9]
	v_mov_b32_e32 v5, 0x3ff00000
	s_cbranch_vccnz .LBB13_171
; %bb.136:
	s_waitcnt vmcnt(1)
	global_load_dwordx2 v[2:3], v2, s[26:27]
	s_cmp_lg_u64 s[34:35], 1
	s_cbranch_scc0 .LBB13_168
; %bb.137:
	v_mov_b32_e32 v4, 0
	s_andn2_b64 vcc, exec, s[0:1]
	v_mov_b32_e32 v5, 0x7ff80000
	s_cbranch_vccnz .LBB13_140
; %bb.138:
	v_mov_b32_e32 v6, 0
	s_mov_b64 s[8:9], 1
	v_mov_b32_e32 v7, 0x3ff00000
	s_waitcnt vmcnt(0)
	v_pk_mov_b32 v[4:5], v[2:3], v[2:3] op_sel:[0,1]
.LBB13_139:                             ; =>This Inner Loop Header: Depth=1
	v_cvt_f64_u32_e32 v[8:9], s9
	v_cvt_f64_u32_e32 v[12:13], s8
	v_ldexp_f64 v[8:9], v[8:9], 32
	s_add_u32 s8, s8, 1
	v_add_f64 v[8:9], v[8:9], v[12:13]
	s_addc_u32 s9, s9, 0
	v_mul_f64 v[8:9], v[6:7], v[8:9]
	s_cmp_lg_u64 s[34:35], s[8:9]
	v_pk_mov_b32 v[6:7], v[4:5], v[4:5] op_sel:[0,1]
	v_fma_f64 v[4:5], v[2:3], v[4:5], -v[8:9]
	s_cbranch_scc1 .LBB13_139
.LBB13_140:
	s_mov_b64 s[8:9], 0
	s_branch .LBB13_169
.LBB13_141:
	s_mov_b64 s[8:9], -1
                                        ; implicit-def: $vgpr4_vgpr5
.LBB13_142:
	s_andn2_b64 vcc, exec, s[8:9]
	s_cbranch_vccnz .LBB13_144
; %bb.143:
	s_waitcnt vmcnt(0)
	v_pk_mov_b32 v[4:5], v[2:3], v[2:3] op_sel:[0,1]
.LBB13_144:
	v_add_u32_e32 v10, 0x80, v10
	global_store_dwordx2 v0, v[4:5], s[24:25]
	s_or_b64 exec, exec, s[54:55]
	v_cmp_gt_i32_e32 vcc, s63, v10
	s_and_saveexec_b64 s[54:55], vcc
	s_cbranch_execnz .LBB13_17
.LBB13_145:
	s_or_b64 exec, exec, s[54:55]
	v_cmp_gt_i32_e32 vcc, s63, v10
	s_and_saveexec_b64 s[54:55], vcc
	s_cbranch_execz .LBB13_172
.LBB13_146:
	s_andn2_b64 vcc, exec, s[2:3]
	s_cbranch_vccnz .LBB13_152
; %bb.147:
	s_mov_b32 s56, 0
	s_andn2_b64 vcc, exec, s[52:53]
	s_waitcnt vmcnt(1)
	v_mov_b32_e32 v2, 0
	v_mov_b32_e32 v0, 0
	s_cbranch_vccnz .LBB13_158
; %bb.148:
	s_add_i32 s65, s64, 1
	s_cmp_eq_u32 s62, 2
	s_cbranch_scc1 .LBB13_153
; %bb.149:
	s_and_b32 s56, s65, 28
	s_mov_b32 s57, 0
	v_mov_b32_e32 v0, 0
	s_mov_b64 s[58:59], s[4:5]
	s_mov_b64 s[60:61], s[50:51]
	v_mov_b32_e32 v3, v10
	v_mov_b32_e32 v2, 0
.LBB13_150:                             ; =>This Inner Loop Header: Depth=1
	s_load_dwordx8 s[16:23], s[58:59], 0x4
	s_load_dwordx4 s[40:43], s[58:59], 0x24
	s_load_dwordx8 s[8:15], s[60:61], 0x0
	s_add_u32 s58, s58, 48
	s_addc_u32 s59, s59, 0
	s_waitcnt lgkmcnt(0)
	v_mul_hi_u32 v1, s17, v3
	v_add_u32_e32 v1, v3, v1
	v_lshrrev_b32_e32 v1, s18, v1
	v_mul_lo_u32 v4, v1, s16
	v_mul_hi_u32 v5, s20, v1
	v_sub_u32_e32 v3, v3, v4
	v_add_u32_e32 v4, v1, v5
	v_lshrrev_b32_e32 v4, s21, v4
	v_mul_lo_u32 v6, v4, s19
	v_mul_hi_u32 v7, s23, v4
	v_sub_u32_e32 v1, v1, v6
	v_add_u32_e32 v6, v4, v7
	v_mul_lo_u32 v5, v3, s9
	v_mul_lo_u32 v3, v3, s8
	;; [unrolled: 1-line block ×4, first 2 shown]
	v_lshrrev_b32_e32 v6, s40, v6
	v_add3_u32 v0, v3, v0, v1
	v_mul_hi_u32 v3, s42, v6
	v_add_u32_e32 v3, v6, v3
	v_lshrrev_b32_e32 v3, s43, v3
	s_add_i32 s57, s57, 4
	v_add3_u32 v1, v5, v2, v7
	v_mul_lo_u32 v2, v6, s22
	v_mul_lo_u32 v5, v3, s41
	s_add_u32 s60, s60, 32
	v_sub_u32_e32 v2, v4, v2
	v_sub_u32_e32 v5, v6, v5
	s_addc_u32 s61, s61, 0
	v_mul_lo_u32 v4, v2, s12
	v_mul_lo_u32 v2, v2, s13
	;; [unrolled: 1-line block ×4, first 2 shown]
	s_cmp_eq_u32 s56, s57
	v_add3_u32 v2, v2, v1, v5
	v_add3_u32 v0, v4, v0, v6
	s_cbranch_scc0 .LBB13_150
; %bb.151:
	v_mov_b32_e32 v1, v2
	s_branch .LBB13_154
.LBB13_152:
                                        ; implicit-def: $vgpr2
                                        ; implicit-def: $vgpr0
	s_branch .LBB13_159
.LBB13_153:
	s_mov_b32 s57, s56
	v_pk_mov_b32 v[0:1], s[56:57], s[56:57] op_sel:[0,1]
                                        ; implicit-def: $vgpr2
	v_mov_b32_e32 v3, v10
.LBB13_154:
	s_and_b32 s12, s65, 3
	s_cmp_eq_u32 s12, 0
	s_cbranch_scc1 .LBB13_158
; %bb.155:
	s_lshl_b32 s8, s56, 3
	s_add_u32 s8, s8, s4
	s_addc_u32 s9, s5, 0
	s_add_u32 s8, s8, 0xc4
	s_addc_u32 s9, s9, 0
	s_mul_i32 s10, s56, 12
	s_add_u32 s10, s4, s10
	s_addc_u32 s11, s5, 0
.LBB13_156:                             ; =>This Inner Loop Header: Depth=1
	s_load_dwordx2 s[14:15], s[10:11], 0x4
	s_load_dword s13, s[10:11], 0xc
	s_load_dwordx2 s[16:17], s[8:9], 0x0
	v_mov_b32_e32 v2, v1
	s_add_u32 s10, s10, 12
	s_waitcnt lgkmcnt(0)
	v_mul_hi_u32 v1, s15, v3
	v_add_u32_e32 v1, v3, v1
	v_lshrrev_b32_e32 v1, s13, v1
	s_addc_u32 s11, s11, 0
	v_mul_lo_u32 v4, v1, s14
	s_add_u32 s8, s8, 8
	v_sub_u32_e32 v6, v3, v4
	v_mov_b32_e32 v3, v1
	s_addc_u32 s9, s9, 0
	s_add_i32 s12, s12, -1
	v_mad_u64_u32 v[4:5], s[14:15], v6, s17, v[2:3]
	v_mad_u64_u32 v[0:1], s[14:15], v6, s16, v[0:1]
	s_cmp_lg_u32 s12, 0
	v_mov_b32_e32 v1, v4
	s_cbranch_scc1 .LBB13_156
; %bb.157:
	v_mov_b32_e32 v2, v1
.LBB13_158:
	s_cbranch_execnz .LBB13_161
.LBB13_159:
	v_mul_hi_u32 v0, s29, v10
	v_add_u32_e32 v0, v10, v0
	v_lshrrev_b32_e32 v1, s30, v0
	v_mul_lo_u32 v0, v1, s28
	v_sub_u32_e32 v0, v10, v0
	s_waitcnt vmcnt(1)
	v_mul_lo_u32 v2, v0, s37
	s_andn2_b64 vcc, exec, s[48:49]
	v_mul_lo_u32 v0, v0, s36
	s_cbranch_vccnz .LBB13_161
; %bb.160:
	v_mul_hi_u32 v3, s44, v1
	v_add_u32_e32 v3, v1, v3
	v_lshrrev_b32_e32 v3, s45, v3
	v_mul_lo_u32 v3, v3, s31
	v_sub_u32_e32 v3, v1, v3
	v_mad_u64_u32 v[0:1], s[8:9], v3, s38, v[0:1]
	v_mad_u64_u32 v[2:3], s[8:9], v3, s39, v[2:3]
.LBB13_161:
	s_andn2_b64 vcc, exec, s[46:47]
	v_pk_mov_b32 v[4:5], 0, 0
	s_cbranch_vccnz .LBB13_178
; %bb.162:
	v_cmp_lt_i64_e64 s[8:9], s[34:35], 1
	v_mov_b32_e32 v4, 0
	s_and_b64 vcc, exec, s[8:9]
	v_mov_b32_e32 v5, 0x3ff00000
	s_cbranch_vccnz .LBB13_178
; %bb.163:
	s_waitcnt vmcnt(1)
	global_load_dwordx2 v[2:3], v2, s[26:27]
	s_cmp_lg_u64 s[34:35], 1
	s_cbranch_scc0 .LBB13_175
; %bb.164:
	v_mov_b32_e32 v4, 0
	s_andn2_b64 vcc, exec, s[0:1]
	v_mov_b32_e32 v5, 0x7ff80000
	s_cbranch_vccnz .LBB13_167
; %bb.165:
	v_mov_b32_e32 v6, 0
	s_mov_b64 s[8:9], 1
	v_mov_b32_e32 v7, 0x3ff00000
	s_waitcnt vmcnt(0)
	v_pk_mov_b32 v[4:5], v[2:3], v[2:3] op_sel:[0,1]
.LBB13_166:                             ; =>This Inner Loop Header: Depth=1
	v_cvt_f64_u32_e32 v[8:9], s9
	v_cvt_f64_u32_e32 v[12:13], s8
	v_ldexp_f64 v[8:9], v[8:9], 32
	s_add_u32 s8, s8, 1
	v_add_f64 v[8:9], v[8:9], v[12:13]
	s_addc_u32 s9, s9, 0
	v_mul_f64 v[8:9], v[6:7], v[8:9]
	s_cmp_lg_u64 s[34:35], s[8:9]
	v_pk_mov_b32 v[6:7], v[4:5], v[4:5] op_sel:[0,1]
	v_fma_f64 v[4:5], v[2:3], v[4:5], -v[8:9]
	s_cbranch_scc1 .LBB13_166
.LBB13_167:
	s_mov_b64 s[8:9], 0
	s_branch .LBB13_176
.LBB13_168:
	s_mov_b64 s[8:9], -1
                                        ; implicit-def: $vgpr4_vgpr5
.LBB13_169:
	s_andn2_b64 vcc, exec, s[8:9]
	s_cbranch_vccnz .LBB13_171
; %bb.170:
	s_waitcnt vmcnt(0)
	v_pk_mov_b32 v[4:5], v[2:3], v[2:3] op_sel:[0,1]
.LBB13_171:
	v_add_u32_e32 v10, 0x80, v10
	global_store_dwordx2 v0, v[4:5], s[24:25]
	s_or_b64 exec, exec, s[54:55]
	v_cmp_gt_i32_e32 vcc, s63, v10
	s_and_saveexec_b64 s[54:55], vcc
	s_cbranch_execnz .LBB13_146
.LBB13_172:
	s_or_b64 exec, exec, s[54:55]
	v_cmp_gt_i32_e32 vcc, s63, v10
	s_and_saveexec_b64 s[54:55], vcc
	s_cbranch_execnz .LBB13_179
.LBB13_173:
	s_or_b64 exec, exec, s[54:55]
                                        ; implicit-def: $vgpr15
                                        ; implicit-def: $vgpr10
	s_andn2_saveexec_b64 s[0:1], s[6:7]
	s_cbranch_execnz .LBB13_9
.LBB13_174:
	s_endpgm
.LBB13_175:
	s_mov_b64 s[8:9], -1
                                        ; implicit-def: $vgpr4_vgpr5
.LBB13_176:
	s_andn2_b64 vcc, exec, s[8:9]
	s_cbranch_vccnz .LBB13_178
; %bb.177:
	s_waitcnt vmcnt(0)
	v_pk_mov_b32 v[4:5], v[2:3], v[2:3] op_sel:[0,1]
.LBB13_178:
	v_add_u32_e32 v10, 0x80, v10
	global_store_dwordx2 v0, v[4:5], s[24:25]
	s_or_b64 exec, exec, s[54:55]
	v_cmp_gt_i32_e32 vcc, s63, v10
	s_and_saveexec_b64 s[54:55], vcc
	s_cbranch_execz .LBB13_173
.LBB13_179:
	s_andn2_b64 vcc, exec, s[2:3]
	s_cbranch_vccnz .LBB13_185
; %bb.180:
	s_mov_b32 s56, 0
	s_andn2_b64 vcc, exec, s[52:53]
	s_waitcnt vmcnt(1)
	v_mov_b32_e32 v2, 0
	v_mov_b32_e32 v0, 0
	s_cbranch_vccnz .LBB13_191
; %bb.181:
	s_add_i32 s64, s64, 1
	s_cmp_eq_u32 s62, 2
	s_cbranch_scc1 .LBB13_186
; %bb.182:
	s_and_b32 s56, s64, 28
	s_mov_b32 s57, 0
	v_mov_b32_e32 v0, 0
	s_mov_b64 s[52:53], s[4:5]
	v_mov_b32_e32 v3, v10
	v_mov_b32_e32 v2, 0
.LBB13_183:                             ; =>This Inner Loop Header: Depth=1
	s_load_dwordx8 s[16:23], s[52:53], 0x4
	s_load_dwordx4 s[40:43], s[52:53], 0x24
	s_load_dwordx8 s[8:15], s[50:51], 0x0
	s_add_u32 s52, s52, 48
	s_addc_u32 s53, s53, 0
	s_waitcnt lgkmcnt(0)
	v_mul_hi_u32 v1, s17, v3
	v_add_u32_e32 v1, v3, v1
	v_lshrrev_b32_e32 v1, s18, v1
	v_mul_lo_u32 v4, v1, s16
	v_mul_hi_u32 v5, s20, v1
	v_sub_u32_e32 v3, v3, v4
	v_add_u32_e32 v4, v1, v5
	v_lshrrev_b32_e32 v4, s21, v4
	v_mul_lo_u32 v6, v4, s19
	v_mul_hi_u32 v7, s23, v4
	v_sub_u32_e32 v1, v1, v6
	v_add_u32_e32 v6, v4, v7
	v_mul_lo_u32 v5, v3, s9
	v_mul_lo_u32 v3, v3, s8
	;; [unrolled: 1-line block ×4, first 2 shown]
	v_lshrrev_b32_e32 v6, s40, v6
	v_add3_u32 v0, v3, v0, v1
	v_mul_hi_u32 v3, s42, v6
	v_add_u32_e32 v3, v6, v3
	v_lshrrev_b32_e32 v3, s43, v3
	s_add_i32 s57, s57, 4
	v_add3_u32 v1, v5, v2, v7
	v_mul_lo_u32 v2, v6, s22
	v_mul_lo_u32 v5, v3, s41
	s_add_u32 s50, s50, 32
	v_sub_u32_e32 v2, v4, v2
	v_sub_u32_e32 v5, v6, v5
	s_addc_u32 s51, s51, 0
	v_mul_lo_u32 v4, v2, s12
	v_mul_lo_u32 v2, v2, s13
	;; [unrolled: 1-line block ×4, first 2 shown]
	s_cmp_eq_u32 s56, s57
	v_add3_u32 v2, v2, v1, v5
	v_add3_u32 v0, v4, v0, v6
	s_cbranch_scc0 .LBB13_183
; %bb.184:
	v_mov_b32_e32 v1, v2
	s_branch .LBB13_187
.LBB13_185:
                                        ; implicit-def: $vgpr2
                                        ; implicit-def: $vgpr0
	s_branch .LBB13_192
.LBB13_186:
	s_mov_b32 s57, s56
	v_pk_mov_b32 v[0:1], s[56:57], s[56:57] op_sel:[0,1]
                                        ; implicit-def: $vgpr2
	v_mov_b32_e32 v3, v10
.LBB13_187:
	s_and_b32 s12, s64, 3
	s_cmp_eq_u32 s12, 0
	s_cbranch_scc1 .LBB13_191
; %bb.188:
	s_lshl_b32 s8, s56, 3
	s_add_u32 s8, s8, s4
	s_addc_u32 s9, s5, 0
	s_add_u32 s8, s8, 0xc4
	s_addc_u32 s9, s9, 0
	s_mul_i32 s10, s56, 12
	s_add_u32 s10, s4, s10
	s_addc_u32 s11, s5, 0
.LBB13_189:                             ; =>This Inner Loop Header: Depth=1
	s_load_dwordx2 s[14:15], s[10:11], 0x4
	s_load_dword s13, s[10:11], 0xc
	s_load_dwordx2 s[16:17], s[8:9], 0x0
	v_mov_b32_e32 v2, v1
	s_add_u32 s10, s10, 12
	s_waitcnt lgkmcnt(0)
	v_mul_hi_u32 v1, s15, v3
	v_add_u32_e32 v1, v3, v1
	v_lshrrev_b32_e32 v1, s13, v1
	s_addc_u32 s11, s11, 0
	v_mul_lo_u32 v4, v1, s14
	s_add_u32 s8, s8, 8
	v_sub_u32_e32 v6, v3, v4
	v_mov_b32_e32 v3, v1
	s_addc_u32 s9, s9, 0
	s_add_i32 s12, s12, -1
	v_mad_u64_u32 v[4:5], s[14:15], v6, s17, v[2:3]
	v_mad_u64_u32 v[0:1], s[14:15], v6, s16, v[0:1]
	s_cmp_lg_u32 s12, 0
	v_mov_b32_e32 v1, v4
	s_cbranch_scc1 .LBB13_189
; %bb.190:
	v_mov_b32_e32 v2, v1
.LBB13_191:
	s_cbranch_execnz .LBB13_194
.LBB13_192:
	v_mul_hi_u32 v0, s29, v10
	v_add_u32_e32 v0, v10, v0
	v_lshrrev_b32_e32 v1, s30, v0
	v_mul_lo_u32 v0, v1, s28
	v_sub_u32_e32 v0, v10, v0
	s_waitcnt vmcnt(1)
	v_mul_lo_u32 v2, v0, s37
	s_andn2_b64 vcc, exec, s[48:49]
	v_mul_lo_u32 v0, v0, s36
	s_cbranch_vccnz .LBB13_194
; %bb.193:
	v_mul_hi_u32 v3, s44, v1
	v_add_u32_e32 v3, v1, v3
	v_lshrrev_b32_e32 v3, s45, v3
	v_mul_lo_u32 v3, v3, s31
	v_sub_u32_e32 v3, v1, v3
	v_mad_u64_u32 v[0:1], s[8:9], v3, s38, v[0:1]
	v_mad_u64_u32 v[2:3], s[8:9], v3, s39, v[2:3]
.LBB13_194:
	s_andn2_b64 vcc, exec, s[46:47]
	v_pk_mov_b32 v[4:5], 0, 0
	s_cbranch_vccnz .LBB13_204
; %bb.195:
	v_cmp_lt_i64_e64 s[8:9], s[34:35], 1
	v_mov_b32_e32 v4, 0
	s_and_b64 vcc, exec, s[8:9]
	v_mov_b32_e32 v5, 0x3ff00000
	s_cbranch_vccnz .LBB13_204
; %bb.196:
	s_waitcnt vmcnt(1)
	global_load_dwordx2 v[2:3], v2, s[26:27]
	s_cmp_lg_u64 s[34:35], 1
	s_cbranch_scc0 .LBB13_201
; %bb.197:
	v_mov_b32_e32 v4, 0
	s_andn2_b64 vcc, exec, s[0:1]
	v_mov_b32_e32 v5, 0x7ff80000
	s_cbranch_vccnz .LBB13_200
; %bb.198:
	v_mov_b32_e32 v6, 0
	s_mov_b64 s[0:1], 1
	v_mov_b32_e32 v7, 0x3ff00000
	s_waitcnt vmcnt(0)
	v_pk_mov_b32 v[4:5], v[2:3], v[2:3] op_sel:[0,1]
.LBB13_199:                             ; =>This Inner Loop Header: Depth=1
	v_cvt_f64_u32_e32 v[8:9], s1
	v_cvt_f64_u32_e32 v[10:11], s0
	v_ldexp_f64 v[8:9], v[8:9], 32
	s_add_u32 s0, s0, 1
	v_add_f64 v[8:9], v[8:9], v[10:11]
	s_addc_u32 s1, s1, 0
	v_mul_f64 v[8:9], v[6:7], v[8:9]
	s_cmp_lg_u64 s[34:35], s[0:1]
	v_pk_mov_b32 v[6:7], v[4:5], v[4:5] op_sel:[0,1]
	v_fma_f64 v[4:5], v[2:3], v[4:5], -v[8:9]
	s_cbranch_scc1 .LBB13_199
.LBB13_200:
	s_mov_b64 s[0:1], 0
	s_branch .LBB13_202
.LBB13_201:
	s_mov_b64 s[0:1], -1
                                        ; implicit-def: $vgpr4_vgpr5
.LBB13_202:
	s_andn2_b64 vcc, exec, s[0:1]
	s_cbranch_vccnz .LBB13_204
; %bb.203:
	s_waitcnt vmcnt(0)
	v_pk_mov_b32 v[4:5], v[2:3], v[2:3] op_sel:[0,1]
.LBB13_204:
	global_store_dwordx2 v0, v[4:5], s[24:25]
	s_or_b64 exec, exec, s[54:55]
                                        ; implicit-def: $vgpr15
                                        ; implicit-def: $vgpr10
	s_andn2_saveexec_b64 s[0:1], s[6:7]
	s_cbranch_execz .LBB13_174
	s_branch .LBB13_9
	.section	.rodata,"a",@progbits
	.p2align	6, 0x0
	.amdhsa_kernel _ZN2at6native32elementwise_kernel_manual_unrollILi128ELi4EZNS0_22gpu_kernel_impl_nocastINS0_13BUnaryFunctorIdddZZZNS0_12_GLOBAL__N_133hermite_polynomial_he_kernel_cudaERNS_18TensorIteratorBaseEENKUlvE_clEvENKUlvE_clEvEUlddE_EEEEvS6_RKT_EUlibE_EEviT1_
		.amdhsa_group_segment_fixed_size 0
		.amdhsa_private_segment_fixed_size 0
		.amdhsa_kernarg_size 368
		.amdhsa_user_sgpr_count 6
		.amdhsa_user_sgpr_private_segment_buffer 1
		.amdhsa_user_sgpr_dispatch_ptr 0
		.amdhsa_user_sgpr_queue_ptr 0
		.amdhsa_user_sgpr_kernarg_segment_ptr 1
		.amdhsa_user_sgpr_dispatch_id 0
		.amdhsa_user_sgpr_flat_scratch_init 0
		.amdhsa_user_sgpr_kernarg_preload_length 0
		.amdhsa_user_sgpr_kernarg_preload_offset 0
		.amdhsa_user_sgpr_private_segment_size 0
		.amdhsa_uses_dynamic_stack 0
		.amdhsa_system_sgpr_private_segment_wavefront_offset 0
		.amdhsa_system_sgpr_workgroup_id_x 1
		.amdhsa_system_sgpr_workgroup_id_y 0
		.amdhsa_system_sgpr_workgroup_id_z 0
		.amdhsa_system_sgpr_workgroup_info 0
		.amdhsa_system_vgpr_workitem_id 0
		.amdhsa_next_free_vgpr 24
		.amdhsa_next_free_sgpr 66
		.amdhsa_accum_offset 24
		.amdhsa_reserve_vcc 1
		.amdhsa_reserve_flat_scratch 0
		.amdhsa_float_round_mode_32 0
		.amdhsa_float_round_mode_16_64 0
		.amdhsa_float_denorm_mode_32 3
		.amdhsa_float_denorm_mode_16_64 3
		.amdhsa_dx10_clamp 1
		.amdhsa_ieee_mode 1
		.amdhsa_fp16_overflow 0
		.amdhsa_tg_split 0
		.amdhsa_exception_fp_ieee_invalid_op 0
		.amdhsa_exception_fp_denorm_src 0
		.amdhsa_exception_fp_ieee_div_zero 0
		.amdhsa_exception_fp_ieee_overflow 0
		.amdhsa_exception_fp_ieee_underflow 0
		.amdhsa_exception_fp_ieee_inexact 0
		.amdhsa_exception_int_div_zero 0
	.end_amdhsa_kernel
	.section	.text._ZN2at6native32elementwise_kernel_manual_unrollILi128ELi4EZNS0_22gpu_kernel_impl_nocastINS0_13BUnaryFunctorIdddZZZNS0_12_GLOBAL__N_133hermite_polynomial_he_kernel_cudaERNS_18TensorIteratorBaseEENKUlvE_clEvENKUlvE_clEvEUlddE_EEEEvS6_RKT_EUlibE_EEviT1_,"axG",@progbits,_ZN2at6native32elementwise_kernel_manual_unrollILi128ELi4EZNS0_22gpu_kernel_impl_nocastINS0_13BUnaryFunctorIdddZZZNS0_12_GLOBAL__N_133hermite_polynomial_he_kernel_cudaERNS_18TensorIteratorBaseEENKUlvE_clEvENKUlvE_clEvEUlddE_EEEEvS6_RKT_EUlibE_EEviT1_,comdat
.Lfunc_end13:
	.size	_ZN2at6native32elementwise_kernel_manual_unrollILi128ELi4EZNS0_22gpu_kernel_impl_nocastINS0_13BUnaryFunctorIdddZZZNS0_12_GLOBAL__N_133hermite_polynomial_he_kernel_cudaERNS_18TensorIteratorBaseEENKUlvE_clEvENKUlvE_clEvEUlddE_EEEEvS6_RKT_EUlibE_EEviT1_, .Lfunc_end13-_ZN2at6native32elementwise_kernel_manual_unrollILi128ELi4EZNS0_22gpu_kernel_impl_nocastINS0_13BUnaryFunctorIdddZZZNS0_12_GLOBAL__N_133hermite_polynomial_he_kernel_cudaERNS_18TensorIteratorBaseEENKUlvE_clEvENKUlvE_clEvEUlddE_EEEEvS6_RKT_EUlibE_EEviT1_
                                        ; -- End function
	.section	.AMDGPU.csdata,"",@progbits
; Kernel info:
; codeLenInByte = 7560
; NumSgprs: 70
; NumVgprs: 24
; NumAgprs: 0
; TotalNumVgprs: 24
; ScratchSize: 0
; MemoryBound: 0
; FloatMode: 240
; IeeeMode: 1
; LDSByteSize: 0 bytes/workgroup (compile time only)
; SGPRBlocks: 8
; VGPRBlocks: 2
; NumSGPRsForWavesPerEU: 70
; NumVGPRsForWavesPerEU: 24
; AccumOffset: 24
; Occupancy: 8
; WaveLimiterHint : 1
; COMPUTE_PGM_RSRC2:SCRATCH_EN: 0
; COMPUTE_PGM_RSRC2:USER_SGPR: 6
; COMPUTE_PGM_RSRC2:TRAP_HANDLER: 0
; COMPUTE_PGM_RSRC2:TGID_X_EN: 1
; COMPUTE_PGM_RSRC2:TGID_Y_EN: 0
; COMPUTE_PGM_RSRC2:TGID_Z_EN: 0
; COMPUTE_PGM_RSRC2:TIDIG_COMP_CNT: 0
; COMPUTE_PGM_RSRC3_GFX90A:ACCUM_OFFSET: 5
; COMPUTE_PGM_RSRC3_GFX90A:TG_SPLIT: 0
	.section	.text._ZN2at6native32elementwise_kernel_manual_unrollILi128ELi4EZNS0_15gpu_kernel_implINS0_13BUnaryFunctorIdddZZZNS0_12_GLOBAL__N_133hermite_polynomial_he_kernel_cudaERNS_18TensorIteratorBaseEENKUlvE_clEvENKUlvE_clEvEUlddE_EEEEvS6_RKT_EUlibE_EEviT1_,"axG",@progbits,_ZN2at6native32elementwise_kernel_manual_unrollILi128ELi4EZNS0_15gpu_kernel_implINS0_13BUnaryFunctorIdddZZZNS0_12_GLOBAL__N_133hermite_polynomial_he_kernel_cudaERNS_18TensorIteratorBaseEENKUlvE_clEvENKUlvE_clEvEUlddE_EEEEvS6_RKT_EUlibE_EEviT1_,comdat
	.globl	_ZN2at6native32elementwise_kernel_manual_unrollILi128ELi4EZNS0_15gpu_kernel_implINS0_13BUnaryFunctorIdddZZZNS0_12_GLOBAL__N_133hermite_polynomial_he_kernel_cudaERNS_18TensorIteratorBaseEENKUlvE_clEvENKUlvE_clEvEUlddE_EEEEvS6_RKT_EUlibE_EEviT1_ ; -- Begin function _ZN2at6native32elementwise_kernel_manual_unrollILi128ELi4EZNS0_15gpu_kernel_implINS0_13BUnaryFunctorIdddZZZNS0_12_GLOBAL__N_133hermite_polynomial_he_kernel_cudaERNS_18TensorIteratorBaseEENKUlvE_clEvENKUlvE_clEvEUlddE_EEEEvS6_RKT_EUlibE_EEviT1_
	.p2align	8
	.type	_ZN2at6native32elementwise_kernel_manual_unrollILi128ELi4EZNS0_15gpu_kernel_implINS0_13BUnaryFunctorIdddZZZNS0_12_GLOBAL__N_133hermite_polynomial_he_kernel_cudaERNS_18TensorIteratorBaseEENKUlvE_clEvENKUlvE_clEvEUlddE_EEEEvS6_RKT_EUlibE_EEviT1_,@function
_ZN2at6native32elementwise_kernel_manual_unrollILi128ELi4EZNS0_15gpu_kernel_implINS0_13BUnaryFunctorIdddZZZNS0_12_GLOBAL__N_133hermite_polynomial_he_kernel_cudaERNS_18TensorIteratorBaseEENKUlvE_clEvENKUlvE_clEvEUlddE_EEEEvS6_RKT_EUlibE_EEviT1_: ; @_ZN2at6native32elementwise_kernel_manual_unrollILi128ELi4EZNS0_15gpu_kernel_implINS0_13BUnaryFunctorIdddZZZNS0_12_GLOBAL__N_133hermite_polynomial_he_kernel_cudaERNS_18TensorIteratorBaseEENKUlvE_clEvENKUlvE_clEvEUlddE_EEEEvS6_RKT_EUlibE_EEviT1_
; %bb.0:
	s_load_dword s33, s[4:5], 0x30
	s_load_dwordx2 s[12:13], s[4:5], 0x18
	s_load_dwordx2 s[14:15], s[4:5], 0x28
	s_load_dword s46, s[4:5], 0x0
	s_load_dwordx4 s[8:11], s[4:5], 0x8
	v_lshl_or_b32 v12, s6, 9, v0
	v_or_b32_e32 v0, 0x180, v12
	s_waitcnt lgkmcnt(0)
	v_lshrrev_b16_e64 v13, 8, s33
	v_cmp_le_i32_e32 vcc, s46, v0
	s_mov_b64 s[4:5], 0
	s_mov_b64 s[16:17], 0
	s_and_saveexec_b64 s[0:1], vcc
	s_xor_b64 s[6:7], exec, s[0:1]
	s_cbranch_execz .LBB14_1067
; %bb.1:
	v_trunc_f64_e32 v[0:1], s[14:15]
	s_movk_i32 s0, 0xffe0
	v_ldexp_f64 v[2:3], v[0:1], s0
	v_floor_f64_e32 v[2:3], v[2:3]
	v_fmac_f64_e32 v[0:1], 0xc1f00000, v[2:3]
	v_cvt_u32_f64_e32 v0, v[0:1]
	v_cvt_i32_f64_e32 v4, v[2:3]
	v_readfirstlane_b32 s16, v0
	v_mov_b32_e32 v0, 0x201
	v_readfirstlane_b32 s17, v4
	v_mov_b32_e32 v1, 0
	s_mov_b64 s[2:3], -1
	v_cmp_gt_i64_e64 s[18:19], s[16:17], -1
	v_cmp_lt_u64_e64 s[0:1], s[16:17], v[0:1]
	v_cmp_gt_i32_e32 vcc, s46, v12
	s_mov_b64 s[28:29], 0
	s_mov_b64 s[22:23], 0
	;; [unrolled: 1-line block ×3, first 2 shown]
	s_and_saveexec_b64 s[24:25], vcc
	s_cbranch_execz .LBB14_262
; %bb.2:
	v_mul_lo_u32 v0, v12, s13
	v_ashrrev_i32_e32 v1, 31, v0
	v_mov_b32_e32 v2, s11
	v_add_co_u32_e32 v0, vcc, s10, v0
	v_addc_co_u32_e32 v1, vcc, v2, v1, vcc
	v_cmp_gt_i16_e32 vcc, 11, v13
	s_cbranch_vccnz .LBB14_9
; %bb.3:
	v_cmp_lt_i16_e32 vcc, 25, v13
	s_cbranch_vccz .LBB14_18
; %bb.4:
	v_cmp_lt_i16_e32 vcc, 28, v13
	s_cbranch_vccz .LBB14_19
	;; [unrolled: 3-line block ×4, first 2 shown]
; %bb.7:
	v_cmp_eq_u16_e32 vcc, 46, v13
	s_cbranch_vccz .LBB14_38
; %bb.8:
	global_load_dword v2, v[0:1], off
	s_waitcnt vmcnt(0)
	v_lshlrev_b32_e32 v2, 16, v2
	v_cvt_f64_f32_e32 v[2:3], v2
	s_branch .LBB14_40
.LBB14_9:
                                        ; implicit-def: $vgpr2_vgpr3
	s_mov_b64 s[2:3], 0
	s_cbranch_execnz .LBB14_213
.LBB14_10:
	s_andn2_b64 vcc, exec, s[2:3]
	s_cbranch_vccnz .LBB14_260
.LBB14_11:
	s_andn2_b64 vcc, exec, s[18:19]
	v_pk_mov_b32 v[0:1], 0, 0
	s_cbranch_vccnz .LBB14_24
; %bb.12:
	v_cmp_lt_i64_e64 s[2:3], s[16:17], 1
	v_mov_b32_e32 v0, 0
	s_and_b64 vcc, exec, s[2:3]
	v_mov_b32_e32 v1, 0x3ff00000
	s_cbranch_vccnz .LBB14_24
; %bb.13:
	s_cmp_lg_u64 s[16:17], 1
	s_cbranch_scc0 .LBB14_21
; %bb.14:
	v_mov_b32_e32 v0, 0
	s_andn2_b64 vcc, exec, s[0:1]
	v_mov_b32_e32 v1, 0x7ff80000
	s_cbranch_vccnz .LBB14_17
; %bb.15:
	v_mov_b32_e32 v4, 0
	s_mov_b64 s[2:3], 1
	v_mov_b32_e32 v5, 0x3ff00000
	s_waitcnt vmcnt(0)
	v_pk_mov_b32 v[0:1], v[2:3], v[2:3] op_sel:[0,1]
.LBB14_16:                              ; =>This Inner Loop Header: Depth=1
	v_cvt_f64_u32_e32 v[6:7], s3
	v_cvt_f64_u32_e32 v[8:9], s2
	v_ldexp_f64 v[6:7], v[6:7], 32
	s_add_u32 s2, s2, 1
	v_add_f64 v[6:7], v[6:7], v[8:9]
	s_addc_u32 s3, s3, 0
	v_mul_f64 v[6:7], v[4:5], v[6:7]
	s_cmp_lg_u64 s[16:17], s[2:3]
	v_pk_mov_b32 v[4:5], v[0:1], v[0:1] op_sel:[0,1]
	v_fma_f64 v[0:1], v[2:3], v[0:1], -v[6:7]
	s_cbranch_scc1 .LBB14_16
.LBB14_17:
	s_mov_b64 s[2:3], 0
	s_branch .LBB14_22
.LBB14_18:
	s_mov_b64 s[2:3], 0
                                        ; implicit-def: $vgpr2_vgpr3
	s_cbranch_execnz .LBB14_178
	s_branch .LBB14_212
.LBB14_19:
	s_mov_b64 s[20:21], -1
	s_mov_b64 s[2:3], 0
                                        ; implicit-def: $vgpr2_vgpr3
	s_branch .LBB14_159
.LBB14_20:
	s_mov_b64 s[20:21], -1
	s_mov_b64 s[2:3], 0
                                        ; implicit-def: $vgpr2_vgpr3
	s_branch .LBB14_154
.LBB14_21:
	s_mov_b64 s[2:3], -1
                                        ; implicit-def: $vgpr0_vgpr1
.LBB14_22:
	s_andn2_b64 vcc, exec, s[2:3]
	s_cbranch_vccnz .LBB14_24
; %bb.23:
	s_waitcnt vmcnt(0)
	v_pk_mov_b32 v[0:1], v[2:3], v[2:3] op_sel:[0,1]
.LBB14_24:
	s_waitcnt vmcnt(0)
	v_mul_lo_u32 v2, v12, s12
	v_ashrrev_i32_e32 v3, 31, v2
	v_mov_b32_e32 v5, s9
	v_add_co_u32_e32 v4, vcc, s8, v2
	v_mov_b32_e32 v2, 11
	v_addc_co_u32_e32 v5, vcc, v5, v3, vcc
	v_cmp_lt_i16_sdwa s[2:3], s33, v2 src0_sel:BYTE_0 src1_sel:DWORD
	s_and_b64 vcc, exec, s[2:3]
	s_cbranch_vccnz .LBB14_31
; %bb.25:
	v_mov_b32_e32 v2, 25
	v_cmp_gt_i16_sdwa s[2:3], s33, v2 src0_sel:BYTE_0 src1_sel:DWORD
	s_and_b64 vcc, exec, s[2:3]
	s_cbranch_vccz .LBB14_34
; %bb.26:
	v_mov_b32_e32 v2, 28
	v_cmp_gt_i16_sdwa s[2:3], s33, v2 src0_sel:BYTE_0 src1_sel:DWORD
	s_and_b64 vcc, exec, s[2:3]
	s_cbranch_vccz .LBB14_35
	;; [unrolled: 5-line block ×4, first 2 shown]
; %bb.29:
	v_mov_b32_e32 v2, 46
	v_cmp_eq_u16_sdwa s[20:21], s33, v2 src0_sel:BYTE_0 src1_sel:DWORD
	s_mov_b64 s[26:27], 0
	s_mov_b64 s[2:3], -1
	s_and_b64 vcc, exec, s[20:21]
	s_mov_b64 s[20:21], 0
	s_cbranch_vccz .LBB14_44
; %bb.30:
	v_cvt_f32_f64_e32 v2, v[0:1]
	v_bfe_u32 v3, v2, 16, 1
	s_movk_i32 s2, 0x7fff
	v_add3_u32 v3, v2, v3, s2
	v_lshrrev_b32_e32 v3, 16, v3
	v_mov_b32_e32 v6, 0x7fc0
	v_cmp_o_f32_e32 vcc, v2, v2
	v_cndmask_b32_e32 v2, v6, v3, vcc
	global_store_dword v[4:5], v2, off
	s_mov_b64 s[20:21], -1
	s_mov_b64 s[2:3], 0
	s_branch .LBB14_44
.LBB14_31:
	s_mov_b64 s[2:3], 0
	s_mov_b64 s[20:21], 0
	s_cbranch_execnz .LBB14_113
.LBB14_32:
	s_andn2_b64 vcc, exec, s[20:21]
	s_cbranch_vccnz .LBB14_151
.LBB14_33:
	v_add_u32_e32 v12, 0x80, v12
	s_mov_b64 s[26:27], -1
	s_branch .LBB14_261
.LBB14_34:
	s_mov_b64 s[26:27], -1
	s_mov_b64 s[2:3], 0
	s_mov_b64 s[20:21], 0
	s_branch .LBB14_71
.LBB14_35:
	s_mov_b64 s[26:27], -1
	s_mov_b64 s[2:3], 0
	s_mov_b64 s[20:21], 0
	s_branch .LBB14_54
.LBB14_36:
	s_mov_b64 s[20:21], -1
	s_branch .LBB14_39
.LBB14_37:
	s_mov_b64 s[26:27], -1
	s_mov_b64 s[2:3], 0
	s_mov_b64 s[20:21], 0
	s_branch .LBB14_50
.LBB14_38:
	s_mov_b64 s[22:23], -1
.LBB14_39:
	s_mov_b64 s[2:3], 0
                                        ; implicit-def: $vgpr2_vgpr3
.LBB14_40:
	s_and_b64 vcc, exec, s[20:21]
	s_cbranch_vccz .LBB14_153
; %bb.41:
	v_cmp_eq_u16_e32 vcc, 44, v13
	s_cbranch_vccz .LBB14_152
; %bb.42:
	global_load_ubyte v4, v[0:1], off
	s_movk_i32 s20, 0xff
	v_bfrev_b32_e32 v5, 4
	v_mov_b32_e32 v6, 0x7ff80000
	v_bfrev_b32_e32 v7, 28
	s_mov_b64 s[2:3], -1
	s_mov_b64 s[22:23], 0
	s_waitcnt vmcnt(0)
	v_lshlrev_b32_e32 v2, 23, v4
	v_cvt_f64_f32_e32 v[2:3], v2
	v_cmp_ne_u32_e32 vcc, s20, v4
	v_cndmask_b32_e32 v2, v5, v2, vcc
	v_cndmask_b32_e32 v3, v6, v3, vcc
	v_cmp_ne_u32_e32 vcc, 0, v4
	v_cndmask_b32_e32 v3, v7, v3, vcc
	v_cndmask_b32_e32 v2, 0, v2, vcc
	s_branch .LBB14_153
.LBB14_43:
	s_mov_b64 s[26:27], -1
	s_mov_b64 s[2:3], 0
	s_mov_b64 s[20:21], 0
.LBB14_44:
	s_and_b64 vcc, exec, s[26:27]
	s_cbranch_vccz .LBB14_49
; %bb.45:
	v_mov_b32_e32 v2, 44
	v_cmp_eq_u16_sdwa s[26:27], s33, v2 src0_sel:BYTE_0 src1_sel:DWORD
	s_mov_b64 s[2:3], -1
	s_and_b64 vcc, exec, s[26:27]
	s_cbranch_vccz .LBB14_49
; %bb.46:
	v_cvt_f32_f64_e32 v2, v[0:1]
	v_bfe_u32 v3, v2, 23, 8
	s_movk_i32 s2, 0xff
	v_cmp_ne_u32_e32 vcc, s2, v3
	v_mov_b32_e32 v6, 0xff
	s_and_saveexec_b64 s[20:21], vcc
; %bb.47:
	s_mov_b32 s2, 0x3fffff
	v_lshrrev_b32_e32 v6, 23, v2
	v_and_b32_e32 v7, 0x400000, v2
	v_and_or_b32 v2, v2, s2, v3
	v_cmp_ne_u32_e32 vcc, 0, v7
	v_cmp_ne_u32_e64 s[2:3], 0, v2
	s_and_b64 s[2:3], vcc, s[2:3]
	v_cndmask_b32_e64 v2, 0, 1, s[2:3]
	v_add_u32_e32 v6, v6, v2
; %bb.48:
	s_or_b64 exec, exec, s[20:21]
	s_mov_b64 s[20:21], -1
	s_mov_b64 s[2:3], 0
	global_store_byte v[4:5], v6, off
.LBB14_49:
	s_mov_b64 s[26:27], 0
.LBB14_50:
	s_and_b64 vcc, exec, s[26:27]
	s_cbranch_vccz .LBB14_53
; %bb.51:
	v_mov_b32_e32 v2, 29
	v_cmp_eq_u16_sdwa s[26:27], s33, v2 src0_sel:BYTE_0 src1_sel:DWORD
	s_mov_b64 s[2:3], -1
	s_and_b64 vcc, exec, s[26:27]
	s_cbranch_vccz .LBB14_53
; %bb.52:
	v_trunc_f64_e32 v[2:3], v[0:1]
	s_movk_i32 s2, 0xffe0
	v_ldexp_f64 v[6:7], v[2:3], s2
	v_floor_f64_e32 v[6:7], v[6:7]
	v_fmac_f64_e32 v[2:3], 0xc1f00000, v[6:7]
	v_cvt_u32_f64_e32 v9, v[6:7]
	v_cvt_u32_f64_e32 v8, v[2:3]
	global_store_dwordx2 v[4:5], v[8:9], off
	s_mov_b64 s[20:21], -1
	s_mov_b64 s[2:3], 0
.LBB14_53:
	s_mov_b64 s[26:27], 0
.LBB14_54:
	s_and_b64 vcc, exec, s[26:27]
	s_cbranch_vccz .LBB14_70
; %bb.55:
	v_mov_b32_e32 v2, 27
	v_cmp_lt_i16_sdwa s[26:27], s33, v2 src0_sel:BYTE_0 src1_sel:DWORD
	s_mov_b64 s[20:21], -1
	s_and_b64 vcc, exec, s[26:27]
	s_cbranch_vccnz .LBB14_61
; %bb.56:
	v_cmp_gt_i16_sdwa s[26:27], s33, v2 src0_sel:BYTE_0 src1_sel:DWORD
	s_and_b64 vcc, exec, s[26:27]
	v_cvt_u32_f64_e32 v2, v[0:1]
	s_cbranch_vccz .LBB14_58
; %bb.57:
	s_mov_b64 s[20:21], 0
	global_store_dword v[4:5], v2, off
.LBB14_58:
	s_andn2_b64 vcc, exec, s[20:21]
	s_cbranch_vccnz .LBB14_60
; %bb.59:
	global_store_short v[4:5], v2, off
.LBB14_60:
	s_mov_b64 s[20:21], 0
.LBB14_61:
	s_andn2_b64 vcc, exec, s[20:21]
	s_cbranch_vccnz .LBB14_69
; %bb.62:
	v_cvt_f32_f64_e32 v2, v[0:1]
	v_and_b32_e32 v3, 0x7fffffff, v2
	s_mov_b32 s20, 0x43800000
	v_cmp_gt_u32_e32 vcc, s20, v3
	v_mov_b32_e32 v6, 0x80
	s_and_saveexec_b64 s[20:21], vcc
	s_cbranch_execz .LBB14_68
; %bb.63:
	s_mov_b32 s26, 0x3bffffff
	v_cmp_lt_u32_e32 vcc, s26, v3
	s_mov_b64 s[26:27], 0
                                        ; implicit-def: $vgpr3
	s_and_saveexec_b64 s[30:31], vcc
	s_xor_b64 s[30:31], exec, s[30:31]
	s_cbranch_execz .LBB14_299
; %bb.64:
	v_bfe_u32 v3, v2, 20, 1
	s_mov_b32 s34, 0x487ffff
	v_add3_u32 v3, v2, v3, s34
	s_mov_b64 s[26:27], exec
	v_lshrrev_b32_e32 v3, 20, v3
	s_or_saveexec_b64 s[30:31], s[30:31]
                                        ; implicit-def: $sgpr34
	s_xor_b64 exec, exec, s[30:31]
	s_cbranch_execnz .LBB14_300
.LBB14_65:
	s_or_b64 exec, exec, s[30:31]
	v_mov_b32_e32 v6, s34
	s_and_saveexec_b64 s[30:31], s[26:27]
.LBB14_66:
	v_lshrrev_b32_e32 v2, 24, v2
	s_movk_i32 s26, 0x80
	v_and_or_b32 v6, v2, s26, v3
.LBB14_67:
	s_or_b64 exec, exec, s[30:31]
.LBB14_68:
	s_or_b64 exec, exec, s[20:21]
	global_store_byte v[4:5], v6, off
.LBB14_69:
	s_mov_b64 s[20:21], -1
.LBB14_70:
	s_mov_b64 s[26:27], 0
.LBB14_71:
	s_and_b64 vcc, exec, s[26:27]
	s_cbranch_vccz .LBB14_112
; %bb.72:
	v_mov_b32_e32 v2, 22
	v_cmp_gt_i16_sdwa s[30:31], s33, v2 src0_sel:BYTE_0 src1_sel:DWORD
	s_mov_b64 s[26:27], -1
	s_and_b64 vcc, exec, s[30:31]
	s_cbranch_vccz .LBB14_104
; %bb.73:
	v_mov_b32_e32 v2, 24
	v_cmp_lt_i16_sdwa s[26:27], s33, v2 src0_sel:BYTE_0 src1_sel:DWORD
	s_mov_b64 s[20:21], -1
	s_and_b64 vcc, exec, s[26:27]
	s_cbranch_vccnz .LBB14_93
; %bb.74:
	v_cmp_gt_i16_sdwa s[26:27], s33, v2 src0_sel:BYTE_0 src1_sel:DWORD
	s_and_b64 vcc, exec, s[26:27]
	s_cbranch_vccz .LBB14_82
; %bb.75:
	v_cvt_f32_f64_e32 v2, v[0:1]
	v_and_b32_e32 v3, 0x7fffffff, v2
	s_mov_b32 s20, 0x47800000
	v_cmp_gt_u32_e32 vcc, s20, v3
	v_mov_b32_e32 v6, 0x80
	s_and_saveexec_b64 s[20:21], vcc
	s_cbranch_execz .LBB14_81
; %bb.76:
	s_mov_b32 s26, 0x37ffffff
	v_cmp_lt_u32_e32 vcc, s26, v3
	s_mov_b64 s[26:27], 0
                                        ; implicit-def: $vgpr3
	s_and_saveexec_b64 s[30:31], vcc
	s_xor_b64 s[30:31], exec, s[30:31]
	s_cbranch_execz .LBB14_303
; %bb.77:
	v_bfe_u32 v3, v2, 21, 1
	s_mov_b32 s34, 0x88fffff
	v_add3_u32 v3, v2, v3, s34
	s_mov_b64 s[26:27], exec
	v_lshrrev_b32_e32 v3, 21, v3
	s_or_saveexec_b64 s[30:31], s[30:31]
                                        ; implicit-def: $sgpr34
	s_xor_b64 exec, exec, s[30:31]
	s_cbranch_execnz .LBB14_304
.LBB14_78:
	s_or_b64 exec, exec, s[30:31]
	v_mov_b32_e32 v6, s34
	s_and_saveexec_b64 s[30:31], s[26:27]
.LBB14_79:
	v_lshrrev_b32_e32 v2, 24, v2
	s_movk_i32 s26, 0x80
	v_and_or_b32 v6, v2, s26, v3
.LBB14_80:
	s_or_b64 exec, exec, s[30:31]
.LBB14_81:
	s_or_b64 exec, exec, s[20:21]
	s_mov_b64 s[20:21], 0
	global_store_byte v[4:5], v6, off
.LBB14_82:
	s_and_b64 vcc, exec, s[20:21]
	s_cbranch_vccz .LBB14_92
; %bb.83:
	v_cvt_f32_f64_e32 v2, v[0:1]
	v_and_b32_e32 v6, 0x7fffffff, v2
	s_mov_b32 s20, 0x43f00000
	v_cmp_gt_u32_e32 vcc, s20, v6
                                        ; implicit-def: $vgpr3
	s_and_saveexec_b64 s[20:21], vcc
	s_xor_b64 s[20:21], exec, s[20:21]
	s_cbranch_execz .LBB14_89
; %bb.84:
	s_mov_b32 s26, 0x3c7fffff
	v_cmp_lt_u32_e32 vcc, s26, v6
                                        ; implicit-def: $vgpr3
	s_and_saveexec_b64 s[26:27], vcc
	s_xor_b64 s[26:27], exec, s[26:27]
; %bb.85:
	v_bfe_u32 v3, v2, 20, 1
	s_mov_b32 s30, 0x407ffff
	v_add3_u32 v3, v2, v3, s30
	v_lshrrev_b32_e32 v6, 20, v3
	v_and_b32_e32 v3, 0xff00000, v3
	s_mov_b32 s30, 0x7f00000
	v_mov_b32_e32 v7, 0x7e
	v_cmp_ne_u32_e32 vcc, s30, v3
	v_cndmask_b32_e32 v3, v7, v6, vcc
; %bb.86:
	s_andn2_saveexec_b64 s[26:27], s[26:27]
; %bb.87:
	s_mov_b32 s30, 0x46800000
	v_add_f32_e64 v3, |v2|, s30
; %bb.88:
	s_or_b64 exec, exec, s[26:27]
                                        ; implicit-def: $vgpr6
.LBB14_89:
	s_andn2_saveexec_b64 s[20:21], s[20:21]
; %bb.90:
	s_mov_b32 s26, 0x7f800000
	v_mov_b32_e32 v3, 0x7e
	v_mov_b32_e32 v7, 0x7f
	v_cmp_lt_u32_e32 vcc, s26, v6
	v_cndmask_b32_e32 v3, v3, v7, vcc
; %bb.91:
	s_or_b64 exec, exec, s[20:21]
	v_lshrrev_b32_e32 v2, 24, v2
	s_movk_i32 s20, 0x80
	v_and_or_b32 v2, v2, s20, v3
	global_store_byte v[4:5], v2, off
.LBB14_92:
	s_mov_b64 s[20:21], 0
.LBB14_93:
	s_andn2_b64 vcc, exec, s[20:21]
	s_cbranch_vccnz .LBB14_103
; %bb.94:
	v_cvt_f32_f64_e32 v2, v[0:1]
	v_and_b32_e32 v6, 0x7fffffff, v2
	s_mov_b32 s20, 0x47800000
	v_cmp_gt_u32_e32 vcc, s20, v6
                                        ; implicit-def: $vgpr3
	s_and_saveexec_b64 s[20:21], vcc
	s_xor_b64 s[20:21], exec, s[20:21]
	s_cbranch_execz .LBB14_100
; %bb.95:
	s_mov_b32 s26, 0x387fffff
	v_cmp_lt_u32_e32 vcc, s26, v6
                                        ; implicit-def: $vgpr3
	s_and_saveexec_b64 s[26:27], vcc
	s_xor_b64 s[26:27], exec, s[26:27]
; %bb.96:
	v_bfe_u32 v3, v2, 21, 1
	s_mov_b32 s30, 0x80fffff
	v_add3_u32 v3, v2, v3, s30
	v_lshrrev_b32_e32 v3, 21, v3
; %bb.97:
	s_andn2_saveexec_b64 s[26:27], s[26:27]
; %bb.98:
	s_mov_b32 s30, 0x43000000
	v_add_f32_e64 v3, |v2|, s30
; %bb.99:
	s_or_b64 exec, exec, s[26:27]
                                        ; implicit-def: $vgpr6
.LBB14_100:
	s_andn2_saveexec_b64 s[20:21], s[20:21]
; %bb.101:
	s_mov_b32 s26, 0x7f800000
	v_mov_b32_e32 v3, 0x7c
	v_mov_b32_e32 v7, 0x7f
	v_cmp_lt_u32_e32 vcc, s26, v6
	v_cndmask_b32_e32 v3, v3, v7, vcc
; %bb.102:
	s_or_b64 exec, exec, s[20:21]
	v_lshrrev_b32_e32 v2, 24, v2
	s_movk_i32 s20, 0x80
	v_and_or_b32 v2, v2, s20, v3
	global_store_byte v[4:5], v2, off
.LBB14_103:
	s_mov_b64 s[26:27], 0
	s_mov_b64 s[20:21], -1
.LBB14_104:
	s_andn2_b64 vcc, exec, s[26:27]
	s_cbranch_vccnz .LBB14_112
; %bb.105:
	v_mov_b32_e32 v2, 14
	v_cmp_gt_i16_sdwa s[30:31], s33, v2 src0_sel:BYTE_0 src1_sel:DWORD
	s_mov_b64 s[26:27], -1
	s_and_b64 vcc, exec, s[30:31]
	s_cbranch_vccz .LBB14_109
; %bb.106:
	v_mov_b32_e32 v2, 15
	v_cmp_eq_u16_sdwa s[26:27], s33, v2 src0_sel:BYTE_0 src1_sel:DWORD
	s_mov_b64 s[2:3], -1
	s_and_b64 vcc, exec, s[26:27]
	s_cbranch_vccz .LBB14_108
; %bb.107:
	v_cvt_f32_f64_e32 v2, v[0:1]
	v_bfe_u32 v3, v2, 16, 1
	s_movk_i32 s2, 0x7fff
	v_add3_u32 v3, v2, v3, s2
	v_lshrrev_b32_e32 v3, 16, v3
	v_mov_b32_e32 v6, 0x7fc0
	v_cmp_o_f32_e32 vcc, v2, v2
	v_cndmask_b32_e32 v2, v6, v3, vcc
	global_store_short v[4:5], v2, off
	s_mov_b64 s[20:21], -1
	s_mov_b64 s[2:3], 0
.LBB14_108:
	s_mov_b64 s[26:27], 0
.LBB14_109:
	s_and_b64 vcc, exec, s[26:27]
	s_cbranch_vccz .LBB14_112
; %bb.110:
	v_mov_b32_e32 v2, 11
	v_cmp_eq_u16_sdwa s[26:27], s33, v2 src0_sel:BYTE_0 src1_sel:DWORD
	s_mov_b64 s[2:3], -1
	s_and_b64 vcc, exec, s[26:27]
	s_cbranch_vccz .LBB14_112
; %bb.111:
	v_cmp_neq_f64_e32 vcc, 0, v[0:1]
	s_mov_b64 s[2:3], 0
	v_cndmask_b32_e64 v2, 0, 1, vcc
	s_mov_b64 s[20:21], -1
	global_store_byte v[4:5], v2, off
.LBB14_112:
	s_branch .LBB14_32
.LBB14_113:
	v_mov_b32_e32 v2, 5
	v_cmp_lt_i16_sdwa s[26:27], s33, v2 src0_sel:BYTE_0 src1_sel:DWORD
	s_mov_b64 s[20:21], -1
	s_and_b64 vcc, exec, s[26:27]
	s_cbranch_vccnz .LBB14_134
; %bb.114:
	v_mov_b32_e32 v2, 8
	v_cmp_lt_i16_sdwa s[26:27], s33, v2 src0_sel:BYTE_0 src1_sel:DWORD
	s_and_b64 vcc, exec, s[26:27]
	s_cbranch_vccnz .LBB14_124
; %bb.115:
	v_mov_b32_e32 v2, 9
	v_cmp_lt_i16_sdwa s[26:27], s33, v2 src0_sel:BYTE_0 src1_sel:DWORD
	s_and_b64 vcc, exec, s[26:27]
	s_cbranch_vccnz .LBB14_121
; %bb.116:
	v_cmp_gt_i16_sdwa s[26:27], s33, v2 src0_sel:BYTE_0 src1_sel:DWORD
	s_and_b64 vcc, exec, s[26:27]
	s_cbranch_vccz .LBB14_118
; %bb.117:
	v_mov_b32_e32 v2, 0
	v_mov_b32_e32 v3, v2
	global_store_dwordx4 v[4:5], v[0:3], off
	s_mov_b64 s[20:21], 0
.LBB14_118:
	s_andn2_b64 vcc, exec, s[20:21]
	s_cbranch_vccnz .LBB14_120
; %bb.119:
	v_cvt_f32_f64_e32 v2, v[0:1]
	v_mov_b32_e32 v3, 0
	global_store_dwordx2 v[4:5], v[2:3], off
.LBB14_120:
	s_mov_b64 s[20:21], 0
.LBB14_121:
	s_andn2_b64 vcc, exec, s[20:21]
	s_cbranch_vccnz .LBB14_123
; %bb.122:
	v_cvt_f32_f64_e32 v2, v[0:1]
	v_cvt_f16_f32_e32 v2, v2
	global_store_dword v[4:5], v2, off
.LBB14_123:
	s_mov_b64 s[20:21], 0
.LBB14_124:
	s_andn2_b64 vcc, exec, s[20:21]
	s_cbranch_vccnz .LBB14_133
; %bb.125:
	v_mov_b32_e32 v2, 6
	v_cmp_lt_i16_sdwa s[26:27], s33, v2 src0_sel:BYTE_0 src1_sel:DWORD
	s_mov_b64 s[20:21], -1
	s_and_b64 vcc, exec, s[26:27]
	s_cbranch_vccnz .LBB14_131
; %bb.126:
	v_cmp_gt_i16_sdwa s[26:27], s33, v2 src0_sel:BYTE_0 src1_sel:DWORD
	s_and_b64 vcc, exec, s[26:27]
	s_cbranch_vccz .LBB14_128
; %bb.127:
	global_store_dwordx2 v[4:5], v[0:1], off
	s_mov_b64 s[20:21], 0
.LBB14_128:
	s_andn2_b64 vcc, exec, s[20:21]
	s_cbranch_vccnz .LBB14_130
; %bb.129:
	v_cvt_f32_f64_e32 v2, v[0:1]
	global_store_dword v[4:5], v2, off
.LBB14_130:
	s_mov_b64 s[20:21], 0
.LBB14_131:
	s_andn2_b64 vcc, exec, s[20:21]
	s_cbranch_vccnz .LBB14_133
; %bb.132:
	v_cvt_f32_f64_e32 v2, v[0:1]
	v_cvt_f16_f32_e32 v2, v2
	global_store_short v[4:5], v2, off
.LBB14_133:
	s_mov_b64 s[20:21], 0
.LBB14_134:
	s_andn2_b64 vcc, exec, s[20:21]
	s_cbranch_vccnz .LBB14_150
; %bb.135:
	v_mov_b32_e32 v2, 2
	v_cmp_lt_i16_sdwa s[26:27], s33, v2 src0_sel:BYTE_0 src1_sel:DWORD
	s_mov_b64 s[20:21], -1
	s_and_b64 vcc, exec, s[26:27]
	s_cbranch_vccnz .LBB14_145
; %bb.136:
	v_mov_b32_e32 v2, 3
	v_cmp_lt_i16_sdwa s[26:27], s33, v2 src0_sel:BYTE_0 src1_sel:DWORD
	s_and_b64 vcc, exec, s[26:27]
	s_cbranch_vccnz .LBB14_142
; %bb.137:
	v_cmp_gt_i16_sdwa s[26:27], s33, v2 src0_sel:BYTE_0 src1_sel:DWORD
	s_and_b64 vcc, exec, s[26:27]
	s_cbranch_vccz .LBB14_139
; %bb.138:
	v_trunc_f64_e32 v[2:3], v[0:1]
	s_movk_i32 s20, 0xffe0
	v_ldexp_f64 v[6:7], v[2:3], s20
	v_floor_f64_e32 v[6:7], v[6:7]
	v_fmac_f64_e32 v[2:3], 0xc1f00000, v[6:7]
	v_cvt_i32_f64_e32 v9, v[6:7]
	v_cvt_u32_f64_e32 v8, v[2:3]
	global_store_dwordx2 v[4:5], v[8:9], off
	s_mov_b64 s[20:21], 0
.LBB14_139:
	s_andn2_b64 vcc, exec, s[20:21]
	s_cbranch_vccnz .LBB14_141
; %bb.140:
	v_cvt_i32_f64_e32 v2, v[0:1]
	global_store_dword v[4:5], v2, off
.LBB14_141:
	s_mov_b64 s[20:21], 0
.LBB14_142:
	s_andn2_b64 vcc, exec, s[20:21]
	s_cbranch_vccnz .LBB14_144
; %bb.143:
	v_cvt_i32_f64_e32 v2, v[0:1]
	global_store_short v[4:5], v2, off
.LBB14_144:
	s_mov_b64 s[20:21], 0
.LBB14_145:
	s_andn2_b64 vcc, exec, s[20:21]
	s_cbranch_vccnz .LBB14_150
; %bb.146:
	v_mov_b32_e32 v2, 0
	v_cmp_gt_i16_sdwa s[26:27], s33, v2 src0_sel:BYTE_0 src1_sel:DWORD
	s_mov_b64 s[20:21], -1
	s_and_b64 vcc, exec, s[26:27]
	s_cbranch_vccz .LBB14_148
; %bb.147:
	v_cvt_i32_f64_e32 v2, v[0:1]
	global_store_byte v[4:5], v2, off
	s_mov_b64 s[20:21], 0
.LBB14_148:
	s_andn2_b64 vcc, exec, s[20:21]
	s_cbranch_vccnz .LBB14_150
; %bb.149:
	v_trunc_f64_e32 v[0:1], v[0:1]
	s_movk_i32 s20, 0xffe0
	v_ldexp_f64 v[2:3], v[0:1], s20
	v_floor_f64_e32 v[2:3], v[2:3]
	v_fmac_f64_e32 v[0:1], 0xc1f00000, v[2:3]
	v_cvt_u32_f64_e32 v0, v[0:1]
	global_store_byte v[4:5], v0, off
.LBB14_150:
	s_branch .LBB14_33
.LBB14_151:
	s_mov_b64 s[26:27], 0
                                        ; implicit-def: $vgpr12
	s_branch .LBB14_261
.LBB14_152:
	s_mov_b64 s[22:23], -1
                                        ; implicit-def: $vgpr2_vgpr3
.LBB14_153:
	s_mov_b64 s[20:21], 0
.LBB14_154:
	s_and_b64 vcc, exec, s[20:21]
	s_cbranch_vccz .LBB14_158
; %bb.155:
	v_cmp_eq_u16_e32 vcc, 29, v13
	s_cbranch_vccz .LBB14_157
; %bb.156:
	global_load_dwordx2 v[2:3], v[0:1], off
	s_mov_b64 s[2:3], -1
	s_mov_b64 s[22:23], 0
	s_mov_b64 s[20:21], 0
	s_waitcnt vmcnt(0)
	v_cvt_f64_u32_e32 v[4:5], v3
	v_cvt_f64_u32_e32 v[2:3], v2
	v_ldexp_f64 v[4:5], v[4:5], 32
	v_add_f64 v[2:3], v[4:5], v[2:3]
	s_branch .LBB14_159
.LBB14_157:
	s_mov_b64 s[22:23], -1
                                        ; implicit-def: $vgpr2_vgpr3
.LBB14_158:
	s_mov_b64 s[20:21], 0
.LBB14_159:
	s_and_b64 vcc, exec, s[20:21]
	s_cbranch_vccz .LBB14_177
; %bb.160:
	v_cmp_gt_i16_e32 vcc, 27, v13
	s_cbranch_vccnz .LBB14_163
; %bb.161:
	v_cmp_lt_i16_e32 vcc, 27, v13
	s_cbranch_vccz .LBB14_164
; %bb.162:
	global_load_dword v2, v[0:1], off
	s_mov_b64 s[2:3], 0
	s_waitcnt vmcnt(0)
	v_cvt_f64_u32_e32 v[2:3], v2
	s_branch .LBB14_165
.LBB14_163:
	s_mov_b64 s[2:3], -1
                                        ; implicit-def: $vgpr2_vgpr3
	s_branch .LBB14_168
.LBB14_164:
	s_mov_b64 s[2:3], -1
                                        ; implicit-def: $vgpr2_vgpr3
.LBB14_165:
	s_andn2_b64 vcc, exec, s[2:3]
	s_cbranch_vccnz .LBB14_167
; %bb.166:
	global_load_ushort v2, v[0:1], off
	s_waitcnt vmcnt(0)
	v_cvt_f64_u32_e32 v[2:3], v2
.LBB14_167:
	s_mov_b64 s[2:3], 0
.LBB14_168:
	s_andn2_b64 vcc, exec, s[2:3]
	s_cbranch_vccnz .LBB14_176
; %bb.169:
	global_load_ubyte v4, v[0:1], off
	s_movk_i32 s2, 0x7f
                                        ; implicit-def: $sgpr20_sgpr21
	s_waitcnt vmcnt(0)
	v_cmp_lt_i16_e32 vcc, s2, v4
	s_mov_b64 s[2:3], 0
	s_and_saveexec_b64 s[26:27], vcc
	s_xor_b64 s[26:27], exec, s[26:27]
	s_cbranch_execz .LBB14_189
; %bb.170:
	s_movk_i32 s2, 0x80
	v_cmp_eq_u16_e32 vcc, s2, v4
	s_mov_b64 s[30:31], -1
                                        ; implicit-def: $sgpr20_sgpr21
	s_and_saveexec_b64 s[2:3], vcc
; %bb.171:
	s_mov_b32 s21, 0x7ff80000
	s_brev_b32 s20, 4
	s_xor_b64 s[30:31], exec, -1
; %bb.172:
	s_or_b64 exec, exec, s[2:3]
	s_and_b64 s[2:3], s[30:31], exec
	s_or_saveexec_b64 s[26:27], s[26:27]
	v_pk_mov_b32 v[2:3], s[20:21], s[20:21] op_sel:[0,1]
	s_xor_b64 exec, exec, s[26:27]
	s_cbranch_execnz .LBB14_190
.LBB14_173:
	s_or_b64 exec, exec, s[26:27]
	s_and_saveexec_b64 s[20:21], s[2:3]
	s_cbranch_execz .LBB14_175
.LBB14_174:
	v_and_b32_e32 v3, 0xffff, v4
	v_lshlrev_b32_e32 v2, 24, v4
	v_and_b32_e32 v4, 7, v3
	v_ffbh_u32_e32 v6, v4
	v_min_u32_e32 v6, 32, v6
	v_subrev_u32_e32 v7, 28, v6
	v_bfe_u32 v5, v3, 3, 4
	v_lshlrev_b32_e32 v3, v7, v3
	v_sub_u32_e32 v6, 29, v6
	v_and_b32_e32 v3, 7, v3
	v_cmp_eq_u32_e32 vcc, 0, v5
	v_cndmask_b32_e32 v5, v5, v6, vcc
	v_cndmask_b32_e32 v3, v4, v3, vcc
	v_mov_b32_e32 v4, 0x3b800000
	v_lshlrev_b32_e32 v3, 20, v3
	v_and_b32_e32 v2, 0x80000000, v2
	v_lshl_add_u32 v4, v5, 23, v4
	v_or3_b32 v2, v2, v4, v3
	v_cvt_f64_f32_e32 v[2:3], v2
.LBB14_175:
	s_or_b64 exec, exec, s[20:21]
.LBB14_176:
	s_mov_b64 s[2:3], -1
.LBB14_177:
	s_branch .LBB14_212
.LBB14_178:
	v_cmp_lt_i16_e32 vcc, 22, v13
	s_cbranch_vccz .LBB14_188
; %bb.179:
	v_cmp_gt_i16_e32 vcc, 24, v13
	s_cbranch_vccnz .LBB14_191
; %bb.180:
	v_cmp_lt_i16_e32 vcc, 24, v13
	s_cbranch_vccz .LBB14_192
; %bb.181:
	global_load_ubyte v4, v[0:1], off
	s_movk_i32 s2, 0x7f
                                        ; implicit-def: $sgpr20_sgpr21
	s_waitcnt vmcnt(0)
	v_cmp_lt_i16_e32 vcc, s2, v4
	s_mov_b64 s[2:3], 0
	s_and_saveexec_b64 s[26:27], vcc
	s_xor_b64 s[26:27], exec, s[26:27]
	s_cbranch_execz .LBB14_204
; %bb.182:
	s_movk_i32 s2, 0x80
	v_cmp_eq_u16_e32 vcc, s2, v4
	s_mov_b64 s[30:31], -1
                                        ; implicit-def: $sgpr20_sgpr21
	s_and_saveexec_b64 s[2:3], vcc
; %bb.183:
	s_mov_b32 s21, 0x7ff80000
	s_brev_b32 s20, 4
	s_xor_b64 s[30:31], exec, -1
; %bb.184:
	s_or_b64 exec, exec, s[2:3]
	s_and_b64 s[2:3], s[30:31], exec
	s_or_saveexec_b64 s[26:27], s[26:27]
	v_pk_mov_b32 v[2:3], s[20:21], s[20:21] op_sel:[0,1]
	s_xor_b64 exec, exec, s[26:27]
	s_cbranch_execnz .LBB14_205
.LBB14_185:
	s_or_b64 exec, exec, s[26:27]
	s_and_saveexec_b64 s[20:21], s[2:3]
	s_cbranch_execz .LBB14_187
.LBB14_186:
	v_and_b32_e32 v3, 0xffff, v4
	v_lshlrev_b32_e32 v2, 24, v4
	v_and_b32_e32 v4, 3, v3
	v_ffbh_u32_e32 v6, v4
	v_min_u32_e32 v6, 32, v6
	v_subrev_u32_e32 v7, 29, v6
	v_bfe_u32 v5, v3, 2, 5
	v_lshlrev_b32_e32 v3, v7, v3
	v_sub_u32_e32 v6, 30, v6
	v_and_b32_e32 v3, 3, v3
	v_cmp_eq_u32_e32 vcc, 0, v5
	v_cndmask_b32_e32 v5, v5, v6, vcc
	v_cndmask_b32_e32 v3, v4, v3, vcc
	v_mov_b32_e32 v4, 0x37800000
	v_lshlrev_b32_e32 v3, 21, v3
	v_and_b32_e32 v2, 0x80000000, v2
	v_lshl_add_u32 v4, v5, 23, v4
	v_or3_b32 v2, v2, v4, v3
	v_cvt_f64_f32_e32 v[2:3], v2
.LBB14_187:
	s_or_b64 exec, exec, s[20:21]
	s_mov_b64 s[2:3], 0
	s_branch .LBB14_193
.LBB14_188:
	s_mov_b64 s[20:21], -1
                                        ; implicit-def: $vgpr2_vgpr3
	s_branch .LBB14_199
.LBB14_189:
	s_or_saveexec_b64 s[26:27], s[26:27]
	v_pk_mov_b32 v[2:3], s[20:21], s[20:21] op_sel:[0,1]
	s_xor_b64 exec, exec, s[26:27]
	s_cbranch_execz .LBB14_173
.LBB14_190:
	v_cmp_ne_u16_e32 vcc, 0, v4
	s_andn2_b64 s[2:3], s[2:3], exec
	s_and_b64 s[20:21], vcc, exec
	v_pk_mov_b32 v[2:3], 0, 0
	s_or_b64 s[2:3], s[2:3], s[20:21]
	s_or_b64 exec, exec, s[26:27]
	s_and_saveexec_b64 s[20:21], s[2:3]
	s_cbranch_execnz .LBB14_174
	s_branch .LBB14_175
.LBB14_191:
	s_mov_b64 s[2:3], -1
                                        ; implicit-def: $vgpr2_vgpr3
	s_branch .LBB14_196
.LBB14_192:
	s_mov_b64 s[2:3], -1
                                        ; implicit-def: $vgpr2_vgpr3
.LBB14_193:
	s_and_b64 vcc, exec, s[2:3]
	s_cbranch_vccz .LBB14_195
; %bb.194:
	global_load_ubyte v2, v[0:1], off
	s_mov_b32 s2, 0x7f800000
	s_waitcnt vmcnt(0)
	v_lshlrev_b32_e32 v2, 24, v2
	v_and_b32_e32 v3, 0x7f000000, v2
	v_ffbh_u32_e32 v4, v3
	v_min_u32_e32 v4, 32, v4
	v_sub_u32_e64 v4, v4, 4 clamp
	v_lshlrev_b32_e32 v6, v4, v3
	v_lshlrev_b32_e32 v4, 23, v4
	v_lshrrev_b32_e32 v6, 4, v6
	v_add_u32_e32 v5, 0x1000000, v3
	v_sub_u32_e32 v4, v6, v4
	v_ashrrev_i32_e32 v5, 8, v5
	v_add_u32_e32 v4, 0x3c000000, v4
	v_and_or_b32 v4, v5, s2, v4
	v_cmp_ne_u32_e32 vcc, 0, v3
	v_cndmask_b32_e32 v3, 0, v4, vcc
	s_brev_b32 s2, 1
	v_and_or_b32 v2, v2, s2, v3
	v_cvt_f64_f32_e32 v[2:3], v2
.LBB14_195:
	s_mov_b64 s[2:3], 0
.LBB14_196:
	s_andn2_b64 vcc, exec, s[2:3]
	s_cbranch_vccnz .LBB14_198
; %bb.197:
	global_load_ubyte v2, v[0:1], off
	s_movk_i32 s2, 0x7f00
	s_brev_b32 s3, 16
	s_waitcnt vmcnt(0)
	v_lshlrev_b16_e32 v3, 8, v2
	v_lshlrev_b32_e32 v2, 25, v2
	v_lshrrev_b32_e32 v4, 4, v2
	v_and_or_b32 v5, v3, s2, 0.5
	v_or_b32_e32 v4, 0x70000000, v4
	v_add_f32_e32 v5, -0.5, v5
	v_mul_f32_e32 v4, 0x7800000, v4
	v_cmp_gt_u32_e32 vcc, s3, v2
	v_bfe_i32 v3, v3, 0, 16
	v_cndmask_b32_e32 v2, v4, v5, vcc
	s_brev_b32 s2, 1
	v_and_or_b32 v2, v3, s2, v2
	v_cvt_f64_f32_e32 v[2:3], v2
.LBB14_198:
	s_mov_b64 s[20:21], 0
	s_mov_b64 s[2:3], -1
.LBB14_199:
	s_andn2_b64 vcc, exec, s[20:21]
	s_cbranch_vccnz .LBB14_212
; %bb.200:
	v_cmp_lt_i16_e32 vcc, 14, v13
	s_cbranch_vccz .LBB14_203
; %bb.201:
	v_cmp_eq_u16_e32 vcc, 15, v13
	s_cbranch_vccz .LBB14_206
; %bb.202:
	global_load_ushort v2, v[0:1], off
	s_mov_b64 s[2:3], -1
	s_mov_b64 s[22:23], 0
	s_waitcnt vmcnt(0)
	v_lshlrev_b32_e32 v2, 16, v2
	v_cvt_f64_f32_e32 v[2:3], v2
	s_branch .LBB14_207
.LBB14_203:
	s_mov_b64 s[20:21], -1
                                        ; implicit-def: $vgpr2_vgpr3
	s_branch .LBB14_208
.LBB14_204:
	s_or_saveexec_b64 s[26:27], s[26:27]
	v_pk_mov_b32 v[2:3], s[20:21], s[20:21] op_sel:[0,1]
	s_xor_b64 exec, exec, s[26:27]
	s_cbranch_execz .LBB14_185
.LBB14_205:
	v_cmp_ne_u16_e32 vcc, 0, v4
	s_andn2_b64 s[2:3], s[2:3], exec
	s_and_b64 s[20:21], vcc, exec
	v_pk_mov_b32 v[2:3], 0, 0
	s_or_b64 s[2:3], s[2:3], s[20:21]
	s_or_b64 exec, exec, s[26:27]
	s_and_saveexec_b64 s[20:21], s[2:3]
	s_cbranch_execnz .LBB14_186
	s_branch .LBB14_187
.LBB14_206:
	s_mov_b64 s[22:23], -1
                                        ; implicit-def: $vgpr2_vgpr3
.LBB14_207:
	s_mov_b64 s[20:21], 0
.LBB14_208:
	s_and_b64 vcc, exec, s[20:21]
	s_cbranch_vccz .LBB14_212
; %bb.209:
	v_cmp_eq_u16_e32 vcc, 11, v13
	s_cbranch_vccz .LBB14_211
; %bb.210:
	global_load_ubyte v3, v[0:1], off
	v_mov_b32_e32 v4, 0x3ff00000
	v_mov_b32_e32 v2, 0
	s_mov_b64 s[2:3], -1
	s_mov_b64 s[22:23], 0
	s_waitcnt vmcnt(0)
	v_cmp_ne_u16_e32 vcc, 0, v3
	v_cndmask_b32_e32 v3, 0, v4, vcc
	s_branch .LBB14_212
.LBB14_211:
	s_mov_b64 s[22:23], -1
                                        ; implicit-def: $vgpr2_vgpr3
.LBB14_212:
	s_branch .LBB14_10
.LBB14_213:
	v_cmp_gt_i16_e32 vcc, 5, v13
	s_cbranch_vccnz .LBB14_218
; %bb.214:
	v_cmp_gt_i16_e32 vcc, 8, v13
	s_cbranch_vccnz .LBB14_219
; %bb.215:
	;; [unrolled: 3-line block ×3, first 2 shown]
	v_cmp_lt_i16_e32 vcc, 9, v13
	s_cbranch_vccz .LBB14_221
; %bb.217:
	global_load_dwordx2 v[2:3], v[0:1], off
	s_mov_b64 s[2:3], 0
	s_branch .LBB14_222
.LBB14_218:
                                        ; implicit-def: $vgpr2_vgpr3
	s_branch .LBB14_240
.LBB14_219:
	s_mov_b64 s[2:3], -1
                                        ; implicit-def: $vgpr2_vgpr3
	s_branch .LBB14_228
.LBB14_220:
	s_mov_b64 s[2:3], -1
                                        ; implicit-def: $vgpr2_vgpr3
	s_branch .LBB14_225
.LBB14_221:
	s_mov_b64 s[2:3], -1
                                        ; implicit-def: $vgpr2_vgpr3
.LBB14_222:
	s_andn2_b64 vcc, exec, s[2:3]
	s_cbranch_vccnz .LBB14_224
; %bb.223:
	global_load_dword v2, v[0:1], off
	s_waitcnt vmcnt(0)
	v_cvt_f64_f32_e32 v[2:3], v2
.LBB14_224:
	s_mov_b64 s[2:3], 0
.LBB14_225:
	s_andn2_b64 vcc, exec, s[2:3]
	s_cbranch_vccnz .LBB14_227
; %bb.226:
	global_load_dword v2, v[0:1], off
	s_waitcnt vmcnt(0)
	v_cvt_f32_f16_e32 v2, v2
	v_cvt_f64_f32_e32 v[2:3], v2
.LBB14_227:
	s_mov_b64 s[2:3], 0
.LBB14_228:
	s_andn2_b64 vcc, exec, s[2:3]
	s_cbranch_vccnz .LBB14_239
; %bb.229:
	v_cmp_gt_i16_e32 vcc, 6, v13
	s_cbranch_vccnz .LBB14_232
; %bb.230:
	v_cmp_lt_i16_e32 vcc, 6, v13
	s_cbranch_vccz .LBB14_233
; %bb.231:
	global_load_dwordx2 v[2:3], v[0:1], off
	s_mov_b64 s[2:3], 0
	s_branch .LBB14_234
.LBB14_232:
	s_mov_b64 s[2:3], -1
                                        ; implicit-def: $vgpr2_vgpr3
	s_branch .LBB14_237
.LBB14_233:
	s_mov_b64 s[2:3], -1
                                        ; implicit-def: $vgpr2_vgpr3
.LBB14_234:
	s_andn2_b64 vcc, exec, s[2:3]
	s_cbranch_vccnz .LBB14_236
; %bb.235:
	global_load_dword v2, v[0:1], off
	s_waitcnt vmcnt(0)
	v_cvt_f64_f32_e32 v[2:3], v2
.LBB14_236:
	s_mov_b64 s[2:3], 0
.LBB14_237:
	s_andn2_b64 vcc, exec, s[2:3]
	s_cbranch_vccnz .LBB14_239
; %bb.238:
	global_load_ushort v2, v[0:1], off
	s_waitcnt vmcnt(0)
	v_cvt_f32_f16_e32 v2, v2
	v_cvt_f64_f32_e32 v[2:3], v2
.LBB14_239:
	s_cbranch_execnz .LBB14_259
.LBB14_240:
	v_cmp_gt_i16_e32 vcc, 2, v13
	s_cbranch_vccnz .LBB14_244
; %bb.241:
	v_cmp_gt_i16_e32 vcc, 3, v13
	s_cbranch_vccnz .LBB14_245
; %bb.242:
	v_cmp_lt_i16_e32 vcc, 3, v13
	s_cbranch_vccz .LBB14_246
; %bb.243:
	global_load_dwordx2 v[2:3], v[0:1], off
	s_mov_b64 s[2:3], 0
	s_waitcnt vmcnt(0)
	v_cvt_f64_i32_e32 v[4:5], v3
	v_cvt_f64_u32_e32 v[2:3], v2
	v_ldexp_f64 v[4:5], v[4:5], 32
	v_add_f64 v[2:3], v[4:5], v[2:3]
	s_branch .LBB14_247
.LBB14_244:
	s_mov_b64 s[2:3], -1
                                        ; implicit-def: $vgpr2_vgpr3
	s_branch .LBB14_253
.LBB14_245:
	s_mov_b64 s[2:3], -1
                                        ; implicit-def: $vgpr2_vgpr3
	s_branch .LBB14_250
.LBB14_246:
	s_mov_b64 s[2:3], -1
                                        ; implicit-def: $vgpr2_vgpr3
.LBB14_247:
	s_andn2_b64 vcc, exec, s[2:3]
	s_cbranch_vccnz .LBB14_249
; %bb.248:
	global_load_dword v2, v[0:1], off
	s_waitcnt vmcnt(0)
	v_cvt_f64_i32_e32 v[2:3], v2
.LBB14_249:
	s_mov_b64 s[2:3], 0
.LBB14_250:
	s_andn2_b64 vcc, exec, s[2:3]
	s_cbranch_vccnz .LBB14_252
; %bb.251:
	global_load_sshort v2, v[0:1], off
	s_waitcnt vmcnt(0)
	v_cvt_f64_i32_e32 v[2:3], v2
.LBB14_252:
	s_mov_b64 s[2:3], 0
.LBB14_253:
	s_andn2_b64 vcc, exec, s[2:3]
	s_cbranch_vccnz .LBB14_259
; %bb.254:
	v_cmp_lt_i16_e32 vcc, 0, v13
	s_cbranch_vccz .LBB14_256
; %bb.255:
	global_load_sbyte v2, v[0:1], off
	s_mov_b64 s[2:3], 0
	s_waitcnt vmcnt(0)
	v_cvt_f64_i32_e32 v[2:3], v2
	s_branch .LBB14_257
.LBB14_256:
	s_mov_b64 s[2:3], -1
                                        ; implicit-def: $vgpr2_vgpr3
.LBB14_257:
	s_andn2_b64 vcc, exec, s[2:3]
	s_cbranch_vccnz .LBB14_259
; %bb.258:
	global_load_ubyte v0, v[0:1], off
	s_waitcnt vmcnt(0)
	v_cvt_f64_u32_e32 v[2:3], v0
.LBB14_259:
	s_branch .LBB14_11
.LBB14_260:
	s_mov_b64 s[2:3], 0
                                        ; implicit-def: $vgpr12
	s_mov_b64 s[26:27], 0
.LBB14_261:
	s_and_b64 s[20:21], s[2:3], exec
	s_and_b64 s[22:23], s[22:23], exec
	s_orn2_b64 s[2:3], s[26:27], exec
.LBB14_262:
	s_or_b64 exec, exec, s[24:25]
	s_mov_b64 s[34:35], 0
	s_mov_b64 s[30:31], 0
                                        ; implicit-def: $vgpr0_vgpr1
                                        ; implicit-def: $vgpr2_vgpr3
	s_and_saveexec_b64 s[24:25], s[2:3]
	s_cbranch_execz .LBB14_271
; %bb.263:
	v_cmp_gt_i32_e32 vcc, s46, v12
	s_mov_b64 s[2:3], -1
	s_mov_b64 s[26:27], s[22:23]
	s_mov_b64 s[28:29], s[20:21]
	s_and_saveexec_b64 s[30:31], vcc
	s_cbranch_execz .LBB14_533
; %bb.264:
	v_mul_lo_u32 v0, v12, s13
	v_ashrrev_i32_e32 v1, 31, v0
	s_waitcnt vmcnt(0)
	v_mov_b32_e32 v2, s11
	v_add_co_u32_e32 v0, vcc, s10, v0
	v_addc_co_u32_e32 v1, vcc, v2, v1, vcc
	v_cmp_gt_i16_e32 vcc, 11, v13
	s_cbranch_vccnz .LBB14_274
; %bb.265:
	v_cmp_lt_i16_e32 vcc, 25, v13
	s_cbranch_vccz .LBB14_283
; %bb.266:
	v_cmp_lt_i16_e32 vcc, 28, v13
	s_cbranch_vccz .LBB14_284
	;; [unrolled: 3-line block ×4, first 2 shown]
; %bb.269:
	v_cmp_eq_u16_e32 vcc, 46, v13
	s_mov_b64 s[28:29], 0
	s_cbranch_vccz .LBB14_305
; %bb.270:
	global_load_dword v2, v[0:1], off
	s_mov_b64 s[26:27], 0
	s_waitcnt vmcnt(0)
	v_lshlrev_b32_e32 v2, 16, v2
	v_cvt_f64_f32_e32 v[2:3], v2
	s_branch .LBB14_306
.LBB14_271:
	s_or_b64 exec, exec, s[24:25]
	s_mov_b64 s[2:3], 0
	s_and_saveexec_b64 s[24:25], s[22:23]
	s_cbranch_execnz .LBB14_889
.LBB14_272:
	s_or_b64 exec, exec, s[24:25]
	s_and_saveexec_b64 s[22:23], s[28:29]
	s_xor_b64 s[22:23], exec, s[22:23]
	s_cbranch_execz .LBB14_890
.LBB14_273:
	global_load_ubyte v3, v[0:1], off
	v_mov_b32_e32 v4, 0x3ff00000
	s_waitcnt vmcnt(1)
	v_mov_b32_e32 v2, 0
	s_or_b64 s[30:31], s[30:31], exec
	s_waitcnt vmcnt(0)
	v_cmp_ne_u16_e32 vcc, 0, v3
	v_cndmask_b32_e32 v3, 0, v4, vcc
	s_or_b64 exec, exec, s[22:23]
	s_and_saveexec_b64 s[22:23], s[34:35]
	s_cbranch_execz .LBB14_936
	s_branch .LBB14_891
.LBB14_274:
	s_mov_b64 s[2:3], 0
                                        ; implicit-def: $vgpr2_vgpr3
	s_mov_b64 s[26:27], s[22:23]
	s_cbranch_execnz .LBB14_483
.LBB14_275:
	s_andn2_b64 vcc, exec, s[2:3]
	s_cbranch_vccnz .LBB14_531
.LBB14_276:
	s_andn2_b64 vcc, exec, s[18:19]
	v_pk_mov_b32 v[0:1], 0, 0
	s_cbranch_vccnz .LBB14_289
; %bb.277:
	v_cmp_lt_i64_e64 s[2:3], s[16:17], 1
	v_mov_b32_e32 v0, 0
	s_and_b64 vcc, exec, s[2:3]
	v_mov_b32_e32 v1, 0x3ff00000
	s_cbranch_vccnz .LBB14_289
; %bb.278:
	s_cmp_lg_u64 s[16:17], 1
	s_cbranch_scc0 .LBB14_286
; %bb.279:
	v_mov_b32_e32 v0, 0
	s_andn2_b64 vcc, exec, s[0:1]
	v_mov_b32_e32 v1, 0x7ff80000
	s_cbranch_vccnz .LBB14_282
; %bb.280:
	v_mov_b32_e32 v4, 0
	s_mov_b64 s[2:3], 1
	v_mov_b32_e32 v5, 0x3ff00000
	s_waitcnt vmcnt(0)
	v_pk_mov_b32 v[0:1], v[2:3], v[2:3] op_sel:[0,1]
.LBB14_281:                             ; =>This Inner Loop Header: Depth=1
	v_cvt_f64_u32_e32 v[6:7], s3
	v_cvt_f64_u32_e32 v[8:9], s2
	v_ldexp_f64 v[6:7], v[6:7], 32
	s_add_u32 s2, s2, 1
	v_add_f64 v[6:7], v[6:7], v[8:9]
	s_addc_u32 s3, s3, 0
	v_mul_f64 v[6:7], v[4:5], v[6:7]
	s_cmp_lg_u64 s[16:17], s[2:3]
	v_pk_mov_b32 v[4:5], v[0:1], v[0:1] op_sel:[0,1]
	v_fma_f64 v[0:1], v[2:3], v[0:1], -v[6:7]
	s_cbranch_scc1 .LBB14_281
.LBB14_282:
	s_mov_b64 s[2:3], 0
	s_branch .LBB14_287
.LBB14_283:
	s_mov_b64 s[28:29], -1
	s_mov_b64 s[2:3], 0
	s_mov_b64 s[26:27], s[22:23]
                                        ; implicit-def: $vgpr2_vgpr3
	s_branch .LBB14_447
.LBB14_284:
	s_mov_b64 s[28:29], -1
	s_mov_b64 s[2:3], 0
	s_mov_b64 s[26:27], s[22:23]
                                        ; implicit-def: $vgpr2_vgpr3
	s_branch .LBB14_428
.LBB14_285:
	s_mov_b64 s[28:29], -1
	s_mov_b64 s[2:3], 0
	s_mov_b64 s[26:27], s[22:23]
                                        ; implicit-def: $vgpr2_vgpr3
	s_branch .LBB14_423
.LBB14_286:
	s_mov_b64 s[2:3], -1
                                        ; implicit-def: $vgpr0_vgpr1
.LBB14_287:
	s_andn2_b64 vcc, exec, s[2:3]
	s_cbranch_vccnz .LBB14_289
; %bb.288:
	s_waitcnt vmcnt(0)
	v_pk_mov_b32 v[0:1], v[2:3], v[2:3] op_sel:[0,1]
.LBB14_289:
	s_waitcnt vmcnt(0)
	v_mul_lo_u32 v2, v12, s12
	v_ashrrev_i32_e32 v3, 31, v2
	v_mov_b32_e32 v5, s9
	v_add_co_u32_e32 v4, vcc, s8, v2
	v_mov_b32_e32 v2, 11
	v_addc_co_u32_e32 v5, vcc, v5, v3, vcc
	v_cmp_lt_i16_sdwa s[2:3], s33, v2 src0_sel:BYTE_0 src1_sel:DWORD
	s_and_b64 vcc, exec, s[2:3]
	s_cbranch_vccnz .LBB14_296
; %bb.290:
	v_mov_b32_e32 v2, 25
	v_cmp_gt_i16_sdwa s[2:3], s33, v2 src0_sel:BYTE_0 src1_sel:DWORD
	s_and_b64 vcc, exec, s[2:3]
	s_cbranch_vccz .LBB14_297
; %bb.291:
	v_mov_b32_e32 v2, 28
	v_cmp_gt_i16_sdwa s[2:3], s33, v2 src0_sel:BYTE_0 src1_sel:DWORD
	s_and_b64 vcc, exec, s[2:3]
	s_cbranch_vccz .LBB14_298
	;; [unrolled: 5-line block ×4, first 2 shown]
; %bb.294:
	v_mov_b32_e32 v2, 46
	v_cmp_eq_u16_sdwa s[28:29], s33, v2 src0_sel:BYTE_0 src1_sel:DWORD
	s_mov_b64 s[34:35], 0
	s_mov_b64 s[2:3], -1
	s_and_b64 vcc, exec, s[28:29]
	s_mov_b64 s[28:29], 0
	s_cbranch_vccz .LBB14_310
; %bb.295:
	v_cvt_f32_f64_e32 v2, v[0:1]
	v_bfe_u32 v3, v2, 16, 1
	s_movk_i32 s2, 0x7fff
	v_add3_u32 v3, v2, v3, s2
	v_lshrrev_b32_e32 v3, 16, v3
	v_mov_b32_e32 v6, 0x7fc0
	v_cmp_o_f32_e32 vcc, v2, v2
	v_cndmask_b32_e32 v2, v6, v3, vcc
	global_store_dword v[4:5], v2, off
	s_mov_b64 s[28:29], -1
	s_mov_b64 s[2:3], 0
	s_branch .LBB14_310
.LBB14_296:
	s_mov_b64 s[34:35], -1
	s_mov_b64 s[28:29], 0
	s_mov_b64 s[2:3], s[20:21]
	s_branch .LBB14_379
.LBB14_297:
	s_mov_b64 s[34:35], -1
	s_mov_b64 s[28:29], 0
	s_mov_b64 s[2:3], s[20:21]
	s_branch .LBB14_337
.LBB14_298:
	s_mov_b64 s[34:35], -1
	s_mov_b64 s[28:29], 0
	s_mov_b64 s[2:3], s[20:21]
	s_branch .LBB14_320
.LBB14_299:
	s_or_saveexec_b64 s[30:31], s[30:31]
                                        ; implicit-def: $sgpr34
	s_xor_b64 exec, exec, s[30:31]
	s_cbranch_execz .LBB14_65
.LBB14_300:
	s_mov_b32 s34, 0x46000000
	v_add_f32_e64 v3, |v2|, s34
	v_and_b32_e32 v3, 0xff, v3
	v_cmp_ne_u32_e32 vcc, 0, v3
	s_andn2_b64 s[26:27], s[26:27], exec
	s_and_b64 s[36:37], vcc, exec
	s_mov_b32 s34, 0
	s_or_b64 s[26:27], s[26:27], s[36:37]
	s_or_b64 exec, exec, s[30:31]
	v_mov_b32_e32 v6, s34
	s_and_saveexec_b64 s[30:31], s[26:27]
	s_cbranch_execnz .LBB14_66
	s_branch .LBB14_67
.LBB14_301:
	s_mov_b64 s[28:29], -1
	s_mov_b64 s[2:3], 0
	s_mov_b64 s[26:27], s[22:23]
                                        ; implicit-def: $vgpr2_vgpr3
	s_branch .LBB14_306
.LBB14_302:
	s_mov_b64 s[34:35], -1
	s_mov_b64 s[28:29], 0
	s_mov_b64 s[2:3], s[20:21]
	s_branch .LBB14_316
.LBB14_303:
	s_or_saveexec_b64 s[30:31], s[30:31]
                                        ; implicit-def: $sgpr34
	s_xor_b64 exec, exec, s[30:31]
	s_cbranch_execz .LBB14_78
.LBB14_304:
	s_mov_b32 s34, 0x42800000
	v_add_f32_e64 v3, |v2|, s34
	v_and_b32_e32 v3, 0xff, v3
	v_cmp_ne_u32_e32 vcc, 0, v3
	s_andn2_b64 s[26:27], s[26:27], exec
	s_and_b64 s[36:37], vcc, exec
	s_mov_b32 s34, 0
	s_or_b64 s[26:27], s[26:27], s[36:37]
	s_or_b64 exec, exec, s[30:31]
	v_mov_b32_e32 v6, s34
	s_and_saveexec_b64 s[30:31], s[26:27]
	s_cbranch_execnz .LBB14_79
	s_branch .LBB14_80
.LBB14_305:
	s_mov_b64 s[26:27], -1
                                        ; implicit-def: $vgpr2_vgpr3
	s_mov_b64 s[2:3], 0
.LBB14_306:
	s_and_b64 vcc, exec, s[28:29]
	s_cbranch_vccz .LBB14_422
; %bb.307:
	v_cmp_eq_u16_e32 vcc, 44, v13
	s_cbranch_vccz .LBB14_421
; %bb.308:
	global_load_ubyte v4, v[0:1], off
	s_movk_i32 s26, 0xff
	v_bfrev_b32_e32 v5, 4
	v_mov_b32_e32 v6, 0x7ff80000
	v_bfrev_b32_e32 v7, 28
	s_mov_b64 s[2:3], -1
	s_waitcnt vmcnt(0)
	v_lshlrev_b32_e32 v2, 23, v4
	v_cvt_f64_f32_e32 v[2:3], v2
	v_cmp_ne_u32_e32 vcc, s26, v4
	v_cndmask_b32_e32 v2, v5, v2, vcc
	v_cndmask_b32_e32 v3, v6, v3, vcc
	v_cmp_ne_u32_e32 vcc, 0, v4
	v_cndmask_b32_e32 v3, v7, v3, vcc
	v_cndmask_b32_e32 v2, 0, v2, vcc
	s_mov_b64 s[26:27], 0
	s_branch .LBB14_422
.LBB14_309:
	s_mov_b64 s[34:35], -1
	s_mov_b64 s[28:29], 0
	s_mov_b64 s[2:3], s[20:21]
.LBB14_310:
	s_and_b64 vcc, exec, s[34:35]
	s_cbranch_vccz .LBB14_315
; %bb.311:
	v_mov_b32_e32 v2, 44
	v_cmp_eq_u16_sdwa s[34:35], s33, v2 src0_sel:BYTE_0 src1_sel:DWORD
	s_mov_b64 s[2:3], -1
	s_and_b64 vcc, exec, s[34:35]
	s_cbranch_vccz .LBB14_315
; %bb.312:
	v_cvt_f32_f64_e32 v2, v[0:1]
	v_bfe_u32 v3, v2, 23, 8
	s_movk_i32 s2, 0xff
	v_cmp_ne_u32_e32 vcc, s2, v3
	v_mov_b32_e32 v6, 0xff
	s_and_saveexec_b64 s[28:29], vcc
; %bb.313:
	s_mov_b32 s2, 0x3fffff
	v_lshrrev_b32_e32 v6, 23, v2
	v_and_b32_e32 v7, 0x400000, v2
	v_and_or_b32 v2, v2, s2, v3
	v_cmp_ne_u32_e32 vcc, 0, v7
	v_cmp_ne_u32_e64 s[2:3], 0, v2
	s_and_b64 s[2:3], vcc, s[2:3]
	v_cndmask_b32_e64 v2, 0, 1, s[2:3]
	v_add_u32_e32 v6, v6, v2
; %bb.314:
	s_or_b64 exec, exec, s[28:29]
	s_mov_b64 s[28:29], -1
	s_mov_b64 s[2:3], 0
	global_store_byte v[4:5], v6, off
.LBB14_315:
	s_mov_b64 s[34:35], 0
.LBB14_316:
	s_and_b64 vcc, exec, s[34:35]
	s_cbranch_vccz .LBB14_319
; %bb.317:
	v_mov_b32_e32 v2, 29
	v_cmp_eq_u16_sdwa s[34:35], s33, v2 src0_sel:BYTE_0 src1_sel:DWORD
	s_mov_b64 s[2:3], -1
	s_and_b64 vcc, exec, s[34:35]
	s_cbranch_vccz .LBB14_319
; %bb.318:
	v_trunc_f64_e32 v[2:3], v[0:1]
	s_movk_i32 s2, 0xffe0
	v_ldexp_f64 v[6:7], v[2:3], s2
	v_floor_f64_e32 v[6:7], v[6:7]
	v_fmac_f64_e32 v[2:3], 0xc1f00000, v[6:7]
	v_cvt_u32_f64_e32 v9, v[6:7]
	v_cvt_u32_f64_e32 v8, v[2:3]
	global_store_dwordx2 v[4:5], v[8:9], off
	s_mov_b64 s[28:29], -1
	s_mov_b64 s[2:3], 0
.LBB14_319:
	s_mov_b64 s[34:35], 0
.LBB14_320:
	s_and_b64 vcc, exec, s[34:35]
	s_cbranch_vccz .LBB14_336
; %bb.321:
	v_mov_b32_e32 v2, 27
	v_cmp_lt_i16_sdwa s[34:35], s33, v2 src0_sel:BYTE_0 src1_sel:DWORD
	s_mov_b64 s[28:29], -1
	s_and_b64 vcc, exec, s[34:35]
	s_cbranch_vccnz .LBB14_327
; %bb.322:
	v_cmp_gt_i16_sdwa s[34:35], s33, v2 src0_sel:BYTE_0 src1_sel:DWORD
	s_and_b64 vcc, exec, s[34:35]
	v_cvt_u32_f64_e32 v2, v[0:1]
	s_cbranch_vccz .LBB14_324
; %bb.323:
	s_mov_b64 s[28:29], 0
	global_store_dword v[4:5], v2, off
.LBB14_324:
	s_andn2_b64 vcc, exec, s[28:29]
	s_cbranch_vccnz .LBB14_326
; %bb.325:
	global_store_short v[4:5], v2, off
.LBB14_326:
	s_mov_b64 s[28:29], 0
.LBB14_327:
	s_andn2_b64 vcc, exec, s[28:29]
	s_cbranch_vccnz .LBB14_335
; %bb.328:
	v_cvt_f32_f64_e32 v2, v[0:1]
	v_and_b32_e32 v3, 0x7fffffff, v2
	s_mov_b32 s28, 0x43800000
	v_cmp_gt_u32_e32 vcc, s28, v3
	v_mov_b32_e32 v6, 0x80
	s_and_saveexec_b64 s[28:29], vcc
	s_cbranch_execz .LBB14_334
; %bb.329:
	s_mov_b32 s34, 0x3bffffff
	v_cmp_lt_u32_e32 vcc, s34, v3
	s_mov_b64 s[34:35], 0
                                        ; implicit-def: $vgpr3
	s_and_saveexec_b64 s[36:37], vcc
	s_xor_b64 s[36:37], exec, s[36:37]
	s_cbranch_execz .LBB14_546
; %bb.330:
	v_bfe_u32 v3, v2, 20, 1
	s_mov_b32 s38, 0x487ffff
	v_add3_u32 v3, v2, v3, s38
	s_mov_b64 s[34:35], exec
	v_lshrrev_b32_e32 v3, 20, v3
	s_or_saveexec_b64 s[36:37], s[36:37]
                                        ; implicit-def: $sgpr38
	s_xor_b64 exec, exec, s[36:37]
	s_cbranch_execnz .LBB14_547
.LBB14_331:
	s_or_b64 exec, exec, s[36:37]
	v_mov_b32_e32 v6, s38
	s_and_saveexec_b64 s[36:37], s[34:35]
.LBB14_332:
	v_lshrrev_b32_e32 v2, 24, v2
	s_movk_i32 s34, 0x80
	v_and_or_b32 v6, v2, s34, v3
.LBB14_333:
	s_or_b64 exec, exec, s[36:37]
.LBB14_334:
	s_or_b64 exec, exec, s[28:29]
	global_store_byte v[4:5], v6, off
.LBB14_335:
	s_mov_b64 s[28:29], -1
.LBB14_336:
	s_mov_b64 s[34:35], 0
.LBB14_337:
	s_and_b64 vcc, exec, s[34:35]
	s_cbranch_vccz .LBB14_378
; %bb.338:
	v_mov_b32_e32 v2, 22
	v_cmp_gt_i16_sdwa s[36:37], s33, v2 src0_sel:BYTE_0 src1_sel:DWORD
	s_mov_b64 s[34:35], -1
	s_and_b64 vcc, exec, s[36:37]
	s_cbranch_vccz .LBB14_370
; %bb.339:
	v_mov_b32_e32 v2, 24
	v_cmp_lt_i16_sdwa s[34:35], s33, v2 src0_sel:BYTE_0 src1_sel:DWORD
	s_mov_b64 s[28:29], -1
	s_and_b64 vcc, exec, s[34:35]
	s_cbranch_vccnz .LBB14_359
; %bb.340:
	v_cmp_gt_i16_sdwa s[34:35], s33, v2 src0_sel:BYTE_0 src1_sel:DWORD
	s_and_b64 vcc, exec, s[34:35]
	s_cbranch_vccz .LBB14_348
; %bb.341:
	v_cvt_f32_f64_e32 v2, v[0:1]
	v_and_b32_e32 v3, 0x7fffffff, v2
	s_mov_b32 s28, 0x47800000
	v_cmp_gt_u32_e32 vcc, s28, v3
	v_mov_b32_e32 v6, 0x80
	s_and_saveexec_b64 s[28:29], vcc
	s_cbranch_execz .LBB14_347
; %bb.342:
	s_mov_b32 s34, 0x37ffffff
	v_cmp_lt_u32_e32 vcc, s34, v3
	s_mov_b64 s[34:35], 0
                                        ; implicit-def: $vgpr3
	s_and_saveexec_b64 s[36:37], vcc
	s_xor_b64 s[36:37], exec, s[36:37]
	s_cbranch_execz .LBB14_549
; %bb.343:
	v_bfe_u32 v3, v2, 21, 1
	s_mov_b32 s38, 0x88fffff
	v_add3_u32 v3, v2, v3, s38
	s_mov_b64 s[34:35], exec
	v_lshrrev_b32_e32 v3, 21, v3
	s_or_saveexec_b64 s[36:37], s[36:37]
                                        ; implicit-def: $sgpr38
	s_xor_b64 exec, exec, s[36:37]
	s_cbranch_execnz .LBB14_550
.LBB14_344:
	s_or_b64 exec, exec, s[36:37]
	v_mov_b32_e32 v6, s38
	s_and_saveexec_b64 s[36:37], s[34:35]
.LBB14_345:
	v_lshrrev_b32_e32 v2, 24, v2
	s_movk_i32 s34, 0x80
	v_and_or_b32 v6, v2, s34, v3
.LBB14_346:
	s_or_b64 exec, exec, s[36:37]
.LBB14_347:
	s_or_b64 exec, exec, s[28:29]
	s_mov_b64 s[28:29], 0
	global_store_byte v[4:5], v6, off
.LBB14_348:
	s_and_b64 vcc, exec, s[28:29]
	s_cbranch_vccz .LBB14_358
; %bb.349:
	v_cvt_f32_f64_e32 v2, v[0:1]
	v_and_b32_e32 v6, 0x7fffffff, v2
	s_mov_b32 s28, 0x43f00000
	v_cmp_gt_u32_e32 vcc, s28, v6
                                        ; implicit-def: $vgpr3
	s_and_saveexec_b64 s[28:29], vcc
	s_xor_b64 s[28:29], exec, s[28:29]
	s_cbranch_execz .LBB14_355
; %bb.350:
	s_mov_b32 s34, 0x3c7fffff
	v_cmp_lt_u32_e32 vcc, s34, v6
                                        ; implicit-def: $vgpr3
	s_and_saveexec_b64 s[34:35], vcc
	s_xor_b64 s[34:35], exec, s[34:35]
; %bb.351:
	v_bfe_u32 v3, v2, 20, 1
	s_mov_b32 s36, 0x407ffff
	v_add3_u32 v3, v2, v3, s36
	v_lshrrev_b32_e32 v6, 20, v3
	v_and_b32_e32 v3, 0xff00000, v3
	s_mov_b32 s36, 0x7f00000
	v_mov_b32_e32 v7, 0x7e
	v_cmp_ne_u32_e32 vcc, s36, v3
	v_cndmask_b32_e32 v3, v7, v6, vcc
; %bb.352:
	s_andn2_saveexec_b64 s[34:35], s[34:35]
; %bb.353:
	s_mov_b32 s36, 0x46800000
	v_add_f32_e64 v3, |v2|, s36
; %bb.354:
	s_or_b64 exec, exec, s[34:35]
                                        ; implicit-def: $vgpr6
.LBB14_355:
	s_andn2_saveexec_b64 s[28:29], s[28:29]
; %bb.356:
	s_mov_b32 s34, 0x7f800000
	v_mov_b32_e32 v3, 0x7e
	v_mov_b32_e32 v7, 0x7f
	v_cmp_lt_u32_e32 vcc, s34, v6
	v_cndmask_b32_e32 v3, v3, v7, vcc
; %bb.357:
	s_or_b64 exec, exec, s[28:29]
	v_lshrrev_b32_e32 v2, 24, v2
	s_movk_i32 s28, 0x80
	v_and_or_b32 v2, v2, s28, v3
	global_store_byte v[4:5], v2, off
.LBB14_358:
	s_mov_b64 s[28:29], 0
.LBB14_359:
	s_andn2_b64 vcc, exec, s[28:29]
	s_cbranch_vccnz .LBB14_369
; %bb.360:
	v_cvt_f32_f64_e32 v2, v[0:1]
	v_and_b32_e32 v6, 0x7fffffff, v2
	s_mov_b32 s28, 0x47800000
	v_cmp_gt_u32_e32 vcc, s28, v6
                                        ; implicit-def: $vgpr3
	s_and_saveexec_b64 s[28:29], vcc
	s_xor_b64 s[28:29], exec, s[28:29]
	s_cbranch_execz .LBB14_366
; %bb.361:
	s_mov_b32 s34, 0x387fffff
	v_cmp_lt_u32_e32 vcc, s34, v6
                                        ; implicit-def: $vgpr3
	s_and_saveexec_b64 s[34:35], vcc
	s_xor_b64 s[34:35], exec, s[34:35]
; %bb.362:
	v_bfe_u32 v3, v2, 21, 1
	s_mov_b32 s36, 0x80fffff
	v_add3_u32 v3, v2, v3, s36
	v_lshrrev_b32_e32 v3, 21, v3
; %bb.363:
	s_andn2_saveexec_b64 s[34:35], s[34:35]
; %bb.364:
	s_mov_b32 s36, 0x43000000
	v_add_f32_e64 v3, |v2|, s36
; %bb.365:
	s_or_b64 exec, exec, s[34:35]
                                        ; implicit-def: $vgpr6
.LBB14_366:
	s_andn2_saveexec_b64 s[28:29], s[28:29]
; %bb.367:
	s_mov_b32 s34, 0x7f800000
	v_mov_b32_e32 v3, 0x7c
	v_mov_b32_e32 v7, 0x7f
	v_cmp_lt_u32_e32 vcc, s34, v6
	v_cndmask_b32_e32 v3, v3, v7, vcc
; %bb.368:
	s_or_b64 exec, exec, s[28:29]
	v_lshrrev_b32_e32 v2, 24, v2
	s_movk_i32 s28, 0x80
	v_and_or_b32 v2, v2, s28, v3
	global_store_byte v[4:5], v2, off
.LBB14_369:
	s_mov_b64 s[34:35], 0
	s_mov_b64 s[28:29], -1
.LBB14_370:
	s_andn2_b64 vcc, exec, s[34:35]
	s_cbranch_vccnz .LBB14_378
; %bb.371:
	v_mov_b32_e32 v2, 14
	v_cmp_gt_i16_sdwa s[36:37], s33, v2 src0_sel:BYTE_0 src1_sel:DWORD
	s_mov_b64 s[34:35], -1
	s_and_b64 vcc, exec, s[36:37]
	s_cbranch_vccz .LBB14_375
; %bb.372:
	v_mov_b32_e32 v2, 15
	v_cmp_eq_u16_sdwa s[34:35], s33, v2 src0_sel:BYTE_0 src1_sel:DWORD
	s_mov_b64 s[2:3], -1
	s_and_b64 vcc, exec, s[34:35]
	s_cbranch_vccz .LBB14_374
; %bb.373:
	v_cvt_f32_f64_e32 v2, v[0:1]
	v_bfe_u32 v3, v2, 16, 1
	s_movk_i32 s2, 0x7fff
	v_add3_u32 v3, v2, v3, s2
	v_lshrrev_b32_e32 v3, 16, v3
	v_mov_b32_e32 v6, 0x7fc0
	v_cmp_o_f32_e32 vcc, v2, v2
	v_cndmask_b32_e32 v2, v6, v3, vcc
	global_store_short v[4:5], v2, off
	s_mov_b64 s[28:29], -1
	s_mov_b64 s[2:3], 0
.LBB14_374:
	s_mov_b64 s[34:35], 0
.LBB14_375:
	s_and_b64 vcc, exec, s[34:35]
	s_cbranch_vccz .LBB14_378
; %bb.376:
	v_mov_b32_e32 v2, 11
	v_cmp_eq_u16_sdwa s[34:35], s33, v2 src0_sel:BYTE_0 src1_sel:DWORD
	s_mov_b64 s[2:3], -1
	s_and_b64 vcc, exec, s[34:35]
	s_cbranch_vccz .LBB14_378
; %bb.377:
	v_cmp_neq_f64_e32 vcc, 0, v[0:1]
	s_mov_b64 s[2:3], 0
	v_cndmask_b32_e64 v2, 0, 1, vcc
	s_mov_b64 s[28:29], -1
	global_store_byte v[4:5], v2, off
.LBB14_378:
	s_mov_b64 s[34:35], 0
.LBB14_379:
	s_and_b64 vcc, exec, s[34:35]
	s_cbranch_vccz .LBB14_418
; %bb.380:
	v_mov_b32_e32 v2, 5
	v_cmp_lt_i16_sdwa s[34:35], s33, v2 src0_sel:BYTE_0 src1_sel:DWORD
	s_mov_b64 s[28:29], -1
	s_and_b64 vcc, exec, s[34:35]
	s_cbranch_vccnz .LBB14_401
; %bb.381:
	v_mov_b32_e32 v2, 8
	v_cmp_lt_i16_sdwa s[34:35], s33, v2 src0_sel:BYTE_0 src1_sel:DWORD
	s_and_b64 vcc, exec, s[34:35]
	s_cbranch_vccnz .LBB14_391
; %bb.382:
	v_mov_b32_e32 v2, 9
	v_cmp_lt_i16_sdwa s[34:35], s33, v2 src0_sel:BYTE_0 src1_sel:DWORD
	s_and_b64 vcc, exec, s[34:35]
	s_cbranch_vccnz .LBB14_388
; %bb.383:
	v_cmp_gt_i16_sdwa s[34:35], s33, v2 src0_sel:BYTE_0 src1_sel:DWORD
	s_and_b64 vcc, exec, s[34:35]
	s_cbranch_vccz .LBB14_385
; %bb.384:
	v_mov_b32_e32 v2, 0
	v_mov_b32_e32 v3, v2
	s_mov_b64 s[28:29], 0
	global_store_dwordx4 v[4:5], v[0:3], off
.LBB14_385:
	s_andn2_b64 vcc, exec, s[28:29]
	s_cbranch_vccnz .LBB14_387
; %bb.386:
	v_cvt_f32_f64_e32 v2, v[0:1]
	v_mov_b32_e32 v3, 0
	global_store_dwordx2 v[4:5], v[2:3], off
.LBB14_387:
	s_mov_b64 s[28:29], 0
.LBB14_388:
	s_andn2_b64 vcc, exec, s[28:29]
	s_cbranch_vccnz .LBB14_390
; %bb.389:
	v_cvt_f32_f64_e32 v2, v[0:1]
	v_cvt_f16_f32_e32 v2, v2
	global_store_dword v[4:5], v2, off
.LBB14_390:
	s_mov_b64 s[28:29], 0
.LBB14_391:
	s_andn2_b64 vcc, exec, s[28:29]
	s_cbranch_vccnz .LBB14_400
; %bb.392:
	v_mov_b32_e32 v2, 6
	v_cmp_lt_i16_sdwa s[34:35], s33, v2 src0_sel:BYTE_0 src1_sel:DWORD
	s_mov_b64 s[28:29], -1
	s_and_b64 vcc, exec, s[34:35]
	s_cbranch_vccnz .LBB14_398
; %bb.393:
	v_cmp_gt_i16_sdwa s[34:35], s33, v2 src0_sel:BYTE_0 src1_sel:DWORD
	s_and_b64 vcc, exec, s[34:35]
	s_cbranch_vccz .LBB14_395
; %bb.394:
	s_mov_b64 s[28:29], 0
	global_store_dwordx2 v[4:5], v[0:1], off
.LBB14_395:
	s_andn2_b64 vcc, exec, s[28:29]
	s_cbranch_vccnz .LBB14_397
; %bb.396:
	v_cvt_f32_f64_e32 v2, v[0:1]
	global_store_dword v[4:5], v2, off
.LBB14_397:
	s_mov_b64 s[28:29], 0
.LBB14_398:
	s_andn2_b64 vcc, exec, s[28:29]
	s_cbranch_vccnz .LBB14_400
; %bb.399:
	v_cvt_f32_f64_e32 v2, v[0:1]
	v_cvt_f16_f32_e32 v2, v2
	global_store_short v[4:5], v2, off
.LBB14_400:
	s_mov_b64 s[28:29], 0
.LBB14_401:
	s_andn2_b64 vcc, exec, s[28:29]
	s_cbranch_vccnz .LBB14_417
; %bb.402:
	v_mov_b32_e32 v2, 2
	v_cmp_lt_i16_sdwa s[34:35], s33, v2 src0_sel:BYTE_0 src1_sel:DWORD
	s_mov_b64 s[28:29], -1
	s_and_b64 vcc, exec, s[34:35]
	s_cbranch_vccnz .LBB14_412
; %bb.403:
	v_mov_b32_e32 v2, 3
	v_cmp_lt_i16_sdwa s[34:35], s33, v2 src0_sel:BYTE_0 src1_sel:DWORD
	s_and_b64 vcc, exec, s[34:35]
	s_cbranch_vccnz .LBB14_409
; %bb.404:
	v_cmp_gt_i16_sdwa s[34:35], s33, v2 src0_sel:BYTE_0 src1_sel:DWORD
	s_and_b64 vcc, exec, s[34:35]
	s_cbranch_vccz .LBB14_406
; %bb.405:
	v_trunc_f64_e32 v[2:3], v[0:1]
	s_movk_i32 s28, 0xffe0
	v_ldexp_f64 v[6:7], v[2:3], s28
	v_floor_f64_e32 v[6:7], v[6:7]
	v_fmac_f64_e32 v[2:3], 0xc1f00000, v[6:7]
	v_cvt_i32_f64_e32 v9, v[6:7]
	v_cvt_u32_f64_e32 v8, v[2:3]
	s_mov_b64 s[28:29], 0
	global_store_dwordx2 v[4:5], v[8:9], off
.LBB14_406:
	s_andn2_b64 vcc, exec, s[28:29]
	s_cbranch_vccnz .LBB14_408
; %bb.407:
	v_cvt_i32_f64_e32 v2, v[0:1]
	global_store_dword v[4:5], v2, off
.LBB14_408:
	s_mov_b64 s[28:29], 0
.LBB14_409:
	s_andn2_b64 vcc, exec, s[28:29]
	s_cbranch_vccnz .LBB14_411
; %bb.410:
	v_cvt_i32_f64_e32 v2, v[0:1]
	global_store_short v[4:5], v2, off
.LBB14_411:
	s_mov_b64 s[28:29], 0
.LBB14_412:
	s_andn2_b64 vcc, exec, s[28:29]
	s_cbranch_vccnz .LBB14_417
; %bb.413:
	v_mov_b32_e32 v2, 0
	v_cmp_gt_i16_sdwa s[34:35], s33, v2 src0_sel:BYTE_0 src1_sel:DWORD
	s_mov_b64 s[28:29], -1
	s_and_b64 vcc, exec, s[34:35]
	s_cbranch_vccz .LBB14_415
; %bb.414:
	v_cvt_i32_f64_e32 v2, v[0:1]
	s_mov_b64 s[28:29], 0
	global_store_byte v[4:5], v2, off
.LBB14_415:
	s_andn2_b64 vcc, exec, s[28:29]
	s_cbranch_vccnz .LBB14_417
; %bb.416:
	v_trunc_f64_e32 v[0:1], v[0:1]
	s_movk_i32 s28, 0xffe0
	v_ldexp_f64 v[2:3], v[0:1], s28
	v_floor_f64_e32 v[2:3], v[2:3]
	v_fmac_f64_e32 v[0:1], 0xc1f00000, v[2:3]
	v_cvt_u32_f64_e32 v0, v[0:1]
	global_store_byte v[4:5], v0, off
.LBB14_417:
	s_mov_b64 s[28:29], -1
.LBB14_418:
	s_andn2_b64 vcc, exec, s[28:29]
	s_cbranch_vccnz .LBB14_420
; %bb.419:
	v_add_u32_e32 v12, 0x80, v12
	s_mov_b64 s[34:35], -1
	s_branch .LBB14_532
.LBB14_420:
	s_mov_b64 s[34:35], 0
                                        ; implicit-def: $vgpr12
	s_branch .LBB14_532
.LBB14_421:
	s_mov_b64 s[26:27], -1
                                        ; implicit-def: $vgpr2_vgpr3
.LBB14_422:
	s_mov_b64 s[28:29], 0
.LBB14_423:
	s_and_b64 vcc, exec, s[28:29]
	s_cbranch_vccz .LBB14_427
; %bb.424:
	v_cmp_eq_u16_e32 vcc, 29, v13
	s_cbranch_vccz .LBB14_426
; %bb.425:
	global_load_dwordx2 v[2:3], v[0:1], off
	s_mov_b64 s[2:3], -1
	s_mov_b64 s[26:27], 0
	s_mov_b64 s[28:29], 0
	s_waitcnt vmcnt(0)
	v_cvt_f64_u32_e32 v[4:5], v3
	v_cvt_f64_u32_e32 v[2:3], v2
	v_ldexp_f64 v[4:5], v[4:5], 32
	v_add_f64 v[2:3], v[4:5], v[2:3]
	s_branch .LBB14_428
.LBB14_426:
	s_mov_b64 s[26:27], -1
                                        ; implicit-def: $vgpr2_vgpr3
.LBB14_427:
	s_mov_b64 s[28:29], 0
.LBB14_428:
	s_and_b64 vcc, exec, s[28:29]
	s_cbranch_vccz .LBB14_446
; %bb.429:
	v_cmp_gt_i16_e32 vcc, 27, v13
	s_cbranch_vccnz .LBB14_432
; %bb.430:
	v_cmp_lt_i16_e32 vcc, 27, v13
	s_cbranch_vccz .LBB14_433
; %bb.431:
	global_load_dword v2, v[0:1], off
	s_mov_b64 s[2:3], 0
	s_waitcnt vmcnt(0)
	v_cvt_f64_u32_e32 v[2:3], v2
	s_branch .LBB14_434
.LBB14_432:
	s_mov_b64 s[2:3], -1
                                        ; implicit-def: $vgpr2_vgpr3
	s_branch .LBB14_437
.LBB14_433:
	s_mov_b64 s[2:3], -1
                                        ; implicit-def: $vgpr2_vgpr3
.LBB14_434:
	s_andn2_b64 vcc, exec, s[2:3]
	s_cbranch_vccnz .LBB14_436
; %bb.435:
	global_load_ushort v2, v[0:1], off
	s_waitcnt vmcnt(0)
	v_cvt_f64_u32_e32 v[2:3], v2
.LBB14_436:
	s_mov_b64 s[2:3], 0
.LBB14_437:
	s_andn2_b64 vcc, exec, s[2:3]
	s_cbranch_vccnz .LBB14_445
; %bb.438:
	global_load_ubyte v4, v[0:1], off
	s_movk_i32 s2, 0x7f
                                        ; implicit-def: $sgpr28_sgpr29
	s_waitcnt vmcnt(0)
	v_cmp_lt_i16_e32 vcc, s2, v4
	s_mov_b64 s[2:3], 0
	s_and_saveexec_b64 s[34:35], vcc
	s_xor_b64 s[34:35], exec, s[34:35]
	s_cbranch_execz .LBB14_459
; %bb.439:
	s_movk_i32 s2, 0x80
	v_cmp_eq_u16_e32 vcc, s2, v4
	s_mov_b64 s[36:37], -1
                                        ; implicit-def: $sgpr28_sgpr29
	s_and_saveexec_b64 s[2:3], vcc
; %bb.440:
	s_mov_b32 s29, 0x7ff80000
	s_brev_b32 s28, 4
	s_xor_b64 s[36:37], exec, -1
; %bb.441:
	s_or_b64 exec, exec, s[2:3]
	s_and_b64 s[2:3], s[36:37], exec
	s_or_saveexec_b64 s[34:35], s[34:35]
	v_pk_mov_b32 v[2:3], s[28:29], s[28:29] op_sel:[0,1]
	s_xor_b64 exec, exec, s[34:35]
	s_cbranch_execnz .LBB14_460
.LBB14_442:
	s_or_b64 exec, exec, s[34:35]
	s_and_saveexec_b64 s[28:29], s[2:3]
	s_cbranch_execz .LBB14_444
.LBB14_443:
	v_and_b32_e32 v3, 0xffff, v4
	v_lshlrev_b32_e32 v2, 24, v4
	v_and_b32_e32 v4, 7, v3
	v_ffbh_u32_e32 v6, v4
	v_min_u32_e32 v6, 32, v6
	v_subrev_u32_e32 v7, 28, v6
	v_bfe_u32 v5, v3, 3, 4
	v_lshlrev_b32_e32 v3, v7, v3
	v_sub_u32_e32 v6, 29, v6
	v_and_b32_e32 v3, 7, v3
	v_cmp_eq_u32_e32 vcc, 0, v5
	v_cndmask_b32_e32 v5, v5, v6, vcc
	v_cndmask_b32_e32 v3, v4, v3, vcc
	v_mov_b32_e32 v4, 0x3b800000
	v_lshlrev_b32_e32 v3, 20, v3
	v_and_b32_e32 v2, 0x80000000, v2
	v_lshl_add_u32 v4, v5, 23, v4
	v_or3_b32 v2, v2, v4, v3
	v_cvt_f64_f32_e32 v[2:3], v2
.LBB14_444:
	s_or_b64 exec, exec, s[28:29]
.LBB14_445:
	s_mov_b64 s[2:3], -1
.LBB14_446:
	s_mov_b64 s[28:29], 0
.LBB14_447:
	s_and_b64 vcc, exec, s[28:29]
	s_cbranch_vccz .LBB14_482
; %bb.448:
	v_cmp_lt_i16_e32 vcc, 22, v13
	s_cbranch_vccz .LBB14_458
; %bb.449:
	v_cmp_gt_i16_e32 vcc, 24, v13
	s_cbranch_vccnz .LBB14_461
; %bb.450:
	v_cmp_lt_i16_e32 vcc, 24, v13
	s_cbranch_vccz .LBB14_462
; %bb.451:
	global_load_ubyte v4, v[0:1], off
	s_movk_i32 s2, 0x7f
                                        ; implicit-def: $sgpr28_sgpr29
	s_waitcnt vmcnt(0)
	v_cmp_lt_i16_e32 vcc, s2, v4
	s_mov_b64 s[2:3], 0
	s_and_saveexec_b64 s[34:35], vcc
	s_xor_b64 s[34:35], exec, s[34:35]
	s_cbranch_execz .LBB14_474
; %bb.452:
	s_movk_i32 s2, 0x80
	v_cmp_eq_u16_e32 vcc, s2, v4
	s_mov_b64 s[36:37], -1
                                        ; implicit-def: $sgpr28_sgpr29
	s_and_saveexec_b64 s[2:3], vcc
; %bb.453:
	s_mov_b32 s29, 0x7ff80000
	s_brev_b32 s28, 4
	s_xor_b64 s[36:37], exec, -1
; %bb.454:
	s_or_b64 exec, exec, s[2:3]
	s_and_b64 s[2:3], s[36:37], exec
	s_or_saveexec_b64 s[34:35], s[34:35]
	v_pk_mov_b32 v[2:3], s[28:29], s[28:29] op_sel:[0,1]
	s_xor_b64 exec, exec, s[34:35]
	s_cbranch_execnz .LBB14_475
.LBB14_455:
	s_or_b64 exec, exec, s[34:35]
	s_and_saveexec_b64 s[28:29], s[2:3]
	s_cbranch_execz .LBB14_457
.LBB14_456:
	v_and_b32_e32 v3, 0xffff, v4
	v_lshlrev_b32_e32 v2, 24, v4
	v_and_b32_e32 v4, 3, v3
	v_ffbh_u32_e32 v6, v4
	v_min_u32_e32 v6, 32, v6
	v_subrev_u32_e32 v7, 29, v6
	v_bfe_u32 v5, v3, 2, 5
	v_lshlrev_b32_e32 v3, v7, v3
	v_sub_u32_e32 v6, 30, v6
	v_and_b32_e32 v3, 3, v3
	v_cmp_eq_u32_e32 vcc, 0, v5
	v_cndmask_b32_e32 v5, v5, v6, vcc
	v_cndmask_b32_e32 v3, v4, v3, vcc
	v_mov_b32_e32 v4, 0x37800000
	v_lshlrev_b32_e32 v3, 21, v3
	v_and_b32_e32 v2, 0x80000000, v2
	v_lshl_add_u32 v4, v5, 23, v4
	v_or3_b32 v2, v2, v4, v3
	v_cvt_f64_f32_e32 v[2:3], v2
.LBB14_457:
	s_or_b64 exec, exec, s[28:29]
	s_mov_b64 s[2:3], 0
	s_branch .LBB14_463
.LBB14_458:
	s_mov_b64 s[28:29], -1
                                        ; implicit-def: $vgpr2_vgpr3
	s_branch .LBB14_469
.LBB14_459:
	s_or_saveexec_b64 s[34:35], s[34:35]
	v_pk_mov_b32 v[2:3], s[28:29], s[28:29] op_sel:[0,1]
	s_xor_b64 exec, exec, s[34:35]
	s_cbranch_execz .LBB14_442
.LBB14_460:
	v_cmp_ne_u16_e32 vcc, 0, v4
	s_andn2_b64 s[2:3], s[2:3], exec
	s_and_b64 s[28:29], vcc, exec
	v_pk_mov_b32 v[2:3], 0, 0
	s_or_b64 s[2:3], s[2:3], s[28:29]
	s_or_b64 exec, exec, s[34:35]
	s_and_saveexec_b64 s[28:29], s[2:3]
	s_cbranch_execnz .LBB14_443
	s_branch .LBB14_444
.LBB14_461:
	s_mov_b64 s[2:3], -1
                                        ; implicit-def: $vgpr2_vgpr3
	s_branch .LBB14_466
.LBB14_462:
	s_mov_b64 s[2:3], -1
                                        ; implicit-def: $vgpr2_vgpr3
.LBB14_463:
	s_and_b64 vcc, exec, s[2:3]
	s_cbranch_vccz .LBB14_465
; %bb.464:
	global_load_ubyte v2, v[0:1], off
	s_mov_b32 s2, 0x7f800000
	s_waitcnt vmcnt(0)
	v_lshlrev_b32_e32 v2, 24, v2
	v_and_b32_e32 v3, 0x7f000000, v2
	v_ffbh_u32_e32 v4, v3
	v_min_u32_e32 v4, 32, v4
	v_sub_u32_e64 v4, v4, 4 clamp
	v_lshlrev_b32_e32 v6, v4, v3
	v_lshlrev_b32_e32 v4, 23, v4
	v_lshrrev_b32_e32 v6, 4, v6
	v_add_u32_e32 v5, 0x1000000, v3
	v_sub_u32_e32 v4, v6, v4
	v_ashrrev_i32_e32 v5, 8, v5
	v_add_u32_e32 v4, 0x3c000000, v4
	v_and_or_b32 v4, v5, s2, v4
	v_cmp_ne_u32_e32 vcc, 0, v3
	v_cndmask_b32_e32 v3, 0, v4, vcc
	s_brev_b32 s2, 1
	v_and_or_b32 v2, v2, s2, v3
	v_cvt_f64_f32_e32 v[2:3], v2
.LBB14_465:
	s_mov_b64 s[2:3], 0
.LBB14_466:
	s_andn2_b64 vcc, exec, s[2:3]
	s_cbranch_vccnz .LBB14_468
; %bb.467:
	global_load_ubyte v2, v[0:1], off
	s_movk_i32 s2, 0x7f00
	s_brev_b32 s3, 16
	s_waitcnt vmcnt(0)
	v_lshlrev_b16_e32 v3, 8, v2
	v_lshlrev_b32_e32 v2, 25, v2
	v_lshrrev_b32_e32 v4, 4, v2
	v_and_or_b32 v5, v3, s2, 0.5
	v_or_b32_e32 v4, 0x70000000, v4
	v_add_f32_e32 v5, -0.5, v5
	v_mul_f32_e32 v4, 0x7800000, v4
	v_cmp_gt_u32_e32 vcc, s3, v2
	v_bfe_i32 v3, v3, 0, 16
	v_cndmask_b32_e32 v2, v4, v5, vcc
	s_brev_b32 s2, 1
	v_and_or_b32 v2, v3, s2, v2
	v_cvt_f64_f32_e32 v[2:3], v2
.LBB14_468:
	s_mov_b64 s[28:29], 0
	s_mov_b64 s[2:3], -1
.LBB14_469:
	s_andn2_b64 vcc, exec, s[28:29]
	s_cbranch_vccnz .LBB14_482
; %bb.470:
	v_cmp_lt_i16_e32 vcc, 14, v13
	s_cbranch_vccz .LBB14_473
; %bb.471:
	v_cmp_eq_u16_e32 vcc, 15, v13
	s_cbranch_vccz .LBB14_476
; %bb.472:
	global_load_ushort v2, v[0:1], off
	s_mov_b64 s[2:3], -1
	s_mov_b64 s[26:27], 0
	s_waitcnt vmcnt(0)
	v_lshlrev_b32_e32 v2, 16, v2
	v_cvt_f64_f32_e32 v[2:3], v2
	s_branch .LBB14_477
.LBB14_473:
	s_mov_b64 s[28:29], -1
                                        ; implicit-def: $vgpr2_vgpr3
	s_branch .LBB14_478
.LBB14_474:
	s_or_saveexec_b64 s[34:35], s[34:35]
	v_pk_mov_b32 v[2:3], s[28:29], s[28:29] op_sel:[0,1]
	s_xor_b64 exec, exec, s[34:35]
	s_cbranch_execz .LBB14_455
.LBB14_475:
	v_cmp_ne_u16_e32 vcc, 0, v4
	s_andn2_b64 s[2:3], s[2:3], exec
	s_and_b64 s[28:29], vcc, exec
	v_pk_mov_b32 v[2:3], 0, 0
	s_or_b64 s[2:3], s[2:3], s[28:29]
	s_or_b64 exec, exec, s[34:35]
	s_and_saveexec_b64 s[28:29], s[2:3]
	s_cbranch_execnz .LBB14_456
	s_branch .LBB14_457
.LBB14_476:
	s_mov_b64 s[26:27], -1
                                        ; implicit-def: $vgpr2_vgpr3
.LBB14_477:
	s_mov_b64 s[28:29], 0
.LBB14_478:
	s_and_b64 vcc, exec, s[28:29]
	s_cbranch_vccz .LBB14_482
; %bb.479:
	v_cmp_eq_u16_e32 vcc, 11, v13
	s_cbranch_vccz .LBB14_481
; %bb.480:
	global_load_ubyte v3, v[0:1], off
	v_mov_b32_e32 v4, 0x3ff00000
	v_mov_b32_e32 v2, 0
	s_mov_b64 s[2:3], -1
	s_mov_b64 s[26:27], 0
	s_waitcnt vmcnt(0)
	v_cmp_ne_u16_e32 vcc, 0, v3
	v_cndmask_b32_e32 v3, 0, v4, vcc
	s_branch .LBB14_482
.LBB14_481:
	s_mov_b64 s[26:27], -1
                                        ; implicit-def: $vgpr2_vgpr3
.LBB14_482:
	s_branch .LBB14_275
.LBB14_483:
	v_cmp_gt_i16_e32 vcc, 5, v13
	s_cbranch_vccnz .LBB14_488
; %bb.484:
	v_cmp_gt_i16_e32 vcc, 8, v13
	s_cbranch_vccnz .LBB14_489
; %bb.485:
	;; [unrolled: 3-line block ×3, first 2 shown]
	v_cmp_lt_i16_e32 vcc, 9, v13
	s_cbranch_vccz .LBB14_491
; %bb.487:
	global_load_dwordx2 v[2:3], v[0:1], off
	s_mov_b64 s[2:3], 0
	s_branch .LBB14_492
.LBB14_488:
	s_mov_b64 s[2:3], -1
                                        ; implicit-def: $vgpr2_vgpr3
	s_branch .LBB14_510
.LBB14_489:
	s_mov_b64 s[2:3], -1
                                        ; implicit-def: $vgpr2_vgpr3
	s_branch .LBB14_498
.LBB14_490:
	s_mov_b64 s[2:3], -1
                                        ; implicit-def: $vgpr2_vgpr3
	s_branch .LBB14_495
.LBB14_491:
	s_mov_b64 s[2:3], -1
                                        ; implicit-def: $vgpr2_vgpr3
.LBB14_492:
	s_andn2_b64 vcc, exec, s[2:3]
	s_cbranch_vccnz .LBB14_494
; %bb.493:
	global_load_dword v2, v[0:1], off
	s_waitcnt vmcnt(0)
	v_cvt_f64_f32_e32 v[2:3], v2
.LBB14_494:
	s_mov_b64 s[2:3], 0
.LBB14_495:
	s_andn2_b64 vcc, exec, s[2:3]
	s_cbranch_vccnz .LBB14_497
; %bb.496:
	global_load_dword v2, v[0:1], off
	s_waitcnt vmcnt(0)
	v_cvt_f32_f16_e32 v2, v2
	v_cvt_f64_f32_e32 v[2:3], v2
.LBB14_497:
	s_mov_b64 s[2:3], 0
.LBB14_498:
	s_andn2_b64 vcc, exec, s[2:3]
	s_cbranch_vccnz .LBB14_509
; %bb.499:
	v_cmp_gt_i16_e32 vcc, 6, v13
	s_cbranch_vccnz .LBB14_502
; %bb.500:
	v_cmp_lt_i16_e32 vcc, 6, v13
	s_cbranch_vccz .LBB14_503
; %bb.501:
	global_load_dwordx2 v[2:3], v[0:1], off
	s_mov_b64 s[2:3], 0
	s_branch .LBB14_504
.LBB14_502:
	s_mov_b64 s[2:3], -1
                                        ; implicit-def: $vgpr2_vgpr3
	s_branch .LBB14_507
.LBB14_503:
	s_mov_b64 s[2:3], -1
                                        ; implicit-def: $vgpr2_vgpr3
.LBB14_504:
	s_andn2_b64 vcc, exec, s[2:3]
	s_cbranch_vccnz .LBB14_506
; %bb.505:
	global_load_dword v2, v[0:1], off
	s_waitcnt vmcnt(0)
	v_cvt_f64_f32_e32 v[2:3], v2
.LBB14_506:
	s_mov_b64 s[2:3], 0
.LBB14_507:
	s_andn2_b64 vcc, exec, s[2:3]
	s_cbranch_vccnz .LBB14_509
; %bb.508:
	global_load_ushort v2, v[0:1], off
	s_waitcnt vmcnt(0)
	v_cvt_f32_f16_e32 v2, v2
	v_cvt_f64_f32_e32 v[2:3], v2
.LBB14_509:
	s_mov_b64 s[2:3], 0
.LBB14_510:
	s_andn2_b64 vcc, exec, s[2:3]
	s_cbranch_vccnz .LBB14_530
; %bb.511:
	v_cmp_gt_i16_e32 vcc, 2, v13
	s_cbranch_vccnz .LBB14_515
; %bb.512:
	v_cmp_gt_i16_e32 vcc, 3, v13
	s_cbranch_vccnz .LBB14_516
; %bb.513:
	v_cmp_lt_i16_e32 vcc, 3, v13
	s_cbranch_vccz .LBB14_517
; %bb.514:
	global_load_dwordx2 v[2:3], v[0:1], off
	s_mov_b64 s[2:3], 0
	s_waitcnt vmcnt(0)
	v_cvt_f64_i32_e32 v[4:5], v3
	v_cvt_f64_u32_e32 v[2:3], v2
	v_ldexp_f64 v[4:5], v[4:5], 32
	v_add_f64 v[2:3], v[4:5], v[2:3]
	s_branch .LBB14_518
.LBB14_515:
	s_mov_b64 s[2:3], -1
                                        ; implicit-def: $vgpr2_vgpr3
	s_branch .LBB14_524
.LBB14_516:
	s_mov_b64 s[2:3], -1
                                        ; implicit-def: $vgpr2_vgpr3
	s_branch .LBB14_521
.LBB14_517:
	s_mov_b64 s[2:3], -1
                                        ; implicit-def: $vgpr2_vgpr3
.LBB14_518:
	s_andn2_b64 vcc, exec, s[2:3]
	s_cbranch_vccnz .LBB14_520
; %bb.519:
	global_load_dword v2, v[0:1], off
	s_waitcnt vmcnt(0)
	v_cvt_f64_i32_e32 v[2:3], v2
.LBB14_520:
	s_mov_b64 s[2:3], 0
.LBB14_521:
	s_andn2_b64 vcc, exec, s[2:3]
	s_cbranch_vccnz .LBB14_523
; %bb.522:
	global_load_sshort v2, v[0:1], off
	s_waitcnt vmcnt(0)
	v_cvt_f64_i32_e32 v[2:3], v2
.LBB14_523:
	s_mov_b64 s[2:3], 0
.LBB14_524:
	s_andn2_b64 vcc, exec, s[2:3]
	s_cbranch_vccnz .LBB14_530
; %bb.525:
	v_cmp_lt_i16_e32 vcc, 0, v13
	s_cbranch_vccz .LBB14_527
; %bb.526:
	global_load_sbyte v2, v[0:1], off
	s_mov_b64 s[2:3], 0
	s_waitcnt vmcnt(0)
	v_cvt_f64_i32_e32 v[2:3], v2
	s_branch .LBB14_528
.LBB14_527:
	s_mov_b64 s[2:3], -1
                                        ; implicit-def: $vgpr2_vgpr3
.LBB14_528:
	s_andn2_b64 vcc, exec, s[2:3]
	s_cbranch_vccnz .LBB14_530
; %bb.529:
	global_load_ubyte v0, v[0:1], off
	s_waitcnt vmcnt(0)
	v_cvt_f64_u32_e32 v[2:3], v0
.LBB14_530:
	s_branch .LBB14_276
.LBB14_531:
	s_mov_b64 s[34:35], 0
                                        ; implicit-def: $vgpr12
	s_mov_b64 s[2:3], s[20:21]
.LBB14_532:
	s_andn2_b64 s[28:29], s[20:21], exec
	s_and_b64 s[2:3], s[2:3], exec
	s_or_b64 s[28:29], s[28:29], s[2:3]
	s_andn2_b64 s[2:3], s[22:23], exec
	s_and_b64 s[26:27], s[26:27], exec
	s_or_b64 s[26:27], s[2:3], s[26:27]
	s_orn2_b64 s[2:3], s[34:35], exec
.LBB14_533:
	s_or_b64 exec, exec, s[30:31]
	s_mov_b64 s[36:37], 0
	s_mov_b64 s[34:35], 0
	;; [unrolled: 1-line block ×3, first 2 shown]
                                        ; implicit-def: $vgpr0_vgpr1
                                        ; implicit-def: $vgpr2_vgpr3
	s_and_saveexec_b64 s[30:31], s[2:3]
	s_cbranch_execz .LBB14_888
; %bb.534:
	v_cmp_gt_i32_e32 vcc, s46, v12
	s_mov_b64 s[42:43], -1
	s_mov_b64 s[2:3], s[26:27]
	s_mov_b64 s[38:39], s[28:29]
	s_and_saveexec_b64 s[34:35], vcc
	s_cbranch_execz .LBB14_802
; %bb.535:
	v_mul_lo_u32 v0, v12, s13
	v_ashrrev_i32_e32 v1, 31, v0
	s_waitcnt vmcnt(0)
	v_mov_b32_e32 v2, s11
	v_add_co_u32_e32 v0, vcc, s10, v0
	v_addc_co_u32_e32 v1, vcc, v2, v1, vcc
	v_cmp_gt_i16_e32 vcc, 11, v13
	s_cbranch_vccnz .LBB14_542
; %bb.536:
	v_cmp_lt_i16_e32 vcc, 25, v13
	s_cbranch_vccz .LBB14_543
; %bb.537:
	v_cmp_lt_i16_e32 vcc, 28, v13
	s_cbranch_vccz .LBB14_544
; %bb.538:
	v_cmp_lt_i16_e32 vcc, 43, v13
	s_cbranch_vccz .LBB14_545
; %bb.539:
	v_cmp_lt_i16_e32 vcc, 45, v13
	s_cbranch_vccz .LBB14_548
; %bb.540:
	v_cmp_eq_u16_e32 vcc, 46, v13
	s_mov_b64 s[38:39], 0
	s_cbranch_vccz .LBB14_551
; %bb.541:
	global_load_dword v2, v[0:1], off
	s_mov_b64 s[2:3], -1
	s_waitcnt vmcnt(0)
	v_lshlrev_b32_e32 v2, 16, v2
	v_cvt_f64_f32_e32 v[2:3], v2
	s_branch .LBB14_552
.LBB14_542:
	s_mov_b64 s[38:39], -1
	s_mov_b64 s[2:3], 0
                                        ; implicit-def: $vgpr2_vgpr3
	s_mov_b64 s[36:37], s[26:27]
	s_branch .LBB14_617
.LBB14_543:
	s_mov_b64 s[38:39], -1
	s_mov_b64 s[2:3], 0
	s_mov_b64 s[36:37], s[26:27]
                                        ; implicit-def: $vgpr2_vgpr3
	s_branch .LBB14_581
.LBB14_544:
	s_mov_b64 s[38:39], -1
	s_mov_b64 s[2:3], 0
	s_mov_b64 s[36:37], s[26:27]
                                        ; implicit-def: $vgpr2_vgpr3
	s_branch .LBB14_562
.LBB14_545:
	s_mov_b64 s[38:39], -1
	s_mov_b64 s[2:3], 0
	s_mov_b64 s[36:37], s[26:27]
                                        ; implicit-def: $vgpr2_vgpr3
	s_branch .LBB14_557
.LBB14_546:
	s_or_saveexec_b64 s[36:37], s[36:37]
                                        ; implicit-def: $sgpr38
	s_xor_b64 exec, exec, s[36:37]
	s_cbranch_execz .LBB14_331
.LBB14_547:
	s_mov_b32 s38, 0x46000000
	v_add_f32_e64 v3, |v2|, s38
	v_and_b32_e32 v3, 0xff, v3
	v_cmp_ne_u32_e32 vcc, 0, v3
	s_andn2_b64 s[34:35], s[34:35], exec
	s_and_b64 s[40:41], vcc, exec
	s_mov_b32 s38, 0
	s_or_b64 s[34:35], s[34:35], s[40:41]
	s_or_b64 exec, exec, s[36:37]
	v_mov_b32_e32 v6, s38
	s_and_saveexec_b64 s[36:37], s[34:35]
	s_cbranch_execnz .LBB14_332
	s_branch .LBB14_333
.LBB14_548:
	s_mov_b64 s[38:39], -1
	s_mov_b64 s[2:3], 0
	s_mov_b64 s[36:37], s[26:27]
                                        ; implicit-def: $vgpr2_vgpr3
	s_branch .LBB14_552
.LBB14_549:
	s_or_saveexec_b64 s[36:37], s[36:37]
                                        ; implicit-def: $sgpr38
	s_xor_b64 exec, exec, s[36:37]
	s_cbranch_execz .LBB14_344
.LBB14_550:
	s_mov_b32 s38, 0x42800000
	v_add_f32_e64 v3, |v2|, s38
	v_and_b32_e32 v3, 0xff, v3
	v_cmp_ne_u32_e32 vcc, 0, v3
	s_andn2_b64 s[34:35], s[34:35], exec
	s_and_b64 s[40:41], vcc, exec
	s_mov_b32 s38, 0
	s_or_b64 s[34:35], s[34:35], s[40:41]
	s_or_b64 exec, exec, s[36:37]
	v_mov_b32_e32 v6, s38
	s_and_saveexec_b64 s[36:37], s[34:35]
	s_cbranch_execnz .LBB14_345
	s_branch .LBB14_346
.LBB14_551:
	s_mov_b64 s[36:37], -1
                                        ; implicit-def: $vgpr2_vgpr3
	s_mov_b64 s[2:3], 0
.LBB14_552:
	s_and_b64 vcc, exec, s[38:39]
	s_cbranch_vccz .LBB14_556
; %bb.553:
	v_cmp_eq_u16_e32 vcc, 44, v13
	s_cbranch_vccz .LBB14_555
; %bb.554:
	global_load_ubyte v4, v[0:1], off
	s_movk_i32 s36, 0xff
	v_bfrev_b32_e32 v5, 4
	v_mov_b32_e32 v6, 0x7ff80000
	v_bfrev_b32_e32 v7, 28
	s_mov_b64 s[2:3], -1
	s_waitcnt vmcnt(0)
	v_lshlrev_b32_e32 v2, 23, v4
	v_cvt_f64_f32_e32 v[2:3], v2
	v_cmp_ne_u32_e32 vcc, s36, v4
	v_cndmask_b32_e32 v2, v5, v2, vcc
	v_cndmask_b32_e32 v3, v6, v3, vcc
	v_cmp_ne_u32_e32 vcc, 0, v4
	v_cndmask_b32_e32 v3, v7, v3, vcc
	v_cndmask_b32_e32 v2, 0, v2, vcc
	s_mov_b64 s[36:37], 0
	s_branch .LBB14_556
.LBB14_555:
	s_mov_b64 s[36:37], -1
                                        ; implicit-def: $vgpr2_vgpr3
.LBB14_556:
	s_mov_b64 s[38:39], 0
.LBB14_557:
	s_and_b64 vcc, exec, s[38:39]
	s_cbranch_vccz .LBB14_561
; %bb.558:
	v_cmp_eq_u16_e32 vcc, 29, v13
	s_cbranch_vccz .LBB14_560
; %bb.559:
	global_load_dwordx2 v[2:3], v[0:1], off
	s_mov_b64 s[2:3], -1
	s_mov_b64 s[36:37], 0
	s_mov_b64 s[38:39], 0
	s_waitcnt vmcnt(0)
	v_cvt_f64_u32_e32 v[4:5], v3
	v_cvt_f64_u32_e32 v[2:3], v2
	v_ldexp_f64 v[4:5], v[4:5], 32
	v_add_f64 v[2:3], v[4:5], v[2:3]
	s_branch .LBB14_562
.LBB14_560:
	s_mov_b64 s[36:37], -1
                                        ; implicit-def: $vgpr2_vgpr3
.LBB14_561:
	s_mov_b64 s[38:39], 0
.LBB14_562:
	s_and_b64 vcc, exec, s[38:39]
	s_cbranch_vccz .LBB14_580
; %bb.563:
	v_cmp_gt_i16_e32 vcc, 27, v13
	s_cbranch_vccnz .LBB14_566
; %bb.564:
	v_cmp_lt_i16_e32 vcc, 27, v13
	s_cbranch_vccz .LBB14_567
; %bb.565:
	global_load_dword v2, v[0:1], off
	s_mov_b64 s[2:3], 0
	s_waitcnt vmcnt(0)
	v_cvt_f64_u32_e32 v[2:3], v2
	s_branch .LBB14_568
.LBB14_566:
	s_mov_b64 s[2:3], -1
                                        ; implicit-def: $vgpr2_vgpr3
	s_branch .LBB14_571
.LBB14_567:
	s_mov_b64 s[2:3], -1
                                        ; implicit-def: $vgpr2_vgpr3
.LBB14_568:
	s_andn2_b64 vcc, exec, s[2:3]
	s_cbranch_vccnz .LBB14_570
; %bb.569:
	global_load_ushort v2, v[0:1], off
	s_waitcnt vmcnt(0)
	v_cvt_f64_u32_e32 v[2:3], v2
.LBB14_570:
	s_mov_b64 s[2:3], 0
.LBB14_571:
	s_andn2_b64 vcc, exec, s[2:3]
	s_cbranch_vccnz .LBB14_579
; %bb.572:
	global_load_ubyte v4, v[0:1], off
	s_movk_i32 s2, 0x7f
                                        ; implicit-def: $sgpr38_sgpr39
	s_waitcnt vmcnt(0)
	v_cmp_lt_i16_e32 vcc, s2, v4
	s_mov_b64 s[2:3], 0
	s_and_saveexec_b64 s[40:41], vcc
	s_xor_b64 s[40:41], exec, s[40:41]
	s_cbranch_execz .LBB14_593
; %bb.573:
	s_movk_i32 s2, 0x80
	v_cmp_eq_u16_e32 vcc, s2, v4
                                        ; implicit-def: $sgpr38_sgpr39
	s_and_saveexec_b64 s[2:3], vcc
; %bb.574:
	s_mov_b32 s39, 0x7ff80000
	s_brev_b32 s38, 4
	s_xor_b64 s[42:43], exec, -1
; %bb.575:
	s_or_b64 exec, exec, s[2:3]
	s_and_b64 s[2:3], s[42:43], exec
	s_or_saveexec_b64 s[40:41], s[40:41]
	v_pk_mov_b32 v[2:3], s[38:39], s[38:39] op_sel:[0,1]
	s_xor_b64 exec, exec, s[40:41]
	s_cbranch_execnz .LBB14_594
.LBB14_576:
	s_or_b64 exec, exec, s[40:41]
	s_and_saveexec_b64 s[38:39], s[2:3]
	s_cbranch_execz .LBB14_578
.LBB14_577:
	v_and_b32_e32 v3, 0xffff, v4
	v_lshlrev_b32_e32 v2, 24, v4
	v_and_b32_e32 v4, 7, v3
	v_ffbh_u32_e32 v6, v4
	v_min_u32_e32 v6, 32, v6
	v_subrev_u32_e32 v7, 28, v6
	v_bfe_u32 v5, v3, 3, 4
	v_lshlrev_b32_e32 v3, v7, v3
	v_sub_u32_e32 v6, 29, v6
	v_and_b32_e32 v3, 7, v3
	v_cmp_eq_u32_e32 vcc, 0, v5
	v_cndmask_b32_e32 v5, v5, v6, vcc
	v_cndmask_b32_e32 v3, v4, v3, vcc
	v_mov_b32_e32 v4, 0x3b800000
	v_lshlrev_b32_e32 v3, 20, v3
	v_and_b32_e32 v2, 0x80000000, v2
	v_lshl_add_u32 v4, v5, 23, v4
	v_or3_b32 v2, v2, v4, v3
	v_cvt_f64_f32_e32 v[2:3], v2
.LBB14_578:
	s_or_b64 exec, exec, s[38:39]
.LBB14_579:
	s_mov_b64 s[2:3], -1
.LBB14_580:
	s_mov_b64 s[38:39], 0
.LBB14_581:
	s_and_b64 vcc, exec, s[38:39]
	s_cbranch_vccz .LBB14_616
; %bb.582:
	v_cmp_lt_i16_e32 vcc, 22, v13
	s_cbranch_vccz .LBB14_592
; %bb.583:
	v_cmp_gt_i16_e32 vcc, 24, v13
	s_cbranch_vccnz .LBB14_595
; %bb.584:
	v_cmp_lt_i16_e32 vcc, 24, v13
	s_cbranch_vccz .LBB14_596
; %bb.585:
	global_load_ubyte v4, v[0:1], off
	s_movk_i32 s2, 0x7f
                                        ; implicit-def: $sgpr38_sgpr39
	s_waitcnt vmcnt(0)
	v_cmp_lt_i16_e32 vcc, s2, v4
	s_mov_b64 s[2:3], 0
	s_and_saveexec_b64 s[40:41], vcc
	s_xor_b64 s[40:41], exec, s[40:41]
	s_cbranch_execz .LBB14_608
; %bb.586:
	s_movk_i32 s2, 0x80
	v_cmp_eq_u16_e32 vcc, s2, v4
	s_mov_b64 s[42:43], -1
                                        ; implicit-def: $sgpr38_sgpr39
	s_and_saveexec_b64 s[2:3], vcc
; %bb.587:
	s_mov_b32 s39, 0x7ff80000
	s_brev_b32 s38, 4
	s_xor_b64 s[42:43], exec, -1
; %bb.588:
	s_or_b64 exec, exec, s[2:3]
	s_and_b64 s[2:3], s[42:43], exec
	s_or_saveexec_b64 s[40:41], s[40:41]
	v_pk_mov_b32 v[2:3], s[38:39], s[38:39] op_sel:[0,1]
	s_xor_b64 exec, exec, s[40:41]
	s_cbranch_execnz .LBB14_609
.LBB14_589:
	s_or_b64 exec, exec, s[40:41]
	s_and_saveexec_b64 s[38:39], s[2:3]
	s_cbranch_execz .LBB14_591
.LBB14_590:
	v_and_b32_e32 v3, 0xffff, v4
	v_lshlrev_b32_e32 v2, 24, v4
	v_and_b32_e32 v4, 3, v3
	v_ffbh_u32_e32 v6, v4
	v_min_u32_e32 v6, 32, v6
	v_subrev_u32_e32 v7, 29, v6
	v_bfe_u32 v5, v3, 2, 5
	v_lshlrev_b32_e32 v3, v7, v3
	v_sub_u32_e32 v6, 30, v6
	v_and_b32_e32 v3, 3, v3
	v_cmp_eq_u32_e32 vcc, 0, v5
	v_cndmask_b32_e32 v5, v5, v6, vcc
	v_cndmask_b32_e32 v3, v4, v3, vcc
	v_mov_b32_e32 v4, 0x37800000
	v_lshlrev_b32_e32 v3, 21, v3
	v_and_b32_e32 v2, 0x80000000, v2
	v_lshl_add_u32 v4, v5, 23, v4
	v_or3_b32 v2, v2, v4, v3
	v_cvt_f64_f32_e32 v[2:3], v2
.LBB14_591:
	s_or_b64 exec, exec, s[38:39]
	s_mov_b64 s[2:3], 0
	s_branch .LBB14_597
.LBB14_592:
	s_mov_b64 s[38:39], -1
                                        ; implicit-def: $vgpr2_vgpr3
	s_branch .LBB14_603
.LBB14_593:
	s_or_saveexec_b64 s[40:41], s[40:41]
	v_pk_mov_b32 v[2:3], s[38:39], s[38:39] op_sel:[0,1]
	s_xor_b64 exec, exec, s[40:41]
	s_cbranch_execz .LBB14_576
.LBB14_594:
	v_cmp_ne_u16_e32 vcc, 0, v4
	s_andn2_b64 s[2:3], s[2:3], exec
	s_and_b64 s[38:39], vcc, exec
	v_pk_mov_b32 v[2:3], 0, 0
	s_or_b64 s[2:3], s[2:3], s[38:39]
	s_or_b64 exec, exec, s[40:41]
	s_and_saveexec_b64 s[38:39], s[2:3]
	s_cbranch_execnz .LBB14_577
	s_branch .LBB14_578
.LBB14_595:
	s_mov_b64 s[2:3], -1
                                        ; implicit-def: $vgpr2_vgpr3
	s_branch .LBB14_600
.LBB14_596:
	s_mov_b64 s[2:3], -1
                                        ; implicit-def: $vgpr2_vgpr3
.LBB14_597:
	s_and_b64 vcc, exec, s[2:3]
	s_cbranch_vccz .LBB14_599
; %bb.598:
	global_load_ubyte v2, v[0:1], off
	s_mov_b32 s2, 0x7f800000
	s_waitcnt vmcnt(0)
	v_lshlrev_b32_e32 v2, 24, v2
	v_and_b32_e32 v3, 0x7f000000, v2
	v_ffbh_u32_e32 v4, v3
	v_min_u32_e32 v4, 32, v4
	v_sub_u32_e64 v4, v4, 4 clamp
	v_lshlrev_b32_e32 v6, v4, v3
	v_lshlrev_b32_e32 v4, 23, v4
	v_lshrrev_b32_e32 v6, 4, v6
	v_add_u32_e32 v5, 0x1000000, v3
	v_sub_u32_e32 v4, v6, v4
	v_ashrrev_i32_e32 v5, 8, v5
	v_add_u32_e32 v4, 0x3c000000, v4
	v_and_or_b32 v4, v5, s2, v4
	v_cmp_ne_u32_e32 vcc, 0, v3
	v_cndmask_b32_e32 v3, 0, v4, vcc
	s_brev_b32 s2, 1
	v_and_or_b32 v2, v2, s2, v3
	v_cvt_f64_f32_e32 v[2:3], v2
.LBB14_599:
	s_mov_b64 s[2:3], 0
.LBB14_600:
	s_andn2_b64 vcc, exec, s[2:3]
	s_cbranch_vccnz .LBB14_602
; %bb.601:
	global_load_ubyte v2, v[0:1], off
	s_movk_i32 s2, 0x7f00
	s_brev_b32 s3, 16
	s_waitcnt vmcnt(0)
	v_lshlrev_b16_e32 v3, 8, v2
	v_lshlrev_b32_e32 v2, 25, v2
	v_lshrrev_b32_e32 v4, 4, v2
	v_and_or_b32 v5, v3, s2, 0.5
	v_or_b32_e32 v4, 0x70000000, v4
	v_add_f32_e32 v5, -0.5, v5
	v_mul_f32_e32 v4, 0x7800000, v4
	v_cmp_gt_u32_e32 vcc, s3, v2
	v_bfe_i32 v3, v3, 0, 16
	v_cndmask_b32_e32 v2, v4, v5, vcc
	s_brev_b32 s2, 1
	v_and_or_b32 v2, v3, s2, v2
	v_cvt_f64_f32_e32 v[2:3], v2
.LBB14_602:
	s_mov_b64 s[38:39], 0
	s_mov_b64 s[2:3], -1
.LBB14_603:
	s_andn2_b64 vcc, exec, s[38:39]
	s_cbranch_vccnz .LBB14_616
; %bb.604:
	v_cmp_lt_i16_e32 vcc, 14, v13
	s_cbranch_vccz .LBB14_607
; %bb.605:
	v_cmp_eq_u16_e32 vcc, 15, v13
	s_cbranch_vccz .LBB14_610
; %bb.606:
	global_load_ushort v2, v[0:1], off
	s_mov_b64 s[2:3], -1
	s_mov_b64 s[36:37], 0
	s_waitcnt vmcnt(0)
	v_lshlrev_b32_e32 v2, 16, v2
	v_cvt_f64_f32_e32 v[2:3], v2
	s_branch .LBB14_611
.LBB14_607:
	s_mov_b64 s[38:39], -1
                                        ; implicit-def: $vgpr2_vgpr3
	s_branch .LBB14_612
.LBB14_608:
	s_or_saveexec_b64 s[40:41], s[40:41]
	v_pk_mov_b32 v[2:3], s[38:39], s[38:39] op_sel:[0,1]
	s_xor_b64 exec, exec, s[40:41]
	s_cbranch_execz .LBB14_589
.LBB14_609:
	v_cmp_ne_u16_e32 vcc, 0, v4
	s_andn2_b64 s[2:3], s[2:3], exec
	s_and_b64 s[38:39], vcc, exec
	v_pk_mov_b32 v[2:3], 0, 0
	s_or_b64 s[2:3], s[2:3], s[38:39]
	s_or_b64 exec, exec, s[40:41]
	s_and_saveexec_b64 s[38:39], s[2:3]
	s_cbranch_execnz .LBB14_590
	s_branch .LBB14_591
.LBB14_610:
	s_mov_b64 s[36:37], -1
                                        ; implicit-def: $vgpr2_vgpr3
.LBB14_611:
	s_mov_b64 s[38:39], 0
.LBB14_612:
	s_and_b64 vcc, exec, s[38:39]
	s_cbranch_vccz .LBB14_616
; %bb.613:
	v_cmp_eq_u16_e32 vcc, 11, v13
	s_cbranch_vccz .LBB14_615
; %bb.614:
	global_load_ubyte v3, v[0:1], off
	v_mov_b32_e32 v4, 0x3ff00000
	v_mov_b32_e32 v2, 0
	s_mov_b64 s[2:3], -1
	s_mov_b64 s[36:37], 0
	s_waitcnt vmcnt(0)
	v_cmp_ne_u16_e32 vcc, 0, v3
	v_cndmask_b32_e32 v3, 0, v4, vcc
	s_branch .LBB14_616
.LBB14_615:
	s_mov_b64 s[36:37], -1
                                        ; implicit-def: $vgpr2_vgpr3
.LBB14_616:
	s_mov_b64 s[38:39], 0
.LBB14_617:
	s_and_b64 vcc, exec, s[38:39]
	s_cbranch_vccz .LBB14_666
; %bb.618:
	v_cmp_gt_i16_e32 vcc, 5, v13
	s_cbranch_vccnz .LBB14_623
; %bb.619:
	v_cmp_gt_i16_e32 vcc, 8, v13
	s_cbranch_vccnz .LBB14_624
	;; [unrolled: 3-line block ×3, first 2 shown]
; %bb.621:
	v_cmp_lt_i16_e32 vcc, 9, v13
	s_cbranch_vccz .LBB14_626
; %bb.622:
	global_load_dwordx2 v[2:3], v[0:1], off
	s_mov_b64 s[2:3], 0
	s_branch .LBB14_627
.LBB14_623:
	s_mov_b64 s[2:3], -1
                                        ; implicit-def: $vgpr2_vgpr3
	s_branch .LBB14_645
.LBB14_624:
	s_mov_b64 s[2:3], -1
                                        ; implicit-def: $vgpr2_vgpr3
	s_branch .LBB14_633
.LBB14_625:
	s_mov_b64 s[2:3], -1
                                        ; implicit-def: $vgpr2_vgpr3
	s_branch .LBB14_630
.LBB14_626:
	s_mov_b64 s[2:3], -1
                                        ; implicit-def: $vgpr2_vgpr3
.LBB14_627:
	s_andn2_b64 vcc, exec, s[2:3]
	s_cbranch_vccnz .LBB14_629
; %bb.628:
	global_load_dword v2, v[0:1], off
	s_waitcnt vmcnt(0)
	v_cvt_f64_f32_e32 v[2:3], v2
.LBB14_629:
	s_mov_b64 s[2:3], 0
.LBB14_630:
	s_andn2_b64 vcc, exec, s[2:3]
	s_cbranch_vccnz .LBB14_632
; %bb.631:
	global_load_dword v2, v[0:1], off
	s_waitcnt vmcnt(0)
	v_cvt_f32_f16_e32 v2, v2
	v_cvt_f64_f32_e32 v[2:3], v2
.LBB14_632:
	s_mov_b64 s[2:3], 0
.LBB14_633:
	s_andn2_b64 vcc, exec, s[2:3]
	s_cbranch_vccnz .LBB14_644
; %bb.634:
	v_cmp_gt_i16_e32 vcc, 6, v13
	s_cbranch_vccnz .LBB14_637
; %bb.635:
	v_cmp_lt_i16_e32 vcc, 6, v13
	s_cbranch_vccz .LBB14_638
; %bb.636:
	global_load_dwordx2 v[2:3], v[0:1], off
	s_mov_b64 s[2:3], 0
	s_branch .LBB14_639
.LBB14_637:
	s_mov_b64 s[2:3], -1
                                        ; implicit-def: $vgpr2_vgpr3
	s_branch .LBB14_642
.LBB14_638:
	s_mov_b64 s[2:3], -1
                                        ; implicit-def: $vgpr2_vgpr3
.LBB14_639:
	s_andn2_b64 vcc, exec, s[2:3]
	s_cbranch_vccnz .LBB14_641
; %bb.640:
	global_load_dword v2, v[0:1], off
	s_waitcnt vmcnt(0)
	v_cvt_f64_f32_e32 v[2:3], v2
.LBB14_641:
	s_mov_b64 s[2:3], 0
.LBB14_642:
	s_andn2_b64 vcc, exec, s[2:3]
	s_cbranch_vccnz .LBB14_644
; %bb.643:
	global_load_ushort v2, v[0:1], off
	s_waitcnt vmcnt(0)
	v_cvt_f32_f16_e32 v2, v2
	v_cvt_f64_f32_e32 v[2:3], v2
.LBB14_644:
	s_mov_b64 s[2:3], 0
.LBB14_645:
	s_andn2_b64 vcc, exec, s[2:3]
	s_cbranch_vccnz .LBB14_665
; %bb.646:
	v_cmp_gt_i16_e32 vcc, 2, v13
	s_cbranch_vccnz .LBB14_650
; %bb.647:
	v_cmp_gt_i16_e32 vcc, 3, v13
	s_cbranch_vccnz .LBB14_651
; %bb.648:
	v_cmp_lt_i16_e32 vcc, 3, v13
	s_cbranch_vccz .LBB14_652
; %bb.649:
	global_load_dwordx2 v[2:3], v[0:1], off
	s_mov_b64 s[2:3], 0
	s_waitcnt vmcnt(0)
	v_cvt_f64_i32_e32 v[4:5], v3
	v_cvt_f64_u32_e32 v[2:3], v2
	v_ldexp_f64 v[4:5], v[4:5], 32
	v_add_f64 v[2:3], v[4:5], v[2:3]
	s_branch .LBB14_653
.LBB14_650:
	s_mov_b64 s[2:3], -1
                                        ; implicit-def: $vgpr2_vgpr3
	s_branch .LBB14_659
.LBB14_651:
	s_mov_b64 s[2:3], -1
                                        ; implicit-def: $vgpr2_vgpr3
	s_branch .LBB14_656
.LBB14_652:
	s_mov_b64 s[2:3], -1
                                        ; implicit-def: $vgpr2_vgpr3
.LBB14_653:
	s_andn2_b64 vcc, exec, s[2:3]
	s_cbranch_vccnz .LBB14_655
; %bb.654:
	global_load_dword v2, v[0:1], off
	s_waitcnt vmcnt(0)
	v_cvt_f64_i32_e32 v[2:3], v2
.LBB14_655:
	s_mov_b64 s[2:3], 0
.LBB14_656:
	s_andn2_b64 vcc, exec, s[2:3]
	s_cbranch_vccnz .LBB14_658
; %bb.657:
	global_load_sshort v2, v[0:1], off
	s_waitcnt vmcnt(0)
	v_cvt_f64_i32_e32 v[2:3], v2
.LBB14_658:
	s_mov_b64 s[2:3], 0
.LBB14_659:
	s_andn2_b64 vcc, exec, s[2:3]
	s_cbranch_vccnz .LBB14_665
; %bb.660:
	v_cmp_lt_i16_e32 vcc, 0, v13
	s_cbranch_vccz .LBB14_662
; %bb.661:
	global_load_sbyte v2, v[0:1], off
	s_mov_b64 s[2:3], 0
	s_waitcnt vmcnt(0)
	v_cvt_f64_i32_e32 v[2:3], v2
	s_branch .LBB14_663
.LBB14_662:
	s_mov_b64 s[2:3], -1
                                        ; implicit-def: $vgpr2_vgpr3
.LBB14_663:
	s_andn2_b64 vcc, exec, s[2:3]
	s_cbranch_vccnz .LBB14_665
; %bb.664:
	global_load_ubyte v0, v[0:1], off
	s_waitcnt vmcnt(0)
	v_cvt_f64_u32_e32 v[2:3], v0
.LBB14_665:
	s_mov_b64 s[2:3], -1
.LBB14_666:
	s_andn2_b64 vcc, exec, s[2:3]
	s_cbranch_vccnz .LBB14_674
; %bb.667:
	s_andn2_b64 vcc, exec, s[18:19]
	v_pk_mov_b32 v[0:1], 0, 0
	s_cbranch_vccnz .LBB14_678
; %bb.668:
	v_cmp_lt_i64_e64 s[2:3], s[16:17], 1
	v_mov_b32_e32 v0, 0
	s_and_b64 vcc, exec, s[2:3]
	v_mov_b32_e32 v1, 0x3ff00000
	s_cbranch_vccnz .LBB14_678
; %bb.669:
	s_cmp_lg_u64 s[16:17], 1
	s_cbranch_scc0 .LBB14_675
; %bb.670:
	v_mov_b32_e32 v0, 0
	s_andn2_b64 vcc, exec, s[0:1]
	v_mov_b32_e32 v1, 0x7ff80000
	s_cbranch_vccnz .LBB14_673
; %bb.671:
	v_mov_b32_e32 v4, 0
	s_mov_b64 s[2:3], 1
	v_mov_b32_e32 v5, 0x3ff00000
	s_waitcnt vmcnt(0)
	v_pk_mov_b32 v[0:1], v[2:3], v[2:3] op_sel:[0,1]
.LBB14_672:                             ; =>This Inner Loop Header: Depth=1
	v_cvt_f64_u32_e32 v[6:7], s3
	v_cvt_f64_u32_e32 v[8:9], s2
	v_ldexp_f64 v[6:7], v[6:7], 32
	s_add_u32 s2, s2, 1
	v_add_f64 v[6:7], v[6:7], v[8:9]
	s_addc_u32 s3, s3, 0
	v_mul_f64 v[6:7], v[4:5], v[6:7]
	s_cmp_lg_u64 s[16:17], s[2:3]
	v_pk_mov_b32 v[4:5], v[0:1], v[0:1] op_sel:[0,1]
	v_fma_f64 v[0:1], v[2:3], v[0:1], -v[6:7]
	s_cbranch_scc1 .LBB14_672
.LBB14_673:
	s_mov_b64 s[2:3], 0
	s_branch .LBB14_676
.LBB14_674:
	s_mov_b64 s[40:41], 0
                                        ; implicit-def: $vgpr12
	s_mov_b64 s[2:3], s[28:29]
	s_branch .LBB14_801
.LBB14_675:
	s_mov_b64 s[2:3], -1
                                        ; implicit-def: $vgpr0_vgpr1
.LBB14_676:
	s_andn2_b64 vcc, exec, s[2:3]
	s_cbranch_vccnz .LBB14_678
; %bb.677:
	s_waitcnt vmcnt(0)
	v_pk_mov_b32 v[0:1], v[2:3], v[2:3] op_sel:[0,1]
.LBB14_678:
	s_waitcnt vmcnt(0)
	v_mul_lo_u32 v2, v12, s12
	v_ashrrev_i32_e32 v3, 31, v2
	v_mov_b32_e32 v5, s9
	v_add_co_u32_e32 v4, vcc, s8, v2
	v_mov_b32_e32 v2, 11
	v_addc_co_u32_e32 v5, vcc, v5, v3, vcc
	v_cmp_lt_i16_sdwa s[2:3], s33, v2 src0_sel:BYTE_0 src1_sel:DWORD
	s_and_b64 vcc, exec, s[2:3]
	s_cbranch_vccnz .LBB14_685
; %bb.679:
	v_mov_b32_e32 v2, 25
	v_cmp_gt_i16_sdwa s[2:3], s33, v2 src0_sel:BYTE_0 src1_sel:DWORD
	s_and_b64 vcc, exec, s[2:3]
	s_cbranch_vccz .LBB14_686
; %bb.680:
	v_mov_b32_e32 v2, 28
	v_cmp_gt_i16_sdwa s[2:3], s33, v2 src0_sel:BYTE_0 src1_sel:DWORD
	s_and_b64 vcc, exec, s[2:3]
	s_cbranch_vccz .LBB14_687
	;; [unrolled: 5-line block ×4, first 2 shown]
; %bb.683:
	v_mov_b32_e32 v2, 46
	v_cmp_eq_u16_sdwa s[38:39], s33, v2 src0_sel:BYTE_0 src1_sel:DWORD
	s_mov_b64 s[40:41], 0
	s_mov_b64 s[2:3], -1
	s_and_b64 vcc, exec, s[38:39]
	s_mov_b64 s[38:39], 0
	s_cbranch_vccz .LBB14_690
; %bb.684:
	v_cvt_f32_f64_e32 v2, v[0:1]
	v_bfe_u32 v3, v2, 16, 1
	s_movk_i32 s2, 0x7fff
	v_add3_u32 v3, v2, v3, s2
	v_lshrrev_b32_e32 v3, 16, v3
	v_mov_b32_e32 v6, 0x7fc0
	v_cmp_o_f32_e32 vcc, v2, v2
	v_cndmask_b32_e32 v2, v6, v3, vcc
	global_store_dword v[4:5], v2, off
	s_mov_b64 s[38:39], -1
	s_mov_b64 s[2:3], 0
	s_branch .LBB14_690
.LBB14_685:
	s_mov_b64 s[40:41], -1
	s_mov_b64 s[38:39], 0
	s_mov_b64 s[2:3], s[28:29]
	s_branch .LBB14_759
.LBB14_686:
	s_mov_b64 s[40:41], -1
	s_mov_b64 s[38:39], 0
	s_mov_b64 s[2:3], s[28:29]
	s_branch .LBB14_717
.LBB14_687:
	s_mov_b64 s[40:41], -1
	s_mov_b64 s[38:39], 0
	s_mov_b64 s[2:3], s[28:29]
	s_branch .LBB14_700
.LBB14_688:
	s_mov_b64 s[40:41], -1
	s_mov_b64 s[38:39], 0
	s_mov_b64 s[2:3], s[28:29]
	s_branch .LBB14_696
.LBB14_689:
	s_mov_b64 s[40:41], -1
	s_mov_b64 s[38:39], 0
	s_mov_b64 s[2:3], s[28:29]
.LBB14_690:
	s_and_b64 vcc, exec, s[40:41]
	s_cbranch_vccz .LBB14_695
; %bb.691:
	v_mov_b32_e32 v2, 44
	v_cmp_eq_u16_sdwa s[40:41], s33, v2 src0_sel:BYTE_0 src1_sel:DWORD
	s_mov_b64 s[2:3], -1
	s_and_b64 vcc, exec, s[40:41]
	s_cbranch_vccz .LBB14_695
; %bb.692:
	v_cvt_f32_f64_e32 v2, v[0:1]
	v_bfe_u32 v3, v2, 23, 8
	s_movk_i32 s2, 0xff
	v_cmp_ne_u32_e32 vcc, s2, v3
	v_mov_b32_e32 v6, 0xff
	s_and_saveexec_b64 s[38:39], vcc
; %bb.693:
	s_mov_b32 s2, 0x3fffff
	v_lshrrev_b32_e32 v6, 23, v2
	v_and_b32_e32 v7, 0x400000, v2
	v_and_or_b32 v2, v2, s2, v3
	v_cmp_ne_u32_e32 vcc, 0, v7
	v_cmp_ne_u32_e64 s[2:3], 0, v2
	s_and_b64 s[2:3], vcc, s[2:3]
	v_cndmask_b32_e64 v2, 0, 1, s[2:3]
	v_add_u32_e32 v6, v6, v2
; %bb.694:
	s_or_b64 exec, exec, s[38:39]
	s_mov_b64 s[38:39], -1
	s_mov_b64 s[2:3], 0
	global_store_byte v[4:5], v6, off
.LBB14_695:
	s_mov_b64 s[40:41], 0
.LBB14_696:
	s_and_b64 vcc, exec, s[40:41]
	s_cbranch_vccz .LBB14_699
; %bb.697:
	v_mov_b32_e32 v2, 29
	v_cmp_eq_u16_sdwa s[40:41], s33, v2 src0_sel:BYTE_0 src1_sel:DWORD
	s_mov_b64 s[2:3], -1
	s_and_b64 vcc, exec, s[40:41]
	s_cbranch_vccz .LBB14_699
; %bb.698:
	v_trunc_f64_e32 v[2:3], v[0:1]
	s_movk_i32 s2, 0xffe0
	v_ldexp_f64 v[6:7], v[2:3], s2
	v_floor_f64_e32 v[6:7], v[6:7]
	v_fmac_f64_e32 v[2:3], 0xc1f00000, v[6:7]
	v_cvt_u32_f64_e32 v9, v[6:7]
	v_cvt_u32_f64_e32 v8, v[2:3]
	global_store_dwordx2 v[4:5], v[8:9], off
	s_mov_b64 s[38:39], -1
	s_mov_b64 s[2:3], 0
.LBB14_699:
	s_mov_b64 s[40:41], 0
.LBB14_700:
	s_and_b64 vcc, exec, s[40:41]
	s_cbranch_vccz .LBB14_716
; %bb.701:
	v_mov_b32_e32 v2, 27
	v_cmp_lt_i16_sdwa s[40:41], s33, v2 src0_sel:BYTE_0 src1_sel:DWORD
	s_mov_b64 s[38:39], -1
	s_and_b64 vcc, exec, s[40:41]
	s_cbranch_vccnz .LBB14_707
; %bb.702:
	v_cmp_gt_i16_sdwa s[40:41], s33, v2 src0_sel:BYTE_0 src1_sel:DWORD
	s_and_b64 vcc, exec, s[40:41]
	v_cvt_u32_f64_e32 v2, v[0:1]
	s_cbranch_vccz .LBB14_704
; %bb.703:
	s_mov_b64 s[38:39], 0
	global_store_dword v[4:5], v2, off
.LBB14_704:
	s_andn2_b64 vcc, exec, s[38:39]
	s_cbranch_vccnz .LBB14_706
; %bb.705:
	global_store_short v[4:5], v2, off
.LBB14_706:
	s_mov_b64 s[38:39], 0
.LBB14_707:
	s_andn2_b64 vcc, exec, s[38:39]
	s_cbranch_vccnz .LBB14_715
; %bb.708:
	v_cvt_f32_f64_e32 v2, v[0:1]
	v_and_b32_e32 v3, 0x7fffffff, v2
	s_mov_b32 s38, 0x43800000
	v_cmp_gt_u32_e32 vcc, s38, v3
	v_mov_b32_e32 v6, 0x80
	s_and_saveexec_b64 s[38:39], vcc
	s_cbranch_execz .LBB14_714
; %bb.709:
	s_mov_b32 s40, 0x3bffffff
	v_cmp_lt_u32_e32 vcc, s40, v3
	s_mov_b64 s[40:41], 0
                                        ; implicit-def: $vgpr3
	s_and_saveexec_b64 s[42:43], vcc
	s_xor_b64 s[42:43], exec, s[42:43]
	s_cbranch_execz .LBB14_815
; %bb.710:
	v_bfe_u32 v3, v2, 20, 1
	s_mov_b32 s44, 0x487ffff
	v_add3_u32 v3, v2, v3, s44
	s_mov_b64 s[40:41], exec
	v_lshrrev_b32_e32 v3, 20, v3
	s_or_saveexec_b64 s[42:43], s[42:43]
                                        ; implicit-def: $sgpr44
	s_xor_b64 exec, exec, s[42:43]
	s_cbranch_execnz .LBB14_816
.LBB14_711:
	s_or_b64 exec, exec, s[42:43]
	v_mov_b32_e32 v6, s44
	s_and_saveexec_b64 s[42:43], s[40:41]
.LBB14_712:
	v_lshrrev_b32_e32 v2, 24, v2
	s_movk_i32 s40, 0x80
	v_and_or_b32 v6, v2, s40, v3
.LBB14_713:
	s_or_b64 exec, exec, s[42:43]
.LBB14_714:
	s_or_b64 exec, exec, s[38:39]
	global_store_byte v[4:5], v6, off
.LBB14_715:
	s_mov_b64 s[38:39], -1
.LBB14_716:
	s_mov_b64 s[40:41], 0
.LBB14_717:
	s_and_b64 vcc, exec, s[40:41]
	s_cbranch_vccz .LBB14_758
; %bb.718:
	v_mov_b32_e32 v2, 22
	v_cmp_gt_i16_sdwa s[42:43], s33, v2 src0_sel:BYTE_0 src1_sel:DWORD
	s_mov_b64 s[40:41], -1
	s_and_b64 vcc, exec, s[42:43]
	s_cbranch_vccz .LBB14_750
; %bb.719:
	v_mov_b32_e32 v2, 24
	v_cmp_lt_i16_sdwa s[40:41], s33, v2 src0_sel:BYTE_0 src1_sel:DWORD
	s_mov_b64 s[38:39], -1
	s_and_b64 vcc, exec, s[40:41]
	s_cbranch_vccnz .LBB14_739
; %bb.720:
	v_cmp_gt_i16_sdwa s[40:41], s33, v2 src0_sel:BYTE_0 src1_sel:DWORD
	s_and_b64 vcc, exec, s[40:41]
	s_cbranch_vccz .LBB14_728
; %bb.721:
	v_cvt_f32_f64_e32 v2, v[0:1]
	v_and_b32_e32 v3, 0x7fffffff, v2
	s_mov_b32 s38, 0x47800000
	v_cmp_gt_u32_e32 vcc, s38, v3
	v_mov_b32_e32 v6, 0x80
	s_and_saveexec_b64 s[38:39], vcc
	s_cbranch_execz .LBB14_727
; %bb.722:
	s_mov_b32 s40, 0x37ffffff
	v_cmp_lt_u32_e32 vcc, s40, v3
	s_mov_b64 s[40:41], 0
                                        ; implicit-def: $vgpr3
	s_and_saveexec_b64 s[42:43], vcc
	s_xor_b64 s[42:43], exec, s[42:43]
	s_cbranch_execz .LBB14_818
; %bb.723:
	v_bfe_u32 v3, v2, 21, 1
	s_mov_b32 s44, 0x88fffff
	v_add3_u32 v3, v2, v3, s44
	s_mov_b64 s[40:41], exec
	v_lshrrev_b32_e32 v3, 21, v3
	s_or_saveexec_b64 s[42:43], s[42:43]
                                        ; implicit-def: $sgpr44
	s_xor_b64 exec, exec, s[42:43]
	s_cbranch_execnz .LBB14_819
.LBB14_724:
	s_or_b64 exec, exec, s[42:43]
	v_mov_b32_e32 v6, s44
	s_and_saveexec_b64 s[42:43], s[40:41]
.LBB14_725:
	v_lshrrev_b32_e32 v2, 24, v2
	s_movk_i32 s40, 0x80
	v_and_or_b32 v6, v2, s40, v3
.LBB14_726:
	s_or_b64 exec, exec, s[42:43]
.LBB14_727:
	s_or_b64 exec, exec, s[38:39]
	s_mov_b64 s[38:39], 0
	global_store_byte v[4:5], v6, off
.LBB14_728:
	s_and_b64 vcc, exec, s[38:39]
	s_cbranch_vccz .LBB14_738
; %bb.729:
	v_cvt_f32_f64_e32 v2, v[0:1]
	v_and_b32_e32 v6, 0x7fffffff, v2
	s_mov_b32 s38, 0x43f00000
	v_cmp_gt_u32_e32 vcc, s38, v6
                                        ; implicit-def: $vgpr3
	s_and_saveexec_b64 s[38:39], vcc
	s_xor_b64 s[38:39], exec, s[38:39]
	s_cbranch_execz .LBB14_735
; %bb.730:
	s_mov_b32 s40, 0x3c7fffff
	v_cmp_lt_u32_e32 vcc, s40, v6
                                        ; implicit-def: $vgpr3
	s_and_saveexec_b64 s[40:41], vcc
	s_xor_b64 s[40:41], exec, s[40:41]
; %bb.731:
	v_bfe_u32 v3, v2, 20, 1
	s_mov_b32 s42, 0x407ffff
	v_add3_u32 v3, v2, v3, s42
	v_lshrrev_b32_e32 v6, 20, v3
	v_and_b32_e32 v3, 0xff00000, v3
	s_mov_b32 s42, 0x7f00000
	v_mov_b32_e32 v7, 0x7e
	v_cmp_ne_u32_e32 vcc, s42, v3
	v_cndmask_b32_e32 v3, v7, v6, vcc
; %bb.732:
	s_andn2_saveexec_b64 s[40:41], s[40:41]
; %bb.733:
	s_mov_b32 s42, 0x46800000
	v_add_f32_e64 v3, |v2|, s42
; %bb.734:
	s_or_b64 exec, exec, s[40:41]
                                        ; implicit-def: $vgpr6
.LBB14_735:
	s_andn2_saveexec_b64 s[38:39], s[38:39]
; %bb.736:
	s_mov_b32 s40, 0x7f800000
	v_mov_b32_e32 v3, 0x7e
	v_mov_b32_e32 v7, 0x7f
	v_cmp_lt_u32_e32 vcc, s40, v6
	v_cndmask_b32_e32 v3, v3, v7, vcc
; %bb.737:
	s_or_b64 exec, exec, s[38:39]
	v_lshrrev_b32_e32 v2, 24, v2
	s_movk_i32 s38, 0x80
	v_and_or_b32 v2, v2, s38, v3
	global_store_byte v[4:5], v2, off
.LBB14_738:
	s_mov_b64 s[38:39], 0
.LBB14_739:
	s_andn2_b64 vcc, exec, s[38:39]
	s_cbranch_vccnz .LBB14_749
; %bb.740:
	v_cvt_f32_f64_e32 v2, v[0:1]
	v_and_b32_e32 v6, 0x7fffffff, v2
	s_mov_b32 s38, 0x47800000
	v_cmp_gt_u32_e32 vcc, s38, v6
                                        ; implicit-def: $vgpr3
	s_and_saveexec_b64 s[38:39], vcc
	s_xor_b64 s[38:39], exec, s[38:39]
	s_cbranch_execz .LBB14_746
; %bb.741:
	s_mov_b32 s40, 0x387fffff
	v_cmp_lt_u32_e32 vcc, s40, v6
                                        ; implicit-def: $vgpr3
	s_and_saveexec_b64 s[40:41], vcc
	s_xor_b64 s[40:41], exec, s[40:41]
; %bb.742:
	v_bfe_u32 v3, v2, 21, 1
	s_mov_b32 s42, 0x80fffff
	v_add3_u32 v3, v2, v3, s42
	v_lshrrev_b32_e32 v3, 21, v3
; %bb.743:
	s_andn2_saveexec_b64 s[40:41], s[40:41]
; %bb.744:
	s_mov_b32 s42, 0x43000000
	v_add_f32_e64 v3, |v2|, s42
; %bb.745:
	s_or_b64 exec, exec, s[40:41]
                                        ; implicit-def: $vgpr6
.LBB14_746:
	s_andn2_saveexec_b64 s[38:39], s[38:39]
; %bb.747:
	s_mov_b32 s40, 0x7f800000
	v_mov_b32_e32 v3, 0x7c
	v_mov_b32_e32 v7, 0x7f
	v_cmp_lt_u32_e32 vcc, s40, v6
	v_cndmask_b32_e32 v3, v3, v7, vcc
; %bb.748:
	s_or_b64 exec, exec, s[38:39]
	v_lshrrev_b32_e32 v2, 24, v2
	s_movk_i32 s38, 0x80
	v_and_or_b32 v2, v2, s38, v3
	global_store_byte v[4:5], v2, off
.LBB14_749:
	s_mov_b64 s[40:41], 0
	s_mov_b64 s[38:39], -1
.LBB14_750:
	s_andn2_b64 vcc, exec, s[40:41]
	s_cbranch_vccnz .LBB14_758
; %bb.751:
	v_mov_b32_e32 v2, 14
	v_cmp_gt_i16_sdwa s[42:43], s33, v2 src0_sel:BYTE_0 src1_sel:DWORD
	s_mov_b64 s[40:41], -1
	s_and_b64 vcc, exec, s[42:43]
	s_cbranch_vccz .LBB14_755
; %bb.752:
	v_mov_b32_e32 v2, 15
	v_cmp_eq_u16_sdwa s[40:41], s33, v2 src0_sel:BYTE_0 src1_sel:DWORD
	s_mov_b64 s[2:3], -1
	s_and_b64 vcc, exec, s[40:41]
	s_cbranch_vccz .LBB14_754
; %bb.753:
	v_cvt_f32_f64_e32 v2, v[0:1]
	v_bfe_u32 v3, v2, 16, 1
	s_movk_i32 s2, 0x7fff
	v_add3_u32 v3, v2, v3, s2
	v_lshrrev_b32_e32 v3, 16, v3
	v_mov_b32_e32 v6, 0x7fc0
	v_cmp_o_f32_e32 vcc, v2, v2
	v_cndmask_b32_e32 v2, v6, v3, vcc
	global_store_short v[4:5], v2, off
	s_mov_b64 s[38:39], -1
	s_mov_b64 s[2:3], 0
.LBB14_754:
	s_mov_b64 s[40:41], 0
.LBB14_755:
	s_and_b64 vcc, exec, s[40:41]
	s_cbranch_vccz .LBB14_758
; %bb.756:
	v_mov_b32_e32 v2, 11
	v_cmp_eq_u16_sdwa s[40:41], s33, v2 src0_sel:BYTE_0 src1_sel:DWORD
	s_mov_b64 s[2:3], -1
	s_and_b64 vcc, exec, s[40:41]
	s_cbranch_vccz .LBB14_758
; %bb.757:
	v_cmp_neq_f64_e32 vcc, 0, v[0:1]
	s_mov_b64 s[2:3], 0
	v_cndmask_b32_e64 v2, 0, 1, vcc
	s_mov_b64 s[38:39], -1
	global_store_byte v[4:5], v2, off
.LBB14_758:
	s_mov_b64 s[40:41], 0
.LBB14_759:
	s_and_b64 vcc, exec, s[40:41]
	s_cbranch_vccz .LBB14_798
; %bb.760:
	v_mov_b32_e32 v2, 5
	v_cmp_lt_i16_sdwa s[40:41], s33, v2 src0_sel:BYTE_0 src1_sel:DWORD
	s_mov_b64 s[38:39], -1
	s_and_b64 vcc, exec, s[40:41]
	s_cbranch_vccnz .LBB14_781
; %bb.761:
	v_mov_b32_e32 v2, 8
	v_cmp_lt_i16_sdwa s[40:41], s33, v2 src0_sel:BYTE_0 src1_sel:DWORD
	s_and_b64 vcc, exec, s[40:41]
	s_cbranch_vccnz .LBB14_771
; %bb.762:
	v_mov_b32_e32 v2, 9
	v_cmp_lt_i16_sdwa s[40:41], s33, v2 src0_sel:BYTE_0 src1_sel:DWORD
	s_and_b64 vcc, exec, s[40:41]
	s_cbranch_vccnz .LBB14_768
; %bb.763:
	v_cmp_gt_i16_sdwa s[40:41], s33, v2 src0_sel:BYTE_0 src1_sel:DWORD
	s_and_b64 vcc, exec, s[40:41]
	s_cbranch_vccz .LBB14_765
; %bb.764:
	v_mov_b32_e32 v2, 0
	v_mov_b32_e32 v3, v2
	s_mov_b64 s[38:39], 0
	global_store_dwordx4 v[4:5], v[0:3], off
.LBB14_765:
	s_andn2_b64 vcc, exec, s[38:39]
	s_cbranch_vccnz .LBB14_767
; %bb.766:
	v_cvt_f32_f64_e32 v2, v[0:1]
	v_mov_b32_e32 v3, 0
	global_store_dwordx2 v[4:5], v[2:3], off
.LBB14_767:
	s_mov_b64 s[38:39], 0
.LBB14_768:
	s_andn2_b64 vcc, exec, s[38:39]
	s_cbranch_vccnz .LBB14_770
; %bb.769:
	v_cvt_f32_f64_e32 v2, v[0:1]
	v_cvt_f16_f32_e32 v2, v2
	global_store_dword v[4:5], v2, off
.LBB14_770:
	s_mov_b64 s[38:39], 0
.LBB14_771:
	s_andn2_b64 vcc, exec, s[38:39]
	s_cbranch_vccnz .LBB14_780
; %bb.772:
	v_mov_b32_e32 v2, 6
	v_cmp_lt_i16_sdwa s[40:41], s33, v2 src0_sel:BYTE_0 src1_sel:DWORD
	s_mov_b64 s[38:39], -1
	s_and_b64 vcc, exec, s[40:41]
	s_cbranch_vccnz .LBB14_778
; %bb.773:
	v_cmp_gt_i16_sdwa s[40:41], s33, v2 src0_sel:BYTE_0 src1_sel:DWORD
	s_and_b64 vcc, exec, s[40:41]
	s_cbranch_vccz .LBB14_775
; %bb.774:
	s_mov_b64 s[38:39], 0
	global_store_dwordx2 v[4:5], v[0:1], off
.LBB14_775:
	s_andn2_b64 vcc, exec, s[38:39]
	s_cbranch_vccnz .LBB14_777
; %bb.776:
	v_cvt_f32_f64_e32 v2, v[0:1]
	global_store_dword v[4:5], v2, off
.LBB14_777:
	s_mov_b64 s[38:39], 0
.LBB14_778:
	s_andn2_b64 vcc, exec, s[38:39]
	s_cbranch_vccnz .LBB14_780
; %bb.779:
	v_cvt_f32_f64_e32 v2, v[0:1]
	v_cvt_f16_f32_e32 v2, v2
	global_store_short v[4:5], v2, off
.LBB14_780:
	s_mov_b64 s[38:39], 0
.LBB14_781:
	s_andn2_b64 vcc, exec, s[38:39]
	s_cbranch_vccnz .LBB14_797
; %bb.782:
	v_mov_b32_e32 v2, 2
	v_cmp_lt_i16_sdwa s[40:41], s33, v2 src0_sel:BYTE_0 src1_sel:DWORD
	s_mov_b64 s[38:39], -1
	s_and_b64 vcc, exec, s[40:41]
	s_cbranch_vccnz .LBB14_792
; %bb.783:
	v_mov_b32_e32 v2, 3
	v_cmp_lt_i16_sdwa s[40:41], s33, v2 src0_sel:BYTE_0 src1_sel:DWORD
	s_and_b64 vcc, exec, s[40:41]
	s_cbranch_vccnz .LBB14_789
; %bb.784:
	v_cmp_gt_i16_sdwa s[40:41], s33, v2 src0_sel:BYTE_0 src1_sel:DWORD
	s_and_b64 vcc, exec, s[40:41]
	s_cbranch_vccz .LBB14_786
; %bb.785:
	v_trunc_f64_e32 v[2:3], v[0:1]
	s_movk_i32 s38, 0xffe0
	v_ldexp_f64 v[6:7], v[2:3], s38
	v_floor_f64_e32 v[6:7], v[6:7]
	v_fmac_f64_e32 v[2:3], 0xc1f00000, v[6:7]
	v_cvt_i32_f64_e32 v9, v[6:7]
	v_cvt_u32_f64_e32 v8, v[2:3]
	s_mov_b64 s[38:39], 0
	global_store_dwordx2 v[4:5], v[8:9], off
.LBB14_786:
	s_andn2_b64 vcc, exec, s[38:39]
	s_cbranch_vccnz .LBB14_788
; %bb.787:
	v_cvt_i32_f64_e32 v2, v[0:1]
	global_store_dword v[4:5], v2, off
.LBB14_788:
	s_mov_b64 s[38:39], 0
.LBB14_789:
	s_andn2_b64 vcc, exec, s[38:39]
	s_cbranch_vccnz .LBB14_791
; %bb.790:
	v_cvt_i32_f64_e32 v2, v[0:1]
	global_store_short v[4:5], v2, off
.LBB14_791:
	s_mov_b64 s[38:39], 0
.LBB14_792:
	s_andn2_b64 vcc, exec, s[38:39]
	s_cbranch_vccnz .LBB14_797
; %bb.793:
	v_mov_b32_e32 v2, 0
	v_cmp_gt_i16_sdwa s[40:41], s33, v2 src0_sel:BYTE_0 src1_sel:DWORD
	s_mov_b64 s[38:39], -1
	s_and_b64 vcc, exec, s[40:41]
	s_cbranch_vccz .LBB14_795
; %bb.794:
	v_cvt_i32_f64_e32 v2, v[0:1]
	s_mov_b64 s[38:39], 0
	global_store_byte v[4:5], v2, off
.LBB14_795:
	s_andn2_b64 vcc, exec, s[38:39]
	s_cbranch_vccnz .LBB14_797
; %bb.796:
	v_trunc_f64_e32 v[0:1], v[0:1]
	s_movk_i32 s38, 0xffe0
	v_ldexp_f64 v[2:3], v[0:1], s38
	v_floor_f64_e32 v[2:3], v[2:3]
	v_fmac_f64_e32 v[0:1], 0xc1f00000, v[2:3]
	v_cvt_u32_f64_e32 v0, v[0:1]
	global_store_byte v[4:5], v0, off
.LBB14_797:
	s_mov_b64 s[38:39], -1
.LBB14_798:
	s_andn2_b64 vcc, exec, s[38:39]
	s_cbranch_vccnz .LBB14_800
; %bb.799:
	v_add_u32_e32 v12, 0x80, v12
	s_mov_b64 s[40:41], -1
	s_branch .LBB14_801
.LBB14_800:
	s_mov_b64 s[40:41], 0
                                        ; implicit-def: $vgpr12
.LBB14_801:
	s_andn2_b64 s[38:39], s[28:29], exec
	s_and_b64 s[2:3], s[2:3], exec
	s_or_b64 s[38:39], s[38:39], s[2:3]
	s_andn2_b64 s[2:3], s[26:27], exec
	s_and_b64 s[36:37], s[36:37], exec
	s_or_b64 s[2:3], s[2:3], s[36:37]
	s_orn2_b64 s[42:43], s[40:41], exec
.LBB14_802:
	s_or_b64 exec, exec, s[34:35]
	s_mov_b64 s[36:37], 0
	s_mov_b64 s[40:41], 0
	;; [unrolled: 1-line block ×3, first 2 shown]
                                        ; implicit-def: $vgpr0_vgpr1
                                        ; implicit-def: $vgpr2_vgpr3
	s_and_saveexec_b64 s[34:35], s[42:43]
	s_cbranch_execz .LBB14_887
; %bb.803:
	v_cmp_gt_i32_e32 vcc, s46, v12
	s_mov_b64 s[42:43], 0
	s_mov_b64 s[46:47], s[2:3]
	;; [unrolled: 1-line block ×3, first 2 shown]
                                        ; implicit-def: $vgpr0_vgpr1
                                        ; implicit-def: $vgpr2_vgpr3
	s_and_saveexec_b64 s[36:37], vcc
	s_cbranch_execz .LBB14_886
; %bb.804:
	v_mul_lo_u32 v0, v12, s13
	v_ashrrev_i32_e32 v1, 31, v0
	s_waitcnt vmcnt(0)
	v_mov_b32_e32 v2, s11
	v_add_co_u32_e32 v0, vcc, s10, v0
	v_addc_co_u32_e32 v1, vcc, v2, v1, vcc
	v_cmp_gt_i16_e32 vcc, 11, v13
	s_cbranch_vccnz .LBB14_811
; %bb.805:
	v_cmp_lt_i16_e32 vcc, 25, v13
	s_cbranch_vccz .LBB14_812
; %bb.806:
	v_cmp_lt_i16_e32 vcc, 28, v13
	s_cbranch_vccz .LBB14_813
	;; [unrolled: 3-line block ×4, first 2 shown]
; %bb.809:
	v_cmp_eq_u16_e32 vcc, 46, v13
	s_mov_b64 s[46:47], 0
	s_cbranch_vccz .LBB14_820
; %bb.810:
	global_load_dword v2, v[0:1], off
	s_mov_b64 s[44:45], -1
	s_waitcnt vmcnt(0)
	v_lshlrev_b32_e32 v2, 16, v2
	v_cvt_f64_f32_e32 v[2:3], v2
	s_branch .LBB14_822
.LBB14_811:
	s_mov_b64 s[46:47], -1
                                        ; implicit-def: $vgpr2_vgpr3
	s_mov_b64 s[40:41], s[2:3]
	s_branch .LBB14_885
.LBB14_812:
	s_mov_b64 s[46:47], -1
	s_mov_b64 s[40:41], s[2:3]
                                        ; implicit-def: $vgpr2_vgpr3
	s_branch .LBB14_851
.LBB14_813:
	s_mov_b64 s[46:47], -1
	s_mov_b64 s[40:41], s[2:3]
                                        ; implicit-def: $vgpr2_vgpr3
	s_branch .LBB14_832
.LBB14_814:
	s_mov_b64 s[46:47], -1
	s_mov_b64 s[40:41], s[2:3]
                                        ; implicit-def: $vgpr2_vgpr3
	s_branch .LBB14_827
.LBB14_815:
	s_or_saveexec_b64 s[42:43], s[42:43]
                                        ; implicit-def: $sgpr44
	s_xor_b64 exec, exec, s[42:43]
	s_cbranch_execz .LBB14_711
.LBB14_816:
	s_mov_b32 s44, 0x46000000
	v_add_f32_e64 v3, |v2|, s44
	v_and_b32_e32 v3, 0xff, v3
	v_cmp_ne_u32_e32 vcc, 0, v3
	s_andn2_b64 s[40:41], s[40:41], exec
	s_and_b64 s[48:49], vcc, exec
	s_mov_b32 s44, 0
	s_or_b64 s[40:41], s[40:41], s[48:49]
	s_or_b64 exec, exec, s[42:43]
	v_mov_b32_e32 v6, s44
	s_and_saveexec_b64 s[42:43], s[40:41]
	s_cbranch_execnz .LBB14_712
	s_branch .LBB14_713
.LBB14_817:
	s_mov_b64 s[46:47], -1
	s_mov_b64 s[40:41], s[2:3]
	s_branch .LBB14_821
.LBB14_818:
	s_or_saveexec_b64 s[42:43], s[42:43]
                                        ; implicit-def: $sgpr44
	s_xor_b64 exec, exec, s[42:43]
	s_cbranch_execz .LBB14_724
.LBB14_819:
	s_mov_b32 s44, 0x42800000
	v_add_f32_e64 v3, |v2|, s44
	v_and_b32_e32 v3, 0xff, v3
	v_cmp_ne_u32_e32 vcc, 0, v3
	s_andn2_b64 s[40:41], s[40:41], exec
	s_and_b64 s[48:49], vcc, exec
	s_mov_b32 s44, 0
	s_or_b64 s[40:41], s[40:41], s[48:49]
	s_or_b64 exec, exec, s[42:43]
	v_mov_b32_e32 v6, s44
	s_and_saveexec_b64 s[42:43], s[40:41]
	s_cbranch_execnz .LBB14_725
	s_branch .LBB14_726
.LBB14_820:
	s_mov_b64 s[40:41], -1
.LBB14_821:
                                        ; implicit-def: $vgpr2_vgpr3
.LBB14_822:
	s_and_b64 vcc, exec, s[46:47]
	s_cbranch_vccz .LBB14_826
; %bb.823:
	v_cmp_eq_u16_e32 vcc, 44, v13
	s_cbranch_vccz .LBB14_825
; %bb.824:
	global_load_ubyte v4, v[0:1], off
	s_movk_i32 s44, 0xff
	v_bfrev_b32_e32 v5, 4
	v_mov_b32_e32 v6, 0x7ff80000
	v_bfrev_b32_e32 v7, 28
	s_mov_b64 s[40:41], 0
	s_waitcnt vmcnt(0)
	v_lshlrev_b32_e32 v2, 23, v4
	v_cvt_f64_f32_e32 v[2:3], v2
	v_cmp_ne_u32_e32 vcc, s44, v4
	v_cndmask_b32_e32 v2, v5, v2, vcc
	v_cndmask_b32_e32 v3, v6, v3, vcc
	v_cmp_ne_u32_e32 vcc, 0, v4
	v_cndmask_b32_e32 v3, v7, v3, vcc
	v_cndmask_b32_e32 v2, 0, v2, vcc
	s_mov_b64 s[44:45], -1
	s_branch .LBB14_826
.LBB14_825:
	s_mov_b64 s[40:41], -1
                                        ; implicit-def: $vgpr2_vgpr3
.LBB14_826:
	s_mov_b64 s[46:47], 0
.LBB14_827:
	s_and_b64 vcc, exec, s[46:47]
	s_cbranch_vccz .LBB14_831
; %bb.828:
	v_cmp_eq_u16_e32 vcc, 29, v13
	s_cbranch_vccz .LBB14_830
; %bb.829:
	global_load_dwordx2 v[2:3], v[0:1], off
	s_mov_b64 s[40:41], 0
	s_mov_b64 s[44:45], -1
	s_mov_b64 s[46:47], 0
	s_waitcnt vmcnt(0)
	v_cvt_f64_u32_e32 v[4:5], v3
	v_cvt_f64_u32_e32 v[2:3], v2
	v_ldexp_f64 v[4:5], v[4:5], 32
	v_add_f64 v[2:3], v[4:5], v[2:3]
	s_branch .LBB14_832
.LBB14_830:
	s_mov_b64 s[40:41], -1
                                        ; implicit-def: $vgpr2_vgpr3
.LBB14_831:
	s_mov_b64 s[46:47], 0
.LBB14_832:
	s_and_b64 vcc, exec, s[46:47]
	s_cbranch_vccz .LBB14_850
; %bb.833:
	v_cmp_gt_i16_e32 vcc, 27, v13
	s_cbranch_vccnz .LBB14_836
; %bb.834:
	v_cmp_lt_i16_e32 vcc, 27, v13
	s_cbranch_vccz .LBB14_837
; %bb.835:
	global_load_dword v2, v[0:1], off
	s_mov_b64 s[44:45], 0
	s_waitcnt vmcnt(0)
	v_cvt_f64_u32_e32 v[2:3], v2
	s_branch .LBB14_838
.LBB14_836:
	s_mov_b64 s[44:45], -1
                                        ; implicit-def: $vgpr2_vgpr3
	s_branch .LBB14_841
.LBB14_837:
	s_mov_b64 s[44:45], -1
                                        ; implicit-def: $vgpr2_vgpr3
.LBB14_838:
	s_andn2_b64 vcc, exec, s[44:45]
	s_cbranch_vccnz .LBB14_840
; %bb.839:
	global_load_ushort v2, v[0:1], off
	s_waitcnt vmcnt(0)
	v_cvt_f64_u32_e32 v[2:3], v2
.LBB14_840:
	s_mov_b64 s[44:45], 0
.LBB14_841:
	s_andn2_b64 vcc, exec, s[44:45]
	s_cbranch_vccnz .LBB14_849
; %bb.842:
	global_load_ubyte v4, v[0:1], off
	s_movk_i32 s44, 0x7f
                                        ; implicit-def: $sgpr46_sgpr47
	s_waitcnt vmcnt(0)
	v_cmp_lt_i16_e32 vcc, s44, v4
	s_mov_b64 s[44:45], 0
	s_and_saveexec_b64 s[48:49], vcc
	s_xor_b64 s[48:49], exec, s[48:49]
	s_cbranch_execz .LBB14_863
; %bb.843:
	s_movk_i32 s44, 0x80
	v_cmp_eq_u16_e32 vcc, s44, v4
	s_mov_b64 s[50:51], -1
                                        ; implicit-def: $sgpr46_sgpr47
	s_and_saveexec_b64 s[44:45], vcc
; %bb.844:
	s_mov_b32 s47, 0x7ff80000
	s_brev_b32 s46, 4
	s_xor_b64 s[50:51], exec, -1
; %bb.845:
	s_or_b64 exec, exec, s[44:45]
	s_and_b64 s[44:45], s[50:51], exec
	s_or_saveexec_b64 s[48:49], s[48:49]
	v_pk_mov_b32 v[2:3], s[46:47], s[46:47] op_sel:[0,1]
	s_xor_b64 exec, exec, s[48:49]
	s_cbranch_execnz .LBB14_864
.LBB14_846:
	s_or_b64 exec, exec, s[48:49]
	s_and_saveexec_b64 s[46:47], s[44:45]
	s_cbranch_execz .LBB14_848
.LBB14_847:
	v_and_b32_e32 v3, 0xffff, v4
	v_lshlrev_b32_e32 v2, 24, v4
	v_and_b32_e32 v4, 7, v3
	v_ffbh_u32_e32 v6, v4
	v_min_u32_e32 v6, 32, v6
	v_subrev_u32_e32 v7, 28, v6
	v_bfe_u32 v5, v3, 3, 4
	v_lshlrev_b32_e32 v3, v7, v3
	v_sub_u32_e32 v6, 29, v6
	v_and_b32_e32 v3, 7, v3
	v_cmp_eq_u32_e32 vcc, 0, v5
	v_cndmask_b32_e32 v5, v5, v6, vcc
	v_cndmask_b32_e32 v3, v4, v3, vcc
	v_mov_b32_e32 v4, 0x3b800000
	v_lshlrev_b32_e32 v3, 20, v3
	v_and_b32_e32 v2, 0x80000000, v2
	v_lshl_add_u32 v4, v5, 23, v4
	v_or3_b32 v2, v2, v4, v3
	v_cvt_f64_f32_e32 v[2:3], v2
.LBB14_848:
	s_or_b64 exec, exec, s[46:47]
.LBB14_849:
	s_mov_b64 s[44:45], -1
.LBB14_850:
	s_mov_b64 s[46:47], 0
.LBB14_851:
	s_and_b64 vcc, exec, s[46:47]
	s_cbranch_vccz .LBB14_884
; %bb.852:
	v_cmp_lt_i16_e32 vcc, 22, v13
	s_cbranch_vccz .LBB14_862
; %bb.853:
	v_cmp_gt_i16_e32 vcc, 24, v13
	s_cbranch_vccnz .LBB14_865
; %bb.854:
	v_cmp_lt_i16_e32 vcc, 24, v13
	s_cbranch_vccz .LBB14_866
; %bb.855:
	global_load_ubyte v4, v[0:1], off
	s_movk_i32 s42, 0x7f
                                        ; implicit-def: $sgpr44_sgpr45
	s_waitcnt vmcnt(0)
	v_cmp_lt_i16_e32 vcc, s42, v4
	s_mov_b64 s[42:43], 0
	s_and_saveexec_b64 s[46:47], vcc
	s_xor_b64 s[46:47], exec, s[46:47]
	s_cbranch_execz .LBB14_878
; %bb.856:
	s_movk_i32 s42, 0x80
	v_cmp_eq_u16_e32 vcc, s42, v4
	s_mov_b64 s[48:49], -1
                                        ; implicit-def: $sgpr44_sgpr45
	s_and_saveexec_b64 s[42:43], vcc
; %bb.857:
	s_mov_b32 s45, 0x7ff80000
	s_brev_b32 s44, 4
	s_xor_b64 s[48:49], exec, -1
; %bb.858:
	s_or_b64 exec, exec, s[42:43]
	s_and_b64 s[42:43], s[48:49], exec
	s_or_saveexec_b64 s[46:47], s[46:47]
	v_pk_mov_b32 v[2:3], s[44:45], s[44:45] op_sel:[0,1]
	s_xor_b64 exec, exec, s[46:47]
	s_cbranch_execnz .LBB14_879
.LBB14_859:
	s_or_b64 exec, exec, s[46:47]
	s_and_saveexec_b64 s[44:45], s[42:43]
	s_cbranch_execz .LBB14_861
.LBB14_860:
	v_and_b32_e32 v3, 0xffff, v4
	v_lshlrev_b32_e32 v2, 24, v4
	v_and_b32_e32 v4, 3, v3
	v_ffbh_u32_e32 v6, v4
	v_min_u32_e32 v6, 32, v6
	v_subrev_u32_e32 v7, 29, v6
	v_bfe_u32 v5, v3, 2, 5
	v_lshlrev_b32_e32 v3, v7, v3
	v_sub_u32_e32 v6, 30, v6
	v_and_b32_e32 v3, 3, v3
	v_cmp_eq_u32_e32 vcc, 0, v5
	v_cndmask_b32_e32 v5, v5, v6, vcc
	v_cndmask_b32_e32 v3, v4, v3, vcc
	v_mov_b32_e32 v4, 0x37800000
	v_lshlrev_b32_e32 v3, 21, v3
	v_and_b32_e32 v2, 0x80000000, v2
	v_lshl_add_u32 v4, v5, 23, v4
	v_or3_b32 v2, v2, v4, v3
	v_cvt_f64_f32_e32 v[2:3], v2
.LBB14_861:
	s_or_b64 exec, exec, s[44:45]
	s_mov_b64 s[42:43], 0
	s_branch .LBB14_867
.LBB14_862:
	s_mov_b64 s[42:43], -1
                                        ; implicit-def: $vgpr2_vgpr3
	s_branch .LBB14_873
.LBB14_863:
	s_or_saveexec_b64 s[48:49], s[48:49]
	v_pk_mov_b32 v[2:3], s[46:47], s[46:47] op_sel:[0,1]
	s_xor_b64 exec, exec, s[48:49]
	s_cbranch_execz .LBB14_846
.LBB14_864:
	v_cmp_ne_u16_e32 vcc, 0, v4
	s_andn2_b64 s[44:45], s[44:45], exec
	s_and_b64 s[46:47], vcc, exec
	v_pk_mov_b32 v[2:3], 0, 0
	s_or_b64 s[44:45], s[44:45], s[46:47]
	s_or_b64 exec, exec, s[48:49]
	s_and_saveexec_b64 s[46:47], s[44:45]
	s_cbranch_execnz .LBB14_847
	s_branch .LBB14_848
.LBB14_865:
	s_mov_b64 s[42:43], -1
                                        ; implicit-def: $vgpr2_vgpr3
	s_branch .LBB14_870
.LBB14_866:
	s_mov_b64 s[42:43], -1
                                        ; implicit-def: $vgpr2_vgpr3
.LBB14_867:
	s_and_b64 vcc, exec, s[42:43]
	s_cbranch_vccz .LBB14_869
; %bb.868:
	global_load_ubyte v2, v[0:1], off
	s_mov_b32 s42, 0x7f800000
	s_waitcnt vmcnt(0)
	v_lshlrev_b32_e32 v2, 24, v2
	v_and_b32_e32 v3, 0x7f000000, v2
	v_ffbh_u32_e32 v4, v3
	v_min_u32_e32 v4, 32, v4
	v_sub_u32_e64 v4, v4, 4 clamp
	v_lshlrev_b32_e32 v6, v4, v3
	v_lshlrev_b32_e32 v4, 23, v4
	v_lshrrev_b32_e32 v6, 4, v6
	v_add_u32_e32 v5, 0x1000000, v3
	v_sub_u32_e32 v4, v6, v4
	v_ashrrev_i32_e32 v5, 8, v5
	v_add_u32_e32 v4, 0x3c000000, v4
	v_and_or_b32 v4, v5, s42, v4
	v_cmp_ne_u32_e32 vcc, 0, v3
	v_cndmask_b32_e32 v3, 0, v4, vcc
	s_brev_b32 s42, 1
	v_and_or_b32 v2, v2, s42, v3
	v_cvt_f64_f32_e32 v[2:3], v2
.LBB14_869:
	s_mov_b64 s[42:43], 0
.LBB14_870:
	s_andn2_b64 vcc, exec, s[42:43]
	s_cbranch_vccnz .LBB14_872
; %bb.871:
	global_load_ubyte v2, v[0:1], off
	s_movk_i32 s42, 0x7f00
	s_brev_b32 s43, 16
	s_waitcnt vmcnt(0)
	v_lshlrev_b16_e32 v3, 8, v2
	v_lshlrev_b32_e32 v2, 25, v2
	v_lshrrev_b32_e32 v4, 4, v2
	v_and_or_b32 v5, v3, s42, 0.5
	v_or_b32_e32 v4, 0x70000000, v4
	v_add_f32_e32 v5, -0.5, v5
	v_mul_f32_e32 v4, 0x7800000, v4
	v_cmp_gt_u32_e32 vcc, s43, v2
	v_bfe_i32 v3, v3, 0, 16
	v_cndmask_b32_e32 v2, v4, v5, vcc
	s_brev_b32 s42, 1
	v_and_or_b32 v2, v3, s42, v2
	v_cvt_f64_f32_e32 v[2:3], v2
.LBB14_872:
	s_mov_b64 s[42:43], 0
	s_mov_b64 s[44:45], -1
.LBB14_873:
	s_andn2_b64 vcc, exec, s[42:43]
	s_mov_b64 s[42:43], 0
	s_cbranch_vccnz .LBB14_884
; %bb.874:
	v_cmp_lt_i16_e32 vcc, 14, v13
	s_cbranch_vccz .LBB14_877
; %bb.875:
	v_cmp_eq_u16_e32 vcc, 15, v13
	s_cbranch_vccz .LBB14_880
; %bb.876:
	global_load_ushort v2, v[0:1], off
	s_mov_b64 s[40:41], 0
	s_mov_b64 s[44:45], -1
	s_waitcnt vmcnt(0)
	v_lshlrev_b32_e32 v2, 16, v2
	v_cvt_f64_f32_e32 v[2:3], v2
	s_branch .LBB14_881
.LBB14_877:
	s_mov_b64 s[46:47], -1
                                        ; implicit-def: $vgpr2_vgpr3
	s_branch .LBB14_882
.LBB14_878:
	s_or_saveexec_b64 s[46:47], s[46:47]
	v_pk_mov_b32 v[2:3], s[44:45], s[44:45] op_sel:[0,1]
	s_xor_b64 exec, exec, s[46:47]
	s_cbranch_execz .LBB14_859
.LBB14_879:
	v_cmp_ne_u16_e32 vcc, 0, v4
	s_andn2_b64 s[42:43], s[42:43], exec
	s_and_b64 s[44:45], vcc, exec
	v_pk_mov_b32 v[2:3], 0, 0
	s_or_b64 s[42:43], s[42:43], s[44:45]
	s_or_b64 exec, exec, s[46:47]
	s_and_saveexec_b64 s[44:45], s[42:43]
	s_cbranch_execnz .LBB14_860
	s_branch .LBB14_861
.LBB14_880:
	s_mov_b64 s[40:41], -1
                                        ; implicit-def: $vgpr2_vgpr3
.LBB14_881:
	s_mov_b64 s[46:47], 0
.LBB14_882:
	s_and_b64 vcc, exec, s[46:47]
	s_cbranch_vccz .LBB14_884
; %bb.883:
	v_cmp_ne_u16_e32 vcc, 11, v13
	s_andn2_b64 s[40:41], s[40:41], exec
	s_and_b64 s[46:47], vcc, exec
	s_mov_b64 s[42:43], -1
	s_or_b64 s[40:41], s[40:41], s[46:47]
                                        ; implicit-def: $vgpr2_vgpr3
.LBB14_884:
	s_mov_b64 s[46:47], 0
.LBB14_885:
	s_and_b64 s[48:49], s[46:47], exec
	s_andn2_b64 s[46:47], s[2:3], exec
	s_and_b64 s[40:41], s[40:41], exec
	s_and_b64 s[44:45], s[44:45], exec
	;; [unrolled: 1-line block ×3, first 2 shown]
	s_or_b64 s[46:47], s[46:47], s[40:41]
.LBB14_886:
	s_or_b64 exec, exec, s[36:37]
	s_and_b64 s[36:37], s[42:43], exec
	s_andn2_b64 s[2:3], s[2:3], exec
	s_and_b64 s[42:43], s[46:47], exec
	s_and_b64 s[44:45], s[44:45], exec
	s_and_b64 s[40:41], s[48:49], exec
	s_or_b64 s[2:3], s[2:3], s[42:43]
.LBB14_887:
	s_or_b64 exec, exec, s[34:35]
	s_andn2_b64 s[28:29], s[28:29], exec
	s_and_b64 s[34:35], s[38:39], exec
	s_andn2_b64 s[26:27], s[26:27], exec
	s_and_b64 s[2:3], s[2:3], exec
	s_or_b64 s[28:29], s[28:29], s[34:35]
	s_and_b64 s[38:39], s[44:45], exec
	s_and_b64 s[34:35], s[40:41], exec
	;; [unrolled: 1-line block ×3, first 2 shown]
	s_or_b64 s[26:27], s[26:27], s[2:3]
.LBB14_888:
	s_or_b64 exec, exec, s[30:31]
	s_andn2_b64 s[2:3], s[20:21], exec
	s_and_b64 s[20:21], s[28:29], exec
	s_or_b64 s[20:21], s[2:3], s[20:21]
	s_andn2_b64 s[2:3], s[22:23], exec
	s_and_b64 s[22:23], s[26:27], exec
	s_and_b64 s[30:31], s[38:39], exec
	;; [unrolled: 1-line block ×4, first 2 shown]
	s_or_b64 s[22:23], s[2:3], s[22:23]
	s_or_b64 exec, exec, s[24:25]
	s_mov_b64 s[2:3], 0
	s_and_saveexec_b64 s[24:25], s[22:23]
	s_cbranch_execz .LBB14_272
.LBB14_889:
	s_mov_b64 s[2:3], exec
	s_andn2_b64 s[28:29], s[28:29], exec
	s_trap 2
                                        ; implicit-def: $vgpr2_vgpr3
	s_or_b64 exec, exec, s[24:25]
	s_and_saveexec_b64 s[22:23], s[28:29]
	s_xor_b64 s[22:23], exec, s[22:23]
	s_cbranch_execnz .LBB14_273
.LBB14_890:
	s_or_b64 exec, exec, s[22:23]
	s_and_saveexec_b64 s[22:23], s[34:35]
	s_cbranch_execz .LBB14_936
.LBB14_891:
	v_cmp_gt_i16_e32 vcc, 5, v13
	s_cbranch_vccnz .LBB14_896
; %bb.892:
	v_cmp_gt_i16_e32 vcc, 8, v13
	s_cbranch_vccnz .LBB14_897
; %bb.893:
	;; [unrolled: 3-line block ×3, first 2 shown]
	v_cmp_lt_i16_e32 vcc, 9, v13
	s_cbranch_vccz .LBB14_899
; %bb.895:
	global_load_dwordx2 v[2:3], v[0:1], off
	s_mov_b64 s[24:25], 0
	s_branch .LBB14_900
.LBB14_896:
                                        ; implicit-def: $vgpr2_vgpr3
	s_branch .LBB14_917
.LBB14_897:
                                        ; implicit-def: $vgpr2_vgpr3
	s_branch .LBB14_906
.LBB14_898:
	s_mov_b64 s[24:25], -1
                                        ; implicit-def: $vgpr2_vgpr3
	s_branch .LBB14_903
.LBB14_899:
	s_mov_b64 s[24:25], -1
                                        ; implicit-def: $vgpr2_vgpr3
.LBB14_900:
	s_andn2_b64 vcc, exec, s[24:25]
	s_cbranch_vccnz .LBB14_902
; %bb.901:
	global_load_dword v2, v[0:1], off
	s_waitcnt vmcnt(0)
	v_cvt_f64_f32_e32 v[2:3], v2
.LBB14_902:
	s_mov_b64 s[24:25], 0
.LBB14_903:
	s_andn2_b64 vcc, exec, s[24:25]
	s_cbranch_vccnz .LBB14_905
; %bb.904:
	global_load_dword v2, v[0:1], off
	s_waitcnt vmcnt(0)
	v_cvt_f32_f16_e32 v2, v2
	v_cvt_f64_f32_e32 v[2:3], v2
.LBB14_905:
	s_cbranch_execnz .LBB14_916
.LBB14_906:
	v_cmp_gt_i16_e32 vcc, 6, v13
	s_cbranch_vccnz .LBB14_909
; %bb.907:
	v_cmp_lt_i16_e32 vcc, 6, v13
	s_cbranch_vccz .LBB14_910
; %bb.908:
	global_load_dwordx2 v[2:3], v[0:1], off
	s_mov_b64 s[24:25], 0
	s_branch .LBB14_911
.LBB14_909:
	s_mov_b64 s[24:25], -1
                                        ; implicit-def: $vgpr2_vgpr3
	s_branch .LBB14_914
.LBB14_910:
	s_mov_b64 s[24:25], -1
                                        ; implicit-def: $vgpr2_vgpr3
.LBB14_911:
	s_andn2_b64 vcc, exec, s[24:25]
	s_cbranch_vccnz .LBB14_913
; %bb.912:
	global_load_dword v2, v[0:1], off
	s_waitcnt vmcnt(0)
	v_cvt_f64_f32_e32 v[2:3], v2
.LBB14_913:
	s_mov_b64 s[24:25], 0
.LBB14_914:
	s_andn2_b64 vcc, exec, s[24:25]
	s_cbranch_vccnz .LBB14_916
; %bb.915:
	global_load_ushort v2, v[0:1], off
	s_waitcnt vmcnt(0)
	v_cvt_f32_f16_e32 v2, v2
	v_cvt_f64_f32_e32 v[2:3], v2
.LBB14_916:
	s_cbranch_execnz .LBB14_935
.LBB14_917:
	v_cmp_gt_i16_e32 vcc, 2, v13
	s_cbranch_vccnz .LBB14_921
; %bb.918:
	v_cmp_gt_i16_e32 vcc, 3, v13
	s_cbranch_vccnz .LBB14_922
; %bb.919:
	v_cmp_lt_i16_e32 vcc, 3, v13
	s_cbranch_vccz .LBB14_923
; %bb.920:
	global_load_dwordx2 v[2:3], v[0:1], off
	s_mov_b64 s[24:25], 0
	s_waitcnt vmcnt(0)
	v_cvt_f64_i32_e32 v[4:5], v3
	v_cvt_f64_u32_e32 v[2:3], v2
	v_ldexp_f64 v[4:5], v[4:5], 32
	v_add_f64 v[2:3], v[4:5], v[2:3]
	s_branch .LBB14_924
.LBB14_921:
                                        ; implicit-def: $vgpr2_vgpr3
	s_branch .LBB14_930
.LBB14_922:
	s_mov_b64 s[24:25], -1
                                        ; implicit-def: $vgpr2_vgpr3
	s_branch .LBB14_927
.LBB14_923:
	s_mov_b64 s[24:25], -1
                                        ; implicit-def: $vgpr2_vgpr3
.LBB14_924:
	s_andn2_b64 vcc, exec, s[24:25]
	s_cbranch_vccnz .LBB14_926
; %bb.925:
	global_load_dword v2, v[0:1], off
	s_waitcnt vmcnt(0)
	v_cvt_f64_i32_e32 v[2:3], v2
.LBB14_926:
	s_mov_b64 s[24:25], 0
.LBB14_927:
	s_andn2_b64 vcc, exec, s[24:25]
	s_cbranch_vccnz .LBB14_929
; %bb.928:
	global_load_sshort v2, v[0:1], off
	s_waitcnt vmcnt(0)
	v_cvt_f64_i32_e32 v[2:3], v2
.LBB14_929:
	s_cbranch_execnz .LBB14_935
.LBB14_930:
	v_cmp_lt_i16_e32 vcc, 0, v13
	s_cbranch_vccz .LBB14_932
; %bb.931:
	global_load_sbyte v2, v[0:1], off
	s_mov_b64 s[24:25], 0
	s_waitcnt vmcnt(0)
	v_cvt_f64_i32_e32 v[2:3], v2
	s_branch .LBB14_933
.LBB14_932:
	s_mov_b64 s[24:25], -1
                                        ; implicit-def: $vgpr2_vgpr3
.LBB14_933:
	s_andn2_b64 vcc, exec, s[24:25]
	s_cbranch_vccnz .LBB14_935
; %bb.934:
	global_load_ubyte v0, v[0:1], off
	s_waitcnt vmcnt(0)
	v_cvt_f64_u32_e32 v[2:3], v0
.LBB14_935:
	s_or_b64 s[30:31], s[30:31], exec
.LBB14_936:
	s_or_b64 exec, exec, s[22:23]
	s_mov_b64 s[26:27], 0
	s_mov_b64 s[24:25], 0
                                        ; implicit-def: $vgpr6
                                        ; implicit-def: $vgpr4_vgpr5
                                        ; implicit-def: $vgpr0_vgpr1
	s_and_saveexec_b64 s[22:23], s[30:31]
	s_cbranch_execz .LBB14_944
; %bb.937:
	s_andn2_b64 vcc, exec, s[18:19]
	v_pk_mov_b32 v[0:1], 0, 0
	s_cbranch_vccnz .LBB14_950
; %bb.938:
	v_cmp_lt_i64_e64 s[18:19], s[16:17], 1
	v_mov_b32_e32 v0, 0
	s_and_b64 vcc, exec, s[18:19]
	v_mov_b32_e32 v1, 0x3ff00000
	s_cbranch_vccnz .LBB14_950
; %bb.939:
	s_cmp_lg_u64 s[16:17], 1
	s_cbranch_scc0 .LBB14_947
; %bb.940:
	v_mov_b32_e32 v0, 0
	s_andn2_b64 vcc, exec, s[0:1]
	v_mov_b32_e32 v1, 0x7ff80000
	s_cbranch_vccnz .LBB14_943
; %bb.941:
	v_mov_b32_e32 v4, 0
	s_mov_b64 s[0:1], 1
	v_mov_b32_e32 v5, 0x3ff00000
	s_waitcnt vmcnt(0)
	v_pk_mov_b32 v[0:1], v[2:3], v[2:3] op_sel:[0,1]
.LBB14_942:                             ; =>This Inner Loop Header: Depth=1
	v_cvt_f64_u32_e32 v[6:7], s1
	v_cvt_f64_u32_e32 v[8:9], s0
	v_ldexp_f64 v[6:7], v[6:7], 32
	s_add_u32 s0, s0, 1
	v_add_f64 v[6:7], v[6:7], v[8:9]
	s_addc_u32 s1, s1, 0
	v_mul_f64 v[6:7], v[4:5], v[6:7]
	s_cmp_lg_u64 s[16:17], s[0:1]
	v_pk_mov_b32 v[4:5], v[0:1], v[0:1] op_sel:[0,1]
	v_fma_f64 v[0:1], v[2:3], v[0:1], -v[6:7]
	s_cbranch_scc1 .LBB14_942
.LBB14_943:
	s_mov_b64 s[0:1], 0
	s_branch .LBB14_948
.LBB14_944:
	s_or_b64 exec, exec, s[22:23]
	s_and_saveexec_b64 s[0:1], s[20:21]
	s_cbranch_execnz .LBB14_1027
.LBB14_945:
	s_or_b64 exec, exec, s[0:1]
	s_and_saveexec_b64 s[0:1], s[26:27]
	s_xor_b64 s[0:1], exec, s[0:1]
	s_cbranch_execz .LBB14_1028
.LBB14_946:
	v_cmp_neq_f64_e32 vcc, 0, v[0:1]
	s_waitcnt vmcnt(0)
	v_cndmask_b32_e64 v2, 0, 1, vcc
	global_store_byte v[4:5], v2, off
	s_or_b64 exec, exec, s[0:1]
	s_and_saveexec_b64 s[0:1], s[24:25]
	s_xor_b64 s[0:1], exec, s[0:1]
	s_cbranch_execz .LBB14_1066
	s_branch .LBB14_1029
.LBB14_947:
	s_mov_b64 s[0:1], -1
                                        ; implicit-def: $vgpr0_vgpr1
.LBB14_948:
	s_andn2_b64 vcc, exec, s[0:1]
	s_cbranch_vccnz .LBB14_950
; %bb.949:
	s_waitcnt vmcnt(0)
	v_pk_mov_b32 v[0:1], v[2:3], v[2:3] op_sel:[0,1]
.LBB14_950:
	s_waitcnt vmcnt(0)
	v_mul_lo_u32 v2, v12, s12
	v_ashrrev_i32_e32 v3, 31, v2
	v_mov_b32_e32 v5, s9
	v_add_co_u32_e32 v4, vcc, s8, v2
	v_mov_b32_e32 v2, 0xff
	v_addc_co_u32_e32 v5, vcc, v5, v3, vcc
	v_and_b32_e32 v6, s33, v2
	v_cmp_gt_i16_e32 vcc, 11, v6
	s_cbranch_vccnz .LBB14_1024
; %bb.951:
	v_cmp_lt_i16_e32 vcc, 25, v6
	s_mov_b64 s[18:19], -1
	s_mov_b64 s[0:1], s[20:21]
	s_cbranch_vccz .LBB14_984
; %bb.952:
	v_cmp_lt_i16_e32 vcc, 28, v6
	s_mov_b64 s[16:17], -1
	s_mov_b64 s[0:1], s[20:21]
	s_cbranch_vccz .LBB14_968
; %bb.953:
	v_cmp_lt_i16_e32 vcc, 43, v6
	s_mov_b64 s[0:1], s[20:21]
	s_cbranch_vccz .LBB14_964
; %bb.954:
	v_cmp_lt_i16_e32 vcc, 45, v6
	s_mov_b64 s[0:1], s[20:21]
	s_cbranch_vccz .LBB14_958
; %bb.955:
	v_cmp_eq_u16_e32 vcc, 46, v6
	s_mov_b64 s[0:1], -1
	s_cbranch_vccz .LBB14_957
; %bb.956:
	v_cvt_f32_f64_e32 v2, v[0:1]
	v_bfe_u32 v3, v2, 16, 1
	s_movk_i32 s0, 0x7fff
	v_add3_u32 v3, v2, v3, s0
	v_lshrrev_b32_e32 v3, 16, v3
	v_mov_b32_e32 v7, 0x7fc0
	v_cmp_o_f32_e32 vcc, v2, v2
	v_cndmask_b32_e32 v2, v7, v3, vcc
	global_store_dword v[4:5], v2, off
	s_mov_b64 s[0:1], 0
.LBB14_957:
	s_mov_b64 s[16:17], 0
.LBB14_958:
	s_and_b64 vcc, exec, s[16:17]
	s_cbranch_vccz .LBB14_963
; %bb.959:
	v_cmp_eq_u16_e32 vcc, 44, v6
	s_mov_b64 s[0:1], -1
	s_cbranch_vccz .LBB14_963
; %bb.960:
	v_cvt_f32_f64_e32 v2, v[0:1]
	v_bfe_u32 v3, v2, 23, 8
	s_movk_i32 s0, 0xff
	v_cmp_ne_u32_e32 vcc, s0, v3
	v_mov_b32_e32 v7, 0xff
	s_and_saveexec_b64 s[16:17], vcc
; %bb.961:
	s_mov_b32 s0, 0x3fffff
	v_lshrrev_b32_e32 v7, 23, v2
	v_and_b32_e32 v8, 0x400000, v2
	v_and_or_b32 v2, v2, s0, v3
	v_cmp_ne_u32_e32 vcc, 0, v8
	v_cmp_ne_u32_e64 s[0:1], 0, v2
	s_and_b64 s[0:1], vcc, s[0:1]
	v_cndmask_b32_e64 v2, 0, 1, s[0:1]
	v_add_u32_e32 v7, v7, v2
; %bb.962:
	s_or_b64 exec, exec, s[16:17]
	s_mov_b64 s[0:1], 0
	global_store_byte v[4:5], v7, off
.LBB14_963:
	s_mov_b64 s[16:17], 0
.LBB14_964:
	s_and_b64 vcc, exec, s[16:17]
	s_cbranch_vccz .LBB14_967
; %bb.965:
	v_cmp_eq_u16_e32 vcc, 29, v6
	s_mov_b64 s[0:1], -1
	s_cbranch_vccz .LBB14_967
; %bb.966:
	v_trunc_f64_e32 v[2:3], v[0:1]
	s_movk_i32 s0, 0xffe0
	v_ldexp_f64 v[8:9], v[2:3], s0
	v_floor_f64_e32 v[8:9], v[8:9]
	v_fmac_f64_e32 v[2:3], 0xc1f00000, v[8:9]
	v_cvt_u32_f64_e32 v11, v[8:9]
	v_cvt_u32_f64_e32 v10, v[2:3]
	global_store_dwordx2 v[4:5], v[10:11], off
	s_mov_b64 s[0:1], 0
.LBB14_967:
	s_mov_b64 s[16:17], 0
.LBB14_968:
	s_and_b64 vcc, exec, s[16:17]
	s_cbranch_vccz .LBB14_983
; %bb.969:
	v_cmp_gt_i16_e32 vcc, 27, v6
	s_mov_b64 s[16:17], -1
	s_cbranch_vccnz .LBB14_975
; %bb.970:
	v_cmp_lt_i16_e32 vcc, 27, v6
	v_cvt_u32_f64_e32 v2, v[0:1]
	s_cbranch_vccz .LBB14_972
; %bb.971:
	s_mov_b64 s[16:17], 0
	global_store_dword v[4:5], v2, off
.LBB14_972:
	s_andn2_b64 vcc, exec, s[16:17]
	s_cbranch_vccnz .LBB14_974
; %bb.973:
	global_store_short v[4:5], v2, off
.LBB14_974:
	s_mov_b64 s[16:17], 0
.LBB14_975:
	s_andn2_b64 vcc, exec, s[16:17]
	s_cbranch_vccnz .LBB14_983
; %bb.976:
	v_cvt_f32_f64_e32 v2, v[0:1]
	v_and_b32_e32 v3, 0x7fffffff, v2
	s_mov_b32 s16, 0x43800000
	v_cmp_gt_u32_e32 vcc, s16, v3
	v_mov_b32_e32 v7, 0x80
	s_and_saveexec_b64 s[16:17], vcc
	s_cbranch_execz .LBB14_982
; %bb.977:
	s_mov_b32 s18, 0x3bffffff
	v_cmp_lt_u32_e32 vcc, s18, v3
	s_mov_b64 s[18:19], 0
                                        ; implicit-def: $vgpr3
	s_and_saveexec_b64 s[24:25], vcc
	s_xor_b64 s[24:25], exec, s[24:25]
	s_cbranch_execz .LBB14_1081
; %bb.978:
	v_bfe_u32 v3, v2, 20, 1
	s_mov_b32 s26, 0x487ffff
	v_add3_u32 v3, v2, v3, s26
	s_mov_b64 s[18:19], exec
	v_lshrrev_b32_e32 v3, 20, v3
	s_or_saveexec_b64 s[24:25], s[24:25]
                                        ; implicit-def: $sgpr26
	s_xor_b64 exec, exec, s[24:25]
	s_cbranch_execnz .LBB14_1082
.LBB14_979:
	s_or_b64 exec, exec, s[24:25]
	v_mov_b32_e32 v7, s26
	s_and_saveexec_b64 s[24:25], s[18:19]
.LBB14_980:
	v_lshrrev_b32_e32 v2, 24, v2
	s_movk_i32 s18, 0x80
	v_and_or_b32 v7, v2, s18, v3
.LBB14_981:
	s_or_b64 exec, exec, s[24:25]
.LBB14_982:
	s_or_b64 exec, exec, s[16:17]
	global_store_byte v[4:5], v7, off
.LBB14_983:
	s_mov_b64 s[18:19], 0
.LBB14_984:
	s_mov_b64 s[16:17], 0
	s_and_b64 vcc, exec, s[18:19]
	s_cbranch_vccz .LBB14_1025
; %bb.985:
	v_cmp_lt_i16_e32 vcc, 22, v6
	s_mov_b64 s[18:19], -1
	s_cbranch_vccz .LBB14_1017
; %bb.986:
	v_cmp_gt_i16_e32 vcc, 24, v6
	s_cbranch_vccnz .LBB14_1006
; %bb.987:
	v_cmp_lt_i16_e32 vcc, 24, v6
	s_cbranch_vccz .LBB14_995
; %bb.988:
	v_cvt_f32_f64_e32 v2, v[0:1]
	v_and_b32_e32 v3, 0x7fffffff, v2
	s_mov_b32 s18, 0x47800000
	v_cmp_gt_u32_e32 vcc, s18, v3
	v_mov_b32_e32 v7, 0x80
	s_and_saveexec_b64 s[18:19], vcc
	s_cbranch_execz .LBB14_994
; %bb.989:
	s_mov_b32 s24, 0x37ffffff
	v_cmp_lt_u32_e32 vcc, s24, v3
	s_mov_b64 s[24:25], 0
                                        ; implicit-def: $vgpr3
	s_and_saveexec_b64 s[26:27], vcc
	s_xor_b64 s[26:27], exec, s[26:27]
	s_cbranch_execz .LBB14_1216
; %bb.990:
	v_bfe_u32 v3, v2, 21, 1
	s_mov_b32 s28, 0x88fffff
	v_add3_u32 v3, v2, v3, s28
	s_mov_b64 s[24:25], exec
	v_lshrrev_b32_e32 v3, 21, v3
	s_or_saveexec_b64 s[26:27], s[26:27]
                                        ; implicit-def: $sgpr28
	s_xor_b64 exec, exec, s[26:27]
	s_cbranch_execnz .LBB14_1217
.LBB14_991:
	s_or_b64 exec, exec, s[26:27]
	v_mov_b32_e32 v7, s28
	s_and_saveexec_b64 s[26:27], s[24:25]
.LBB14_992:
	v_lshrrev_b32_e32 v2, 24, v2
	s_movk_i32 s24, 0x80
	v_and_or_b32 v7, v2, s24, v3
.LBB14_993:
	s_or_b64 exec, exec, s[26:27]
.LBB14_994:
	s_or_b64 exec, exec, s[18:19]
	s_mov_b64 s[18:19], 0
	global_store_byte v[4:5], v7, off
.LBB14_995:
	s_and_b64 vcc, exec, s[18:19]
	s_cbranch_vccz .LBB14_1005
; %bb.996:
	v_cvt_f32_f64_e32 v2, v[0:1]
	v_and_b32_e32 v7, 0x7fffffff, v2
	s_mov_b32 s18, 0x43f00000
	v_cmp_gt_u32_e32 vcc, s18, v7
                                        ; implicit-def: $vgpr3
	s_and_saveexec_b64 s[18:19], vcc
	s_xor_b64 s[18:19], exec, s[18:19]
	s_cbranch_execz .LBB14_1002
; %bb.997:
	s_mov_b32 s24, 0x3c7fffff
	v_cmp_lt_u32_e32 vcc, s24, v7
                                        ; implicit-def: $vgpr3
	s_and_saveexec_b64 s[24:25], vcc
	s_xor_b64 s[24:25], exec, s[24:25]
; %bb.998:
	v_bfe_u32 v3, v2, 20, 1
	s_mov_b32 s26, 0x407ffff
	v_add3_u32 v3, v2, v3, s26
	v_lshrrev_b32_e32 v7, 20, v3
	v_and_b32_e32 v3, 0xff00000, v3
	s_mov_b32 s26, 0x7f00000
	v_mov_b32_e32 v8, 0x7e
	v_cmp_ne_u32_e32 vcc, s26, v3
	v_cndmask_b32_e32 v3, v8, v7, vcc
; %bb.999:
	s_andn2_saveexec_b64 s[24:25], s[24:25]
; %bb.1000:
	s_mov_b32 s26, 0x46800000
	v_add_f32_e64 v3, |v2|, s26
; %bb.1001:
	s_or_b64 exec, exec, s[24:25]
                                        ; implicit-def: $vgpr7
.LBB14_1002:
	s_andn2_saveexec_b64 s[18:19], s[18:19]
; %bb.1003:
	s_mov_b32 s24, 0x7f800000
	v_mov_b32_e32 v3, 0x7e
	v_mov_b32_e32 v8, 0x7f
	v_cmp_lt_u32_e32 vcc, s24, v7
	v_cndmask_b32_e32 v3, v3, v8, vcc
; %bb.1004:
	s_or_b64 exec, exec, s[18:19]
	v_lshrrev_b32_e32 v2, 24, v2
	s_movk_i32 s18, 0x80
	v_and_or_b32 v2, v2, s18, v3
	global_store_byte v[4:5], v2, off
.LBB14_1005:
	s_mov_b64 s[18:19], 0
.LBB14_1006:
	s_andn2_b64 vcc, exec, s[18:19]
	s_cbranch_vccnz .LBB14_1016
; %bb.1007:
	v_cvt_f32_f64_e32 v2, v[0:1]
	v_and_b32_e32 v7, 0x7fffffff, v2
	s_mov_b32 s18, 0x47800000
	v_cmp_gt_u32_e32 vcc, s18, v7
                                        ; implicit-def: $vgpr3
	s_and_saveexec_b64 s[18:19], vcc
	s_xor_b64 s[18:19], exec, s[18:19]
	s_cbranch_execz .LBB14_1013
; %bb.1008:
	s_mov_b32 s24, 0x387fffff
	v_cmp_lt_u32_e32 vcc, s24, v7
                                        ; implicit-def: $vgpr3
	s_and_saveexec_b64 s[24:25], vcc
	s_xor_b64 s[24:25], exec, s[24:25]
; %bb.1009:
	v_bfe_u32 v3, v2, 21, 1
	s_mov_b32 s26, 0x80fffff
	v_add3_u32 v3, v2, v3, s26
	v_lshrrev_b32_e32 v3, 21, v3
; %bb.1010:
	s_andn2_saveexec_b64 s[24:25], s[24:25]
; %bb.1011:
	s_mov_b32 s26, 0x43000000
	v_add_f32_e64 v3, |v2|, s26
; %bb.1012:
	s_or_b64 exec, exec, s[24:25]
                                        ; implicit-def: $vgpr7
.LBB14_1013:
	s_andn2_saveexec_b64 s[18:19], s[18:19]
; %bb.1014:
	s_mov_b32 s24, 0x7f800000
	v_mov_b32_e32 v3, 0x7c
	v_mov_b32_e32 v8, 0x7f
	v_cmp_lt_u32_e32 vcc, s24, v7
	v_cndmask_b32_e32 v3, v3, v8, vcc
; %bb.1015:
	s_or_b64 exec, exec, s[18:19]
	v_lshrrev_b32_e32 v2, 24, v2
	s_movk_i32 s18, 0x80
	v_and_or_b32 v2, v2, s18, v3
	global_store_byte v[4:5], v2, off
.LBB14_1016:
	s_mov_b64 s[18:19], 0
.LBB14_1017:
	s_andn2_b64 vcc, exec, s[18:19]
	s_mov_b64 s[18:19], 0
	s_cbranch_vccnz .LBB14_1026
; %bb.1018:
	v_cmp_lt_i16_e32 vcc, 14, v6
	s_mov_b64 s[24:25], -1
	s_cbranch_vccz .LBB14_1022
; %bb.1019:
	v_cmp_eq_u16_e32 vcc, 15, v6
	s_mov_b64 s[0:1], -1
	s_cbranch_vccz .LBB14_1021
; %bb.1020:
	v_cvt_f32_f64_e32 v2, v[0:1]
	v_bfe_u32 v3, v2, 16, 1
	s_movk_i32 s0, 0x7fff
	v_add3_u32 v3, v2, v3, s0
	v_lshrrev_b32_e32 v3, 16, v3
	v_mov_b32_e32 v7, 0x7fc0
	v_cmp_o_f32_e32 vcc, v2, v2
	v_cndmask_b32_e32 v2, v7, v3, vcc
	global_store_short v[4:5], v2, off
	s_mov_b64 s[0:1], 0
.LBB14_1021:
	s_mov_b64 s[24:25], 0
.LBB14_1022:
	s_and_b64 vcc, exec, s[24:25]
	s_cbranch_vccz .LBB14_1026
; %bb.1023:
	v_cmp_ne_u16_e32 vcc, 11, v6
	s_andn2_b64 s[0:1], s[0:1], exec
	s_and_b64 s[24:25], vcc, exec
	s_mov_b64 s[18:19], -1
	s_or_b64 s[0:1], s[0:1], s[24:25]
	s_branch .LBB14_1026
.LBB14_1024:
	s_mov_b64 s[18:19], 0
	s_mov_b64 s[16:17], -1
	s_mov_b64 s[0:1], s[20:21]
	s_branch .LBB14_1026
.LBB14_1025:
	s_mov_b64 s[18:19], 0
.LBB14_1026:
	s_and_b64 s[24:25], s[16:17], exec
	s_andn2_b64 s[16:17], s[20:21], exec
	s_and_b64 s[0:1], s[0:1], exec
	s_and_b64 s[26:27], s[18:19], exec
	s_or_b64 s[20:21], s[16:17], s[0:1]
	s_or_b64 exec, exec, s[22:23]
	s_and_saveexec_b64 s[0:1], s[20:21]
	s_cbranch_execz .LBB14_945
.LBB14_1027:
	s_or_b64 s[2:3], s[2:3], exec
	s_andn2_b64 s[26:27], s[26:27], exec
	s_trap 2
	s_or_b64 exec, exec, s[0:1]
	s_and_saveexec_b64 s[0:1], s[26:27]
	s_xor_b64 s[0:1], exec, s[0:1]
	s_cbranch_execnz .LBB14_946
.LBB14_1028:
	s_or_b64 exec, exec, s[0:1]
	s_and_saveexec_b64 s[0:1], s[24:25]
	s_xor_b64 s[0:1], exec, s[0:1]
	s_cbranch_execz .LBB14_1066
.LBB14_1029:
	v_cmp_gt_i16_e32 vcc, 5, v6
	s_mov_b64 s[16:17], -1
	s_cbranch_vccnz .LBB14_1050
; %bb.1030:
	v_cmp_gt_i16_e32 vcc, 8, v6
	s_cbranch_vccnz .LBB14_1040
; %bb.1031:
	v_cmp_gt_i16_e32 vcc, 9, v6
	s_cbranch_vccnz .LBB14_1037
; %bb.1032:
	v_cmp_lt_i16_e32 vcc, 9, v6
	s_cbranch_vccz .LBB14_1034
; %bb.1033:
	s_waitcnt vmcnt(0)
	v_mov_b32_e32 v2, 0
	v_mov_b32_e32 v3, v2
	s_mov_b64 s[16:17], 0
	global_store_dwordx4 v[4:5], v[0:3], off
.LBB14_1034:
	s_andn2_b64 vcc, exec, s[16:17]
	s_cbranch_vccnz .LBB14_1036
; %bb.1035:
	s_waitcnt vmcnt(0)
	v_cvt_f32_f64_e32 v2, v[0:1]
	v_mov_b32_e32 v3, 0
	global_store_dwordx2 v[4:5], v[2:3], off
.LBB14_1036:
	s_mov_b64 s[16:17], 0
.LBB14_1037:
	s_andn2_b64 vcc, exec, s[16:17]
	s_cbranch_vccnz .LBB14_1039
; %bb.1038:
	s_waitcnt vmcnt(0)
	v_cvt_f32_f64_e32 v2, v[0:1]
	v_cvt_f16_f32_e32 v2, v2
	global_store_dword v[4:5], v2, off
.LBB14_1039:
	s_mov_b64 s[16:17], 0
.LBB14_1040:
	s_andn2_b64 vcc, exec, s[16:17]
	s_cbranch_vccnz .LBB14_1049
; %bb.1041:
	v_cmp_gt_i16_e32 vcc, 6, v6
	s_mov_b64 s[16:17], -1
	s_cbranch_vccnz .LBB14_1047
; %bb.1042:
	v_cmp_lt_i16_e32 vcc, 6, v6
	s_cbranch_vccz .LBB14_1044
; %bb.1043:
	s_mov_b64 s[16:17], 0
	global_store_dwordx2 v[4:5], v[0:1], off
.LBB14_1044:
	s_andn2_b64 vcc, exec, s[16:17]
	s_cbranch_vccnz .LBB14_1046
; %bb.1045:
	s_waitcnt vmcnt(0)
	v_cvt_f32_f64_e32 v2, v[0:1]
	global_store_dword v[4:5], v2, off
.LBB14_1046:
	s_mov_b64 s[16:17], 0
.LBB14_1047:
	s_andn2_b64 vcc, exec, s[16:17]
	s_cbranch_vccnz .LBB14_1049
; %bb.1048:
	s_waitcnt vmcnt(0)
	v_cvt_f32_f64_e32 v2, v[0:1]
	v_cvt_f16_f32_e32 v2, v2
	global_store_short v[4:5], v2, off
.LBB14_1049:
	s_mov_b64 s[16:17], 0
.LBB14_1050:
	s_andn2_b64 vcc, exec, s[16:17]
	s_cbranch_vccnz .LBB14_1066
; %bb.1051:
	v_cmp_gt_i16_e32 vcc, 2, v6
	s_mov_b64 s[16:17], -1
	s_cbranch_vccnz .LBB14_1061
; %bb.1052:
	v_cmp_gt_i16_e32 vcc, 3, v6
	s_cbranch_vccnz .LBB14_1058
; %bb.1053:
	v_cmp_lt_i16_e32 vcc, 3, v6
	s_cbranch_vccz .LBB14_1055
; %bb.1054:
	s_waitcnt vmcnt(0)
	v_trunc_f64_e32 v[2:3], v[0:1]
	s_movk_i32 s16, 0xffe0
	v_ldexp_f64 v[8:9], v[2:3], s16
	v_floor_f64_e32 v[8:9], v[8:9]
	v_fmac_f64_e32 v[2:3], 0xc1f00000, v[8:9]
	v_cvt_i32_f64_e32 v11, v[8:9]
	v_cvt_u32_f64_e32 v10, v[2:3]
	s_mov_b64 s[16:17], 0
	global_store_dwordx2 v[4:5], v[10:11], off
.LBB14_1055:
	s_andn2_b64 vcc, exec, s[16:17]
	s_cbranch_vccnz .LBB14_1057
; %bb.1056:
	s_waitcnt vmcnt(0)
	v_cvt_i32_f64_e32 v2, v[0:1]
	global_store_dword v[4:5], v2, off
.LBB14_1057:
	s_mov_b64 s[16:17], 0
.LBB14_1058:
	s_andn2_b64 vcc, exec, s[16:17]
	s_cbranch_vccnz .LBB14_1060
; %bb.1059:
	s_waitcnt vmcnt(0)
	v_cvt_i32_f64_e32 v2, v[0:1]
	global_store_short v[4:5], v2, off
.LBB14_1060:
	s_mov_b64 s[16:17], 0
.LBB14_1061:
	s_andn2_b64 vcc, exec, s[16:17]
	s_cbranch_vccnz .LBB14_1066
; %bb.1062:
	v_cmp_lt_i16_e32 vcc, 0, v6
	s_mov_b64 s[16:17], -1
	s_cbranch_vccz .LBB14_1064
; %bb.1063:
	s_waitcnt vmcnt(0)
	v_cvt_i32_f64_e32 v2, v[0:1]
	s_mov_b64 s[16:17], 0
	global_store_byte v[4:5], v2, off
.LBB14_1064:
	s_andn2_b64 vcc, exec, s[16:17]
	s_cbranch_vccnz .LBB14_1066
; %bb.1065:
	v_trunc_f64_e32 v[0:1], v[0:1]
	s_movk_i32 s16, 0xffe0
	s_waitcnt vmcnt(0)
	v_ldexp_f64 v[2:3], v[0:1], s16
	v_floor_f64_e32 v[2:3], v[2:3]
	v_fmac_f64_e32 v[0:1], 0xc1f00000, v[2:3]
	v_cvt_u32_f64_e32 v0, v[0:1]
	global_store_byte v[4:5], v0, off
.LBB14_1066:
	s_or_b64 exec, exec, s[0:1]
	s_and_b64 s[16:17], s[2:3], exec
                                        ; implicit-def: $vgpr12
                                        ; implicit-def: $vgpr13
.LBB14_1067:
	s_or_saveexec_b64 s[6:7], s[6:7]
	s_mov_b64 s[0:1], 0
                                        ; implicit-def: $vgpr2
                                        ; implicit-def: $vgpr0_vgpr1
                                        ; implicit-def: $vgpr8_vgpr9
	s_xor_b64 exec, exec, s[6:7]
	s_cbranch_execz .LBB14_1620
; %bb.1068:
	v_mul_lo_u32 v6, s13, v12
	v_ashrrev_i32_e32 v1, 31, v6
	s_waitcnt vmcnt(0)
	v_mov_b32_e32 v2, s11
	v_add_co_u32_e32 v0, vcc, s10, v6
	v_addc_co_u32_e32 v1, vcc, v2, v1, vcc
	v_cmp_gt_i16_e64 s[0:1], 11, v13
	s_and_b64 vcc, exec, s[0:1]
	s_cbranch_vccnz .LBB14_1075
; %bb.1069:
	v_cmp_lt_i16_e32 vcc, 25, v13
	s_mov_b64 s[4:5], 0
	s_cbranch_vccz .LBB14_1077
; %bb.1070:
	v_cmp_lt_i16_e32 vcc, 28, v13
	s_cbranch_vccz .LBB14_1078
; %bb.1071:
	v_cmp_lt_i16_e32 vcc, 43, v13
	;; [unrolled: 3-line block ×3, first 2 shown]
	s_cbranch_vccz .LBB14_1080
; %bb.1073:
	v_cmp_eq_u16_e32 vcc, 46, v13
	s_mov_b64 s[18:19], 0
	s_cbranch_vccz .LBB14_1083
; %bb.1074:
	global_load_dword v2, v[0:1], off
	s_mov_b64 s[2:3], 0
	s_mov_b64 s[20:21], -1
	s_waitcnt vmcnt(0)
	v_lshlrev_b32_e32 v2, 16, v2
	v_cvt_f64_f32_e32 v[2:3], v2
	s_branch .LBB14_1084
.LBB14_1075:
	s_mov_b64 s[20:21], 0
                                        ; implicit-def: $vgpr2_vgpr3
	s_mov_b64 s[18:19], s[16:17]
	s_cbranch_execnz .LBB14_1147
.LBB14_1076:
	s_andn2_b64 vcc, exec, s[20:21]
                                        ; implicit-def: $vgpr10_vgpr11
	s_cbranch_vccz .LBB14_1192
	s_branch .LBB14_1617
.LBB14_1077:
	s_mov_b64 s[20:21], 0
	s_mov_b64 s[2:3], 0
                                        ; implicit-def: $vgpr2_vgpr3
	s_cbranch_execnz .LBB14_1112
	s_branch .LBB14_1143
.LBB14_1078:
	s_mov_b64 s[18:19], -1
	s_mov_b64 s[20:21], 0
	s_mov_b64 s[2:3], 0
                                        ; implicit-def: $vgpr2_vgpr3
	s_branch .LBB14_1093
.LBB14_1079:
	s_mov_b64 s[20:21], 0
	s_mov_b64 s[2:3], 0
                                        ; implicit-def: $vgpr2_vgpr3
	s_cbranch_execnz .LBB14_1089
	s_branch .LBB14_1092
.LBB14_1080:
	s_mov_b64 s[18:19], -1
	s_mov_b64 s[20:21], 0
	s_mov_b64 s[2:3], 0
                                        ; implicit-def: $vgpr2_vgpr3
	s_branch .LBB14_1084
.LBB14_1081:
	s_or_saveexec_b64 s[24:25], s[24:25]
                                        ; implicit-def: $sgpr26
	s_xor_b64 exec, exec, s[24:25]
	s_cbranch_execz .LBB14_979
.LBB14_1082:
	s_mov_b32 s26, 0x46000000
	v_add_f32_e64 v3, |v2|, s26
	v_and_b32_e32 v3, 0xff, v3
	v_cmp_ne_u32_e32 vcc, 0, v3
	s_andn2_b64 s[18:19], s[18:19], exec
	s_and_b64 s[28:29], vcc, exec
	s_mov_b32 s26, 0
	s_or_b64 s[18:19], s[18:19], s[28:29]
	s_or_b64 exec, exec, s[24:25]
	v_mov_b32_e32 v7, s26
	s_and_saveexec_b64 s[24:25], s[18:19]
	s_cbranch_execnz .LBB14_980
	s_branch .LBB14_981
.LBB14_1083:
	s_mov_b64 s[2:3], -1
                                        ; implicit-def: $vgpr2_vgpr3
	s_mov_b64 s[20:21], 0
.LBB14_1084:
	s_and_b64 vcc, exec, s[18:19]
	s_cbranch_vccz .LBB14_1087
; %bb.1085:
	v_cmp_eq_u16_e32 vcc, 44, v13
	s_cbranch_vccz .LBB14_1088
; %bb.1086:
	global_load_ubyte v4, v[0:1], off
	s_movk_i32 s18, 0xff
	v_bfrev_b32_e32 v5, 4
	v_mov_b32_e32 v7, 0x7ff80000
	v_bfrev_b32_e32 v8, 28
	s_mov_b64 s[2:3], 0
	s_mov_b64 s[20:21], -1
	s_waitcnt vmcnt(0)
	v_lshlrev_b32_e32 v2, 23, v4
	v_cvt_f64_f32_e32 v[2:3], v2
	v_cmp_ne_u32_e32 vcc, s18, v4
	v_cndmask_b32_e32 v2, v5, v2, vcc
	v_cndmask_b32_e32 v3, v7, v3, vcc
	v_cmp_ne_u32_e32 vcc, 0, v4
	v_cndmask_b32_e32 v3, v8, v3, vcc
	v_cndmask_b32_e32 v2, 0, v2, vcc
.LBB14_1087:
	s_branch .LBB14_1092
.LBB14_1088:
	s_mov_b64 s[2:3], -1
                                        ; implicit-def: $vgpr2_vgpr3
	s_branch .LBB14_1092
.LBB14_1089:
	v_cmp_eq_u16_e32 vcc, 29, v13
	s_cbranch_vccz .LBB14_1091
; %bb.1090:
	global_load_dwordx2 v[2:3], v[0:1], off
	s_mov_b64 s[2:3], 0
	s_mov_b64 s[20:21], -1
	s_mov_b64 s[18:19], 0
	s_waitcnt vmcnt(0)
	v_cvt_f64_u32_e32 v[4:5], v3
	v_cvt_f64_u32_e32 v[2:3], v2
	v_ldexp_f64 v[4:5], v[4:5], 32
	v_add_f64 v[2:3], v[4:5], v[2:3]
	s_branch .LBB14_1093
.LBB14_1091:
	s_mov_b64 s[2:3], -1
                                        ; implicit-def: $vgpr2_vgpr3
.LBB14_1092:
	s_mov_b64 s[18:19], 0
.LBB14_1093:
	s_and_b64 vcc, exec, s[18:19]
	s_cbranch_vccz .LBB14_1111
; %bb.1094:
	v_cmp_gt_i16_e32 vcc, 27, v13
	s_cbranch_vccnz .LBB14_1097
; %bb.1095:
	v_cmp_lt_i16_e32 vcc, 27, v13
	s_cbranch_vccz .LBB14_1098
; %bb.1096:
	global_load_dword v2, v[0:1], off
	s_mov_b64 s[18:19], 0
	s_waitcnt vmcnt(0)
	v_cvt_f64_u32_e32 v[2:3], v2
	s_branch .LBB14_1099
.LBB14_1097:
	s_mov_b64 s[18:19], -1
                                        ; implicit-def: $vgpr2_vgpr3
	s_branch .LBB14_1102
.LBB14_1098:
	s_mov_b64 s[18:19], -1
                                        ; implicit-def: $vgpr2_vgpr3
.LBB14_1099:
	s_andn2_b64 vcc, exec, s[18:19]
	s_cbranch_vccnz .LBB14_1101
; %bb.1100:
	global_load_ushort v2, v[0:1], off
	s_waitcnt vmcnt(0)
	v_cvt_f64_u32_e32 v[2:3], v2
.LBB14_1101:
	s_mov_b64 s[18:19], 0
.LBB14_1102:
	s_andn2_b64 vcc, exec, s[18:19]
	s_cbranch_vccnz .LBB14_1110
; %bb.1103:
	global_load_ubyte v4, v[0:1], off
	s_movk_i32 s18, 0x7f
                                        ; implicit-def: $sgpr20_sgpr21
	s_waitcnt vmcnt(0)
	v_cmp_lt_i16_e32 vcc, s18, v4
	s_mov_b64 s[18:19], 0
	s_and_saveexec_b64 s[22:23], vcc
	s_xor_b64 s[22:23], exec, s[22:23]
	s_cbranch_execz .LBB14_1123
; %bb.1104:
	s_movk_i32 s18, 0x80
	v_cmp_eq_u16_e32 vcc, s18, v4
	s_mov_b64 s[24:25], -1
                                        ; implicit-def: $sgpr20_sgpr21
	s_and_saveexec_b64 s[18:19], vcc
; %bb.1105:
	s_mov_b32 s21, 0x7ff80000
	s_brev_b32 s20, 4
	s_xor_b64 s[24:25], exec, -1
; %bb.1106:
	s_or_b64 exec, exec, s[18:19]
	s_and_b64 s[18:19], s[24:25], exec
	s_or_saveexec_b64 s[22:23], s[22:23]
	v_pk_mov_b32 v[2:3], s[20:21], s[20:21] op_sel:[0,1]
	s_xor_b64 exec, exec, s[22:23]
	s_cbranch_execnz .LBB14_1124
.LBB14_1107:
	s_or_b64 exec, exec, s[22:23]
	s_and_saveexec_b64 s[20:21], s[18:19]
	s_cbranch_execz .LBB14_1109
.LBB14_1108:
	v_and_b32_e32 v3, 0xffff, v4
	v_lshlrev_b32_e32 v2, 24, v4
	v_and_b32_e32 v4, 7, v3
	v_ffbh_u32_e32 v7, v4
	v_min_u32_e32 v7, 32, v7
	v_subrev_u32_e32 v8, 28, v7
	v_bfe_u32 v5, v3, 3, 4
	v_lshlrev_b32_e32 v3, v8, v3
	v_sub_u32_e32 v7, 29, v7
	v_and_b32_e32 v3, 7, v3
	v_cmp_eq_u32_e32 vcc, 0, v5
	v_cndmask_b32_e32 v5, v5, v7, vcc
	v_cndmask_b32_e32 v3, v4, v3, vcc
	v_mov_b32_e32 v4, 0x3b800000
	v_lshlrev_b32_e32 v3, 20, v3
	v_and_b32_e32 v2, 0x80000000, v2
	v_lshl_add_u32 v4, v5, 23, v4
	v_or3_b32 v2, v2, v4, v3
	v_cvt_f64_f32_e32 v[2:3], v2
.LBB14_1109:
	s_or_b64 exec, exec, s[20:21]
.LBB14_1110:
	s_mov_b64 s[20:21], -1
.LBB14_1111:
	s_branch .LBB14_1143
.LBB14_1112:
	v_cmp_lt_i16_e32 vcc, 22, v13
	s_cbranch_vccz .LBB14_1122
; %bb.1113:
	v_cmp_gt_i16_e32 vcc, 24, v13
	s_cbranch_vccnz .LBB14_1125
; %bb.1114:
	v_cmp_lt_i16_e32 vcc, 24, v13
	s_cbranch_vccz .LBB14_1126
; %bb.1115:
	global_load_ubyte v4, v[0:1], off
	s_movk_i32 s4, 0x7f
                                        ; implicit-def: $sgpr18_sgpr19
	s_waitcnt vmcnt(0)
	v_cmp_lt_i16_e32 vcc, s4, v4
	s_mov_b64 s[4:5], 0
	s_and_saveexec_b64 s[20:21], vcc
	s_xor_b64 s[20:21], exec, s[20:21]
	s_cbranch_execz .LBB14_1137
; %bb.1116:
	s_movk_i32 s4, 0x80
	v_cmp_eq_u16_e32 vcc, s4, v4
	s_mov_b64 s[22:23], -1
                                        ; implicit-def: $sgpr18_sgpr19
	s_and_saveexec_b64 s[4:5], vcc
; %bb.1117:
	s_mov_b32 s19, 0x7ff80000
	s_brev_b32 s18, 4
	s_xor_b64 s[22:23], exec, -1
; %bb.1118:
	s_or_b64 exec, exec, s[4:5]
	s_and_b64 s[4:5], s[22:23], exec
	s_or_saveexec_b64 s[20:21], s[20:21]
	v_pk_mov_b32 v[2:3], s[18:19], s[18:19] op_sel:[0,1]
	s_xor_b64 exec, exec, s[20:21]
	s_cbranch_execnz .LBB14_1138
.LBB14_1119:
	s_or_b64 exec, exec, s[20:21]
	s_and_saveexec_b64 s[18:19], s[4:5]
	s_cbranch_execz .LBB14_1121
.LBB14_1120:
	v_and_b32_e32 v3, 0xffff, v4
	v_lshlrev_b32_e32 v2, 24, v4
	v_and_b32_e32 v4, 3, v3
	v_ffbh_u32_e32 v7, v4
	v_min_u32_e32 v7, 32, v7
	v_subrev_u32_e32 v8, 29, v7
	v_bfe_u32 v5, v3, 2, 5
	v_lshlrev_b32_e32 v3, v8, v3
	v_sub_u32_e32 v7, 30, v7
	v_and_b32_e32 v3, 3, v3
	v_cmp_eq_u32_e32 vcc, 0, v5
	v_cndmask_b32_e32 v5, v5, v7, vcc
	v_cndmask_b32_e32 v3, v4, v3, vcc
	v_mov_b32_e32 v4, 0x37800000
	v_lshlrev_b32_e32 v3, 21, v3
	v_and_b32_e32 v2, 0x80000000, v2
	v_lshl_add_u32 v4, v5, 23, v4
	v_or3_b32 v2, v2, v4, v3
	v_cvt_f64_f32_e32 v[2:3], v2
.LBB14_1121:
	s_or_b64 exec, exec, s[18:19]
	s_mov_b64 s[4:5], 0
	s_branch .LBB14_1127
.LBB14_1122:
                                        ; implicit-def: $vgpr2_vgpr3
	s_mov_b64 s[4:5], 0
	s_branch .LBB14_1133
.LBB14_1123:
	s_or_saveexec_b64 s[22:23], s[22:23]
	v_pk_mov_b32 v[2:3], s[20:21], s[20:21] op_sel:[0,1]
	s_xor_b64 exec, exec, s[22:23]
	s_cbranch_execz .LBB14_1107
.LBB14_1124:
	v_cmp_ne_u16_e32 vcc, 0, v4
	s_andn2_b64 s[18:19], s[18:19], exec
	s_and_b64 s[20:21], vcc, exec
	v_pk_mov_b32 v[2:3], 0, 0
	s_or_b64 s[18:19], s[18:19], s[20:21]
	s_or_b64 exec, exec, s[22:23]
	s_and_saveexec_b64 s[20:21], s[18:19]
	s_cbranch_execnz .LBB14_1108
	s_branch .LBB14_1109
.LBB14_1125:
	s_mov_b64 s[4:5], -1
                                        ; implicit-def: $vgpr2_vgpr3
	s_branch .LBB14_1130
.LBB14_1126:
	s_mov_b64 s[4:5], -1
                                        ; implicit-def: $vgpr2_vgpr3
.LBB14_1127:
	s_and_b64 vcc, exec, s[4:5]
	s_cbranch_vccz .LBB14_1129
; %bb.1128:
	global_load_ubyte v2, v[0:1], off
	s_mov_b32 s4, 0x7f800000
	s_waitcnt vmcnt(0)
	v_lshlrev_b32_e32 v2, 24, v2
	v_and_b32_e32 v3, 0x7f000000, v2
	v_ffbh_u32_e32 v4, v3
	v_min_u32_e32 v4, 32, v4
	v_sub_u32_e64 v4, v4, 4 clamp
	v_lshlrev_b32_e32 v7, v4, v3
	v_lshlrev_b32_e32 v4, 23, v4
	v_lshrrev_b32_e32 v7, 4, v7
	v_add_u32_e32 v5, 0x1000000, v3
	v_sub_u32_e32 v4, v7, v4
	v_ashrrev_i32_e32 v5, 8, v5
	v_add_u32_e32 v4, 0x3c000000, v4
	v_and_or_b32 v4, v5, s4, v4
	v_cmp_ne_u32_e32 vcc, 0, v3
	v_cndmask_b32_e32 v3, 0, v4, vcc
	s_brev_b32 s4, 1
	v_and_or_b32 v2, v2, s4, v3
	v_cvt_f64_f32_e32 v[2:3], v2
.LBB14_1129:
	s_mov_b64 s[4:5], 0
.LBB14_1130:
	s_andn2_b64 vcc, exec, s[4:5]
	s_cbranch_vccnz .LBB14_1132
; %bb.1131:
	global_load_ubyte v2, v[0:1], off
	s_movk_i32 s4, 0x7f00
	s_brev_b32 s5, 16
	s_waitcnt vmcnt(0)
	v_lshlrev_b16_e32 v3, 8, v2
	v_lshlrev_b32_e32 v2, 25, v2
	v_lshrrev_b32_e32 v4, 4, v2
	v_and_or_b32 v5, v3, s4, 0.5
	v_or_b32_e32 v4, 0x70000000, v4
	v_add_f32_e32 v5, -0.5, v5
	v_mul_f32_e32 v4, 0x7800000, v4
	v_cmp_gt_u32_e32 vcc, s5, v2
	v_bfe_i32 v3, v3, 0, 16
	v_cndmask_b32_e32 v2, v4, v5, vcc
	s_brev_b32 s4, 1
	v_and_or_b32 v2, v3, s4, v2
	v_cvt_f64_f32_e32 v[2:3], v2
.LBB14_1132:
	s_mov_b64 s[20:21], -1
	s_mov_b64 s[4:5], 0
	s_cbranch_execnz .LBB14_1143
.LBB14_1133:
	v_cmp_lt_i16_e32 vcc, 14, v13
	s_cbranch_vccz .LBB14_1136
; %bb.1134:
	v_cmp_eq_u16_e32 vcc, 15, v13
	s_cbranch_vccz .LBB14_1139
; %bb.1135:
	global_load_ushort v2, v[0:1], off
	s_mov_b64 s[2:3], 0
	s_mov_b64 s[20:21], -1
	s_waitcnt vmcnt(0)
	v_lshlrev_b32_e32 v2, 16, v2
	v_cvt_f64_f32_e32 v[2:3], v2
	s_branch .LBB14_1140
.LBB14_1136:
	s_mov_b64 s[18:19], -1
                                        ; implicit-def: $vgpr2_vgpr3
	s_branch .LBB14_1141
.LBB14_1137:
	s_or_saveexec_b64 s[20:21], s[20:21]
	v_pk_mov_b32 v[2:3], s[18:19], s[18:19] op_sel:[0,1]
	s_xor_b64 exec, exec, s[20:21]
	s_cbranch_execz .LBB14_1119
.LBB14_1138:
	v_cmp_ne_u16_e32 vcc, 0, v4
	s_andn2_b64 s[4:5], s[4:5], exec
	s_and_b64 s[18:19], vcc, exec
	v_pk_mov_b32 v[2:3], 0, 0
	s_or_b64 s[4:5], s[4:5], s[18:19]
	s_or_b64 exec, exec, s[20:21]
	s_and_saveexec_b64 s[18:19], s[4:5]
	s_cbranch_execnz .LBB14_1120
	s_branch .LBB14_1121
.LBB14_1139:
	s_mov_b64 s[2:3], -1
                                        ; implicit-def: $vgpr2_vgpr3
.LBB14_1140:
	s_mov_b64 s[18:19], 0
.LBB14_1141:
	s_and_b64 vcc, exec, s[18:19]
	s_cbranch_vccz .LBB14_1143
; %bb.1142:
	v_cmp_ne_u16_e64 s[2:3], 11, v13
	s_mov_b64 s[4:5], -1
                                        ; implicit-def: $vgpr2_vgpr3
.LBB14_1143:
	s_and_b64 vcc, exec, s[2:3]
	s_mov_b64 s[18:19], s[16:17]
	s_cbranch_vccnz .LBB14_1214
; %bb.1144:
	s_andn2_b64 vcc, exec, s[4:5]
	s_cbranch_vccnz .LBB14_1146
.LBB14_1145:
	global_load_ubyte v3, v[0:1], off
	v_mov_b32_e32 v4, 0x3ff00000
	v_mov_b32_e32 v2, 0
	s_mov_b64 s[20:21], -1
	s_waitcnt vmcnt(0)
	v_cmp_ne_u16_e32 vcc, 0, v3
	v_cndmask_b32_e32 v3, 0, v4, vcc
.LBB14_1146:
	s_branch .LBB14_1076
.LBB14_1147:
	v_cmp_gt_i16_e32 vcc, 5, v13
	s_cbranch_vccnz .LBB14_1152
; %bb.1148:
	v_cmp_gt_i16_e32 vcc, 8, v13
	s_cbranch_vccnz .LBB14_1153
; %bb.1149:
	;; [unrolled: 3-line block ×3, first 2 shown]
	v_cmp_lt_i16_e32 vcc, 9, v13
	s_cbranch_vccz .LBB14_1155
; %bb.1151:
	global_load_dwordx2 v[2:3], v[0:1], off
	s_mov_b64 s[2:3], 0
	s_branch .LBB14_1156
.LBB14_1152:
                                        ; implicit-def: $vgpr2_vgpr3
	s_branch .LBB14_1173
.LBB14_1153:
                                        ; implicit-def: $vgpr2_vgpr3
	s_branch .LBB14_1162
.LBB14_1154:
	s_mov_b64 s[2:3], -1
                                        ; implicit-def: $vgpr2_vgpr3
	s_branch .LBB14_1159
.LBB14_1155:
	s_mov_b64 s[2:3], -1
                                        ; implicit-def: $vgpr2_vgpr3
.LBB14_1156:
	s_andn2_b64 vcc, exec, s[2:3]
	s_cbranch_vccnz .LBB14_1158
; %bb.1157:
	global_load_dword v2, v[0:1], off
	s_waitcnt vmcnt(0)
	v_cvt_f64_f32_e32 v[2:3], v2
.LBB14_1158:
	s_mov_b64 s[2:3], 0
.LBB14_1159:
	s_andn2_b64 vcc, exec, s[2:3]
	s_cbranch_vccnz .LBB14_1161
; %bb.1160:
	global_load_dword v2, v[0:1], off
	s_waitcnt vmcnt(0)
	v_cvt_f32_f16_e32 v2, v2
	v_cvt_f64_f32_e32 v[2:3], v2
.LBB14_1161:
	s_cbranch_execnz .LBB14_1172
.LBB14_1162:
	v_cmp_gt_i16_e32 vcc, 6, v13
	s_cbranch_vccnz .LBB14_1165
; %bb.1163:
	v_cmp_lt_i16_e32 vcc, 6, v13
	s_cbranch_vccz .LBB14_1166
; %bb.1164:
	global_load_dwordx2 v[2:3], v[0:1], off
	s_mov_b64 s[2:3], 0
	s_branch .LBB14_1167
.LBB14_1165:
	s_mov_b64 s[2:3], -1
                                        ; implicit-def: $vgpr2_vgpr3
	s_branch .LBB14_1170
.LBB14_1166:
	s_mov_b64 s[2:3], -1
                                        ; implicit-def: $vgpr2_vgpr3
.LBB14_1167:
	s_andn2_b64 vcc, exec, s[2:3]
	s_cbranch_vccnz .LBB14_1169
; %bb.1168:
	global_load_dword v2, v[0:1], off
	s_waitcnt vmcnt(0)
	v_cvt_f64_f32_e32 v[2:3], v2
.LBB14_1169:
	s_mov_b64 s[2:3], 0
.LBB14_1170:
	s_andn2_b64 vcc, exec, s[2:3]
	s_cbranch_vccnz .LBB14_1172
; %bb.1171:
	global_load_ushort v2, v[0:1], off
	s_waitcnt vmcnt(0)
	v_cvt_f32_f16_e32 v2, v2
	v_cvt_f64_f32_e32 v[2:3], v2
.LBB14_1172:
	s_cbranch_execnz .LBB14_1191
.LBB14_1173:
	v_cmp_gt_i16_e32 vcc, 2, v13
	s_cbranch_vccnz .LBB14_1177
; %bb.1174:
	v_cmp_gt_i16_e32 vcc, 3, v13
	s_cbranch_vccnz .LBB14_1178
; %bb.1175:
	v_cmp_lt_i16_e32 vcc, 3, v13
	s_cbranch_vccz .LBB14_1179
; %bb.1176:
	global_load_dwordx2 v[2:3], v[0:1], off
	s_mov_b64 s[2:3], 0
	s_waitcnt vmcnt(0)
	v_cvt_f64_i32_e32 v[4:5], v3
	v_cvt_f64_u32_e32 v[2:3], v2
	v_ldexp_f64 v[4:5], v[4:5], 32
	v_add_f64 v[2:3], v[4:5], v[2:3]
	s_branch .LBB14_1180
.LBB14_1177:
                                        ; implicit-def: $vgpr2_vgpr3
	s_branch .LBB14_1186
.LBB14_1178:
	s_mov_b64 s[2:3], -1
                                        ; implicit-def: $vgpr2_vgpr3
	s_branch .LBB14_1183
.LBB14_1179:
	s_mov_b64 s[2:3], -1
                                        ; implicit-def: $vgpr2_vgpr3
.LBB14_1180:
	s_andn2_b64 vcc, exec, s[2:3]
	s_cbranch_vccnz .LBB14_1182
; %bb.1181:
	global_load_dword v2, v[0:1], off
	s_waitcnt vmcnt(0)
	v_cvt_f64_i32_e32 v[2:3], v2
.LBB14_1182:
	s_mov_b64 s[2:3], 0
.LBB14_1183:
	s_andn2_b64 vcc, exec, s[2:3]
	s_cbranch_vccnz .LBB14_1185
; %bb.1184:
	global_load_sshort v2, v[0:1], off
	s_waitcnt vmcnt(0)
	v_cvt_f64_i32_e32 v[2:3], v2
.LBB14_1185:
	s_cbranch_execnz .LBB14_1191
.LBB14_1186:
	v_cmp_lt_i16_e32 vcc, 0, v13
	s_cbranch_vccz .LBB14_1188
; %bb.1187:
	global_load_sbyte v2, v[0:1], off
	s_mov_b64 s[2:3], 0
	s_waitcnt vmcnt(0)
	v_cvt_f64_i32_e32 v[2:3], v2
	s_branch .LBB14_1189
.LBB14_1188:
	s_mov_b64 s[2:3], -1
                                        ; implicit-def: $vgpr2_vgpr3
.LBB14_1189:
	s_andn2_b64 vcc, exec, s[2:3]
	s_cbranch_vccnz .LBB14_1191
; %bb.1190:
	global_load_ubyte v0, v[0:1], off
	s_waitcnt vmcnt(0)
	v_cvt_f64_u32_e32 v[2:3], v0
.LBB14_1191:
                                        ; implicit-def: $vgpr10_vgpr11
.LBB14_1192:
	v_trunc_f64_e32 v[0:1], s[14:15]
	s_movk_i32 s2, 0xffe0
	v_ldexp_f64 v[4:5], v[0:1], s2
	v_floor_f64_e32 v[4:5], v[4:5]
	v_fmac_f64_e32 v[0:1], 0xc1f00000, v[4:5]
	v_cvt_i32_f64_e32 v7, v[4:5]
	v_cvt_u32_f64_e32 v0, v[0:1]
	v_readfirstlane_b32 s4, v0
	v_readfirstlane_b32 s5, v7
	v_cmp_lt_i64_e64 s[2:3], s[4:5], 0
	v_cmp_gt_i64_e64 s[14:15], s[4:5], -1
	s_and_b64 vcc, exec, s[2:3]
	v_pk_mov_b32 v[0:1], 0, 0
	s_cbranch_vccnz .LBB14_1202
; %bb.1193:
	v_cmp_lt_i64_e64 s[2:3], s[4:5], 1
	v_mov_b32_e32 v0, 0
	s_and_b64 vcc, exec, s[2:3]
	v_mov_b32_e32 v1, 0x3ff00000
	s_cbranch_vccnz .LBB14_1202
; %bb.1194:
	s_cmp_lg_u64 s[4:5], 1
	s_cbranch_scc0 .LBB14_1199
; %bb.1195:
	v_mov_b32_e32 v0, 0x200
	v_mov_b32_e32 v1, 0
	v_cmp_gt_u64_e32 vcc, s[4:5], v[0:1]
	v_mov_b32_e32 v0, 0
	v_mov_b32_e32 v1, 0x7ff80000
	s_cbranch_vccnz .LBB14_1198
; %bb.1196:
	v_mov_b32_e32 v4, 0
	s_mov_b64 s[2:3], 1
	v_mov_b32_e32 v5, 0x3ff00000
	s_waitcnt vmcnt(0)
	v_pk_mov_b32 v[0:1], v[2:3], v[2:3] op_sel:[0,1]
.LBB14_1197:                            ; =>This Inner Loop Header: Depth=1
	v_cvt_f64_u32_e32 v[8:9], s3
	v_cvt_f64_u32_e32 v[10:11], s2
	v_ldexp_f64 v[8:9], v[8:9], 32
	s_add_u32 s2, s2, 1
	v_add_f64 v[8:9], v[8:9], v[10:11]
	s_addc_u32 s3, s3, 0
	v_mul_f64 v[8:9], v[4:5], v[8:9]
	s_cmp_lg_u64 s[4:5], s[2:3]
	v_pk_mov_b32 v[4:5], v[0:1], v[0:1] op_sel:[0,1]
	v_fma_f64 v[0:1], v[2:3], v[0:1], -v[8:9]
	s_cbranch_scc1 .LBB14_1197
.LBB14_1198:
	s_mov_b64 s[2:3], 0
	s_branch .LBB14_1200
.LBB14_1199:
	s_mov_b64 s[2:3], -1
                                        ; implicit-def: $vgpr0_vgpr1
.LBB14_1200:
	s_andn2_b64 vcc, exec, s[2:3]
	s_cbranch_vccnz .LBB14_1202
; %bb.1201:
	s_waitcnt vmcnt(0)
	v_pk_mov_b32 v[0:1], v[2:3], v[2:3] op_sel:[0,1]
.LBB14_1202:
	s_lshl_b32 s13, s13, 7
	v_add_u32_e32 v8, s13, v6
	s_waitcnt vmcnt(0)
	v_ashrrev_i32_e32 v3, 31, v8
	v_mov_b32_e32 v4, s11
	v_add_co_u32_e32 v2, vcc, s10, v8
	v_addc_co_u32_e32 v3, vcc, v4, v3, vcc
	s_and_b64 vcc, exec, s[0:1]
	s_cbranch_vccnz .LBB14_1209
; %bb.1203:
	v_cmp_lt_i16_e32 vcc, 25, v13
	s_mov_b64 s[20:21], 0
	s_cbranch_vccz .LBB14_1211
; %bb.1204:
	v_cmp_lt_i16_e32 vcc, 28, v13
	s_cbranch_vccz .LBB14_1212
; %bb.1205:
	v_cmp_lt_i16_e32 vcc, 43, v13
	s_cbranch_vccz .LBB14_1213
; %bb.1206:
	v_cmp_lt_i16_e32 vcc, 45, v13
	s_cbranch_vccz .LBB14_1215
; %bb.1207:
	v_cmp_eq_u16_e32 vcc, 46, v13
	s_mov_b64 s[24:25], 0
	s_cbranch_vccz .LBB14_1218
; %bb.1208:
	global_load_dword v4, v[2:3], off
	s_mov_b64 s[2:3], 0
	s_mov_b64 s[22:23], -1
	s_waitcnt vmcnt(0)
	v_lshlrev_b32_e32 v4, 16, v4
	v_cvt_f64_f32_e32 v[6:7], v4
	s_branch .LBB14_1219
.LBB14_1209:
	s_mov_b64 s[22:23], 0
                                        ; implicit-def: $vgpr6_vgpr7
	s_cbranch_execnz .LBB14_1284
.LBB14_1210:
	s_andn2_b64 vcc, exec, s[22:23]
	s_cbranch_vccnz .LBB14_1617
	s_branch .LBB14_1331
.LBB14_1211:
	s_mov_b64 s[22:23], 0
	s_mov_b64 s[2:3], 0
                                        ; implicit-def: $vgpr6_vgpr7
	s_cbranch_execnz .LBB14_1248
	s_branch .LBB14_1280
.LBB14_1212:
	s_mov_b64 s[24:25], -1
	s_mov_b64 s[22:23], 0
	s_mov_b64 s[2:3], 0
                                        ; implicit-def: $vgpr6_vgpr7
	s_branch .LBB14_1229
.LBB14_1213:
	s_mov_b64 s[24:25], -1
	s_mov_b64 s[22:23], 0
	s_mov_b64 s[2:3], 0
                                        ; implicit-def: $vgpr6_vgpr7
	s_branch .LBB14_1224
.LBB14_1214:
	s_or_b64 s[18:19], s[16:17], exec
	s_trap 2
                                        ; implicit-def: $vgpr2_vgpr3
	s_cbranch_execz .LBB14_1145
	s_branch .LBB14_1146
.LBB14_1215:
	s_mov_b64 s[24:25], -1
	s_mov_b64 s[22:23], 0
	s_mov_b64 s[2:3], 0
                                        ; implicit-def: $vgpr6_vgpr7
	s_branch .LBB14_1219
.LBB14_1216:
	s_or_saveexec_b64 s[26:27], s[26:27]
                                        ; implicit-def: $sgpr28
	s_xor_b64 exec, exec, s[26:27]
	s_cbranch_execz .LBB14_991
.LBB14_1217:
	s_mov_b32 s28, 0x42800000
	v_add_f32_e64 v3, |v2|, s28
	v_and_b32_e32 v3, 0xff, v3
	v_cmp_ne_u32_e32 vcc, 0, v3
	s_andn2_b64 s[24:25], s[24:25], exec
	s_and_b64 s[30:31], vcc, exec
	s_mov_b32 s28, 0
	s_or_b64 s[24:25], s[24:25], s[30:31]
	s_or_b64 exec, exec, s[26:27]
	v_mov_b32_e32 v7, s28
	s_and_saveexec_b64 s[26:27], s[24:25]
	s_cbranch_execnz .LBB14_992
	s_branch .LBB14_993
.LBB14_1218:
	s_mov_b64 s[2:3], -1
                                        ; implicit-def: $vgpr6_vgpr7
	s_mov_b64 s[22:23], 0
.LBB14_1219:
	s_and_b64 vcc, exec, s[24:25]
	s_cbranch_vccz .LBB14_1223
; %bb.1220:
	v_cmp_eq_u16_e32 vcc, 44, v13
	s_cbranch_vccz .LBB14_1222
; %bb.1221:
	global_load_ubyte v6, v[2:3], off
	s_movk_i32 s22, 0xff
	v_bfrev_b32_e32 v7, 4
	v_mov_b32_e32 v9, 0x7ff80000
	v_bfrev_b32_e32 v10, 28
	s_mov_b64 s[2:3], 0
	s_waitcnt vmcnt(0)
	v_lshlrev_b32_e32 v4, 23, v6
	v_cvt_f64_f32_e32 v[4:5], v4
	v_cmp_ne_u32_e32 vcc, s22, v6
	v_cndmask_b32_e32 v4, v7, v4, vcc
	v_cndmask_b32_e32 v5, v9, v5, vcc
	v_cmp_ne_u32_e32 vcc, 0, v6
	v_cndmask_b32_e32 v7, v10, v5, vcc
	v_cndmask_b32_e32 v6, 0, v4, vcc
	s_mov_b64 s[22:23], -1
	s_branch .LBB14_1223
.LBB14_1222:
	s_mov_b64 s[2:3], -1
                                        ; implicit-def: $vgpr6_vgpr7
.LBB14_1223:
	s_mov_b64 s[24:25], 0
.LBB14_1224:
	s_and_b64 vcc, exec, s[24:25]
	s_cbranch_vccz .LBB14_1228
; %bb.1225:
	v_cmp_eq_u16_e32 vcc, 29, v13
	s_cbranch_vccz .LBB14_1227
; %bb.1226:
	global_load_dwordx2 v[4:5], v[2:3], off
	s_mov_b64 s[2:3], 0
	s_mov_b64 s[22:23], -1
	s_mov_b64 s[24:25], 0
	s_waitcnt vmcnt(0)
	v_cvt_f64_u32_e32 v[6:7], v5
	v_cvt_f64_u32_e32 v[4:5], v4
	v_ldexp_f64 v[6:7], v[6:7], 32
	v_add_f64 v[6:7], v[6:7], v[4:5]
	s_branch .LBB14_1229
.LBB14_1227:
	s_mov_b64 s[2:3], -1
                                        ; implicit-def: $vgpr6_vgpr7
.LBB14_1228:
	s_mov_b64 s[24:25], 0
.LBB14_1229:
	s_and_b64 vcc, exec, s[24:25]
	s_cbranch_vccz .LBB14_1247
; %bb.1230:
	v_cmp_gt_i16_e32 vcc, 27, v13
	s_cbranch_vccnz .LBB14_1233
; %bb.1231:
	v_cmp_lt_i16_e32 vcc, 27, v13
	s_cbranch_vccz .LBB14_1234
; %bb.1232:
	global_load_dword v4, v[2:3], off
	s_mov_b64 s[22:23], 0
	s_waitcnt vmcnt(0)
	v_cvt_f64_u32_e32 v[6:7], v4
	s_branch .LBB14_1235
.LBB14_1233:
	s_mov_b64 s[22:23], -1
                                        ; implicit-def: $vgpr6_vgpr7
	s_branch .LBB14_1238
.LBB14_1234:
	s_mov_b64 s[22:23], -1
                                        ; implicit-def: $vgpr6_vgpr7
.LBB14_1235:
	s_andn2_b64 vcc, exec, s[22:23]
	s_cbranch_vccnz .LBB14_1237
; %bb.1236:
	global_load_ushort v4, v[2:3], off
	s_waitcnt vmcnt(0)
	v_cvt_f64_u32_e32 v[6:7], v4
.LBB14_1237:
	s_mov_b64 s[22:23], 0
.LBB14_1238:
	s_andn2_b64 vcc, exec, s[22:23]
	s_cbranch_vccnz .LBB14_1246
; %bb.1239:
	global_load_ubyte v4, v[2:3], off
	s_movk_i32 s22, 0x7f
                                        ; implicit-def: $sgpr24_sgpr25
	s_waitcnt vmcnt(0)
	v_cmp_lt_i16_e32 vcc, s22, v4
	s_mov_b64 s[22:23], 0
	s_and_saveexec_b64 s[26:27], vcc
	s_xor_b64 s[26:27], exec, s[26:27]
	s_cbranch_execz .LBB14_1259
; %bb.1240:
	s_movk_i32 s22, 0x80
	v_cmp_eq_u16_e32 vcc, s22, v4
	s_mov_b64 s[28:29], -1
                                        ; implicit-def: $sgpr24_sgpr25
	s_and_saveexec_b64 s[22:23], vcc
; %bb.1241:
	s_mov_b32 s25, 0x7ff80000
	s_brev_b32 s24, 4
	s_xor_b64 s[28:29], exec, -1
; %bb.1242:
	s_or_b64 exec, exec, s[22:23]
	s_and_b64 s[22:23], s[28:29], exec
	s_or_saveexec_b64 s[26:27], s[26:27]
	v_pk_mov_b32 v[6:7], s[24:25], s[24:25] op_sel:[0,1]
	s_xor_b64 exec, exec, s[26:27]
	s_cbranch_execnz .LBB14_1260
.LBB14_1243:
	s_or_b64 exec, exec, s[26:27]
	s_and_saveexec_b64 s[24:25], s[22:23]
	s_cbranch_execz .LBB14_1245
.LBB14_1244:
	v_lshlrev_b32_e32 v5, 24, v4
	v_and_b32_e32 v4, 0xffff, v4
	v_and_b32_e32 v6, 7, v4
	v_ffbh_u32_e32 v9, v6
	v_min_u32_e32 v9, 32, v9
	v_subrev_u32_e32 v10, 28, v9
	v_bfe_u32 v7, v4, 3, 4
	v_lshlrev_b32_e32 v4, v10, v4
	v_sub_u32_e32 v9, 29, v9
	v_and_b32_e32 v4, 7, v4
	v_cmp_eq_u32_e32 vcc, 0, v7
	v_cndmask_b32_e32 v7, v7, v9, vcc
	v_cndmask_b32_e32 v4, v6, v4, vcc
	v_mov_b32_e32 v6, 0x3b800000
	v_lshlrev_b32_e32 v4, 20, v4
	v_and_b32_e32 v5, 0x80000000, v5
	v_lshl_add_u32 v6, v7, 23, v6
	v_or3_b32 v4, v5, v6, v4
	v_cvt_f64_f32_e32 v[6:7], v4
.LBB14_1245:
	s_or_b64 exec, exec, s[24:25]
.LBB14_1246:
	s_mov_b64 s[22:23], -1
.LBB14_1247:
	s_branch .LBB14_1280
.LBB14_1248:
	v_cmp_lt_i16_e32 vcc, 22, v13
	s_cbranch_vccz .LBB14_1258
; %bb.1249:
	v_cmp_gt_i16_e32 vcc, 24, v13
	s_cbranch_vccnz .LBB14_1261
; %bb.1250:
	v_cmp_lt_i16_e32 vcc, 24, v13
	s_cbranch_vccz .LBB14_1262
; %bb.1251:
	global_load_ubyte v4, v[2:3], off
	s_movk_i32 s20, 0x7f
                                        ; implicit-def: $sgpr22_sgpr23
	s_waitcnt vmcnt(0)
	v_cmp_lt_i16_e32 vcc, s20, v4
	s_mov_b64 s[20:21], 0
	s_and_saveexec_b64 s[24:25], vcc
	s_xor_b64 s[24:25], exec, s[24:25]
	s_cbranch_execz .LBB14_1274
; %bb.1252:
	s_movk_i32 s20, 0x80
	v_cmp_eq_u16_e32 vcc, s20, v4
	s_mov_b64 s[26:27], -1
                                        ; implicit-def: $sgpr22_sgpr23
	s_and_saveexec_b64 s[20:21], vcc
; %bb.1253:
	s_mov_b32 s23, 0x7ff80000
	s_brev_b32 s22, 4
	s_xor_b64 s[26:27], exec, -1
; %bb.1254:
	s_or_b64 exec, exec, s[20:21]
	s_and_b64 s[20:21], s[26:27], exec
	s_or_saveexec_b64 s[24:25], s[24:25]
	v_pk_mov_b32 v[6:7], s[22:23], s[22:23] op_sel:[0,1]
	s_xor_b64 exec, exec, s[24:25]
	s_cbranch_execnz .LBB14_1275
.LBB14_1255:
	s_or_b64 exec, exec, s[24:25]
	s_and_saveexec_b64 s[22:23], s[20:21]
	s_cbranch_execz .LBB14_1257
.LBB14_1256:
	v_lshlrev_b32_e32 v5, 24, v4
	v_and_b32_e32 v4, 0xffff, v4
	v_and_b32_e32 v6, 3, v4
	v_ffbh_u32_e32 v9, v6
	v_min_u32_e32 v9, 32, v9
	v_subrev_u32_e32 v10, 29, v9
	v_bfe_u32 v7, v4, 2, 5
	v_lshlrev_b32_e32 v4, v10, v4
	v_sub_u32_e32 v9, 30, v9
	v_and_b32_e32 v4, 3, v4
	v_cmp_eq_u32_e32 vcc, 0, v7
	v_cndmask_b32_e32 v7, v7, v9, vcc
	v_cndmask_b32_e32 v4, v6, v4, vcc
	v_mov_b32_e32 v6, 0x37800000
	v_lshlrev_b32_e32 v4, 21, v4
	v_and_b32_e32 v5, 0x80000000, v5
	v_lshl_add_u32 v6, v7, 23, v6
	v_or3_b32 v4, v5, v6, v4
	v_cvt_f64_f32_e32 v[6:7], v4
.LBB14_1257:
	s_or_b64 exec, exec, s[22:23]
	s_mov_b64 s[20:21], 0
	s_branch .LBB14_1263
.LBB14_1258:
	s_mov_b64 s[20:21], -1
                                        ; implicit-def: $vgpr6_vgpr7
	s_branch .LBB14_1269
.LBB14_1259:
	s_or_saveexec_b64 s[26:27], s[26:27]
	v_pk_mov_b32 v[6:7], s[24:25], s[24:25] op_sel:[0,1]
	s_xor_b64 exec, exec, s[26:27]
	s_cbranch_execz .LBB14_1243
.LBB14_1260:
	v_cmp_ne_u16_e32 vcc, 0, v4
	s_andn2_b64 s[22:23], s[22:23], exec
	s_and_b64 s[24:25], vcc, exec
	v_pk_mov_b32 v[6:7], 0, 0
	s_or_b64 s[22:23], s[22:23], s[24:25]
	s_or_b64 exec, exec, s[26:27]
	s_and_saveexec_b64 s[24:25], s[22:23]
	s_cbranch_execnz .LBB14_1244
	s_branch .LBB14_1245
.LBB14_1261:
	s_mov_b64 s[20:21], -1
                                        ; implicit-def: $vgpr6_vgpr7
	s_branch .LBB14_1266
.LBB14_1262:
	s_mov_b64 s[20:21], -1
                                        ; implicit-def: $vgpr6_vgpr7
.LBB14_1263:
	s_and_b64 vcc, exec, s[20:21]
	s_cbranch_vccz .LBB14_1265
; %bb.1264:
	global_load_ubyte v4, v[2:3], off
	s_mov_b32 s20, 0x7f800000
	s_waitcnt vmcnt(0)
	v_lshlrev_b32_e32 v4, 24, v4
	v_and_b32_e32 v5, 0x7f000000, v4
	v_ffbh_u32_e32 v6, v5
	v_min_u32_e32 v6, 32, v6
	v_sub_u32_e64 v6, v6, 4 clamp
	v_lshlrev_b32_e32 v9, v6, v5
	v_lshlrev_b32_e32 v6, 23, v6
	v_lshrrev_b32_e32 v9, 4, v9
	v_add_u32_e32 v7, 0x1000000, v5
	v_sub_u32_e32 v6, v9, v6
	v_ashrrev_i32_e32 v7, 8, v7
	v_add_u32_e32 v6, 0x3c000000, v6
	v_and_or_b32 v6, v7, s20, v6
	v_cmp_ne_u32_e32 vcc, 0, v5
	v_cndmask_b32_e32 v5, 0, v6, vcc
	s_brev_b32 s20, 1
	v_and_or_b32 v4, v4, s20, v5
	v_cvt_f64_f32_e32 v[6:7], v4
.LBB14_1265:
	s_mov_b64 s[20:21], 0
.LBB14_1266:
	s_andn2_b64 vcc, exec, s[20:21]
	s_cbranch_vccnz .LBB14_1268
; %bb.1267:
	global_load_ubyte v4, v[2:3], off
	s_movk_i32 s20, 0x7f00
	s_brev_b32 s21, 16
	s_waitcnt vmcnt(0)
	v_lshlrev_b16_e32 v5, 8, v4
	v_lshlrev_b32_e32 v4, 25, v4
	v_lshrrev_b32_e32 v6, 4, v4
	v_and_or_b32 v7, v5, s20, 0.5
	v_or_b32_e32 v6, 0x70000000, v6
	v_add_f32_e32 v7, -0.5, v7
	v_mul_f32_e32 v6, 0x7800000, v6
	v_cmp_gt_u32_e32 vcc, s21, v4
	v_bfe_i32 v5, v5, 0, 16
	v_cndmask_b32_e32 v4, v6, v7, vcc
	s_brev_b32 s20, 1
	v_and_or_b32 v4, v5, s20, v4
	v_cvt_f64_f32_e32 v[6:7], v4
.LBB14_1268:
	s_mov_b64 s[20:21], 0
	s_mov_b64 s[22:23], -1
.LBB14_1269:
	s_andn2_b64 vcc, exec, s[20:21]
	s_mov_b64 s[20:21], 0
	s_cbranch_vccnz .LBB14_1280
; %bb.1270:
	v_cmp_lt_i16_e32 vcc, 14, v13
	s_cbranch_vccz .LBB14_1273
; %bb.1271:
	v_cmp_eq_u16_e32 vcc, 15, v13
	s_cbranch_vccz .LBB14_1276
; %bb.1272:
	global_load_ushort v4, v[2:3], off
	s_mov_b64 s[2:3], 0
	s_mov_b64 s[22:23], -1
	s_waitcnt vmcnt(0)
	v_lshlrev_b32_e32 v4, 16, v4
	v_cvt_f64_f32_e32 v[6:7], v4
	s_branch .LBB14_1277
.LBB14_1273:
	s_mov_b64 s[24:25], -1
                                        ; implicit-def: $vgpr6_vgpr7
	s_branch .LBB14_1278
.LBB14_1274:
	s_or_saveexec_b64 s[24:25], s[24:25]
	v_pk_mov_b32 v[6:7], s[22:23], s[22:23] op_sel:[0,1]
	s_xor_b64 exec, exec, s[24:25]
	s_cbranch_execz .LBB14_1255
.LBB14_1275:
	v_cmp_ne_u16_e32 vcc, 0, v4
	s_andn2_b64 s[20:21], s[20:21], exec
	s_and_b64 s[22:23], vcc, exec
	v_pk_mov_b32 v[6:7], 0, 0
	s_or_b64 s[20:21], s[20:21], s[22:23]
	s_or_b64 exec, exec, s[24:25]
	s_and_saveexec_b64 s[22:23], s[20:21]
	s_cbranch_execnz .LBB14_1256
	s_branch .LBB14_1257
.LBB14_1276:
	s_mov_b64 s[2:3], -1
                                        ; implicit-def: $vgpr6_vgpr7
.LBB14_1277:
	s_mov_b64 s[24:25], 0
.LBB14_1278:
	s_and_b64 vcc, exec, s[24:25]
	s_cbranch_vccz .LBB14_1280
; %bb.1279:
	v_cmp_ne_u16_e64 s[2:3], 11, v13
	s_mov_b64 s[20:21], -1
                                        ; implicit-def: $vgpr6_vgpr7
.LBB14_1280:
	s_and_b64 vcc, exec, s[2:3]
	s_cbranch_vccnz .LBB14_1353
; %bb.1281:
	s_andn2_b64 vcc, exec, s[20:21]
	s_cbranch_vccnz .LBB14_1283
.LBB14_1282:
	global_load_ubyte v4, v[2:3], off
	v_mov_b32_e32 v5, 0x3ff00000
	v_mov_b32_e32 v6, 0
	s_mov_b64 s[22:23], -1
	s_waitcnt vmcnt(0)
	v_cmp_ne_u16_e32 vcc, 0, v4
	v_cndmask_b32_e32 v7, 0, v5, vcc
.LBB14_1283:
	s_branch .LBB14_1210
.LBB14_1284:
	v_cmp_gt_i16_e32 vcc, 5, v13
	s_cbranch_vccnz .LBB14_1289
; %bb.1285:
	v_cmp_gt_i16_e32 vcc, 8, v13
	s_cbranch_vccnz .LBB14_1290
; %bb.1286:
	;; [unrolled: 3-line block ×3, first 2 shown]
	v_cmp_lt_i16_e32 vcc, 9, v13
	s_cbranch_vccz .LBB14_1292
; %bb.1288:
	global_load_dwordx2 v[6:7], v[2:3], off
	s_mov_b64 s[2:3], 0
	s_branch .LBB14_1293
.LBB14_1289:
                                        ; implicit-def: $vgpr6_vgpr7
	s_branch .LBB14_1311
.LBB14_1290:
	s_mov_b64 s[2:3], -1
                                        ; implicit-def: $vgpr6_vgpr7
	s_branch .LBB14_1299
.LBB14_1291:
	s_mov_b64 s[2:3], -1
                                        ; implicit-def: $vgpr6_vgpr7
	s_branch .LBB14_1296
.LBB14_1292:
	s_mov_b64 s[2:3], -1
                                        ; implicit-def: $vgpr6_vgpr7
.LBB14_1293:
	s_andn2_b64 vcc, exec, s[2:3]
	s_cbranch_vccnz .LBB14_1295
; %bb.1294:
	global_load_dword v4, v[2:3], off
	s_waitcnt vmcnt(0)
	v_cvt_f64_f32_e32 v[6:7], v4
.LBB14_1295:
	s_mov_b64 s[2:3], 0
.LBB14_1296:
	s_andn2_b64 vcc, exec, s[2:3]
	s_cbranch_vccnz .LBB14_1298
; %bb.1297:
	global_load_dword v4, v[2:3], off
	s_waitcnt vmcnt(0)
	v_cvt_f32_f16_e32 v4, v4
	v_cvt_f64_f32_e32 v[6:7], v4
.LBB14_1298:
	s_mov_b64 s[2:3], 0
.LBB14_1299:
	s_andn2_b64 vcc, exec, s[2:3]
	s_cbranch_vccnz .LBB14_1310
; %bb.1300:
	v_cmp_gt_i16_e32 vcc, 6, v13
	s_cbranch_vccnz .LBB14_1303
; %bb.1301:
	v_cmp_lt_i16_e32 vcc, 6, v13
	s_cbranch_vccz .LBB14_1304
; %bb.1302:
	global_load_dwordx2 v[6:7], v[2:3], off
	s_mov_b64 s[2:3], 0
	s_branch .LBB14_1305
.LBB14_1303:
	s_mov_b64 s[2:3], -1
                                        ; implicit-def: $vgpr6_vgpr7
	s_branch .LBB14_1308
.LBB14_1304:
	s_mov_b64 s[2:3], -1
                                        ; implicit-def: $vgpr6_vgpr7
.LBB14_1305:
	s_andn2_b64 vcc, exec, s[2:3]
	s_cbranch_vccnz .LBB14_1307
; %bb.1306:
	global_load_dword v4, v[2:3], off
	s_waitcnt vmcnt(0)
	v_cvt_f64_f32_e32 v[6:7], v4
.LBB14_1307:
	s_mov_b64 s[2:3], 0
.LBB14_1308:
	s_andn2_b64 vcc, exec, s[2:3]
	s_cbranch_vccnz .LBB14_1310
; %bb.1309:
	global_load_ushort v4, v[2:3], off
	s_waitcnt vmcnt(0)
	v_cvt_f32_f16_e32 v4, v4
	v_cvt_f64_f32_e32 v[6:7], v4
.LBB14_1310:
	s_cbranch_execnz .LBB14_1330
.LBB14_1311:
	v_cmp_gt_i16_e32 vcc, 2, v13
	s_cbranch_vccnz .LBB14_1315
; %bb.1312:
	v_cmp_gt_i16_e32 vcc, 3, v13
	s_cbranch_vccnz .LBB14_1316
; %bb.1313:
	v_cmp_lt_i16_e32 vcc, 3, v13
	s_cbranch_vccz .LBB14_1317
; %bb.1314:
	global_load_dwordx2 v[4:5], v[2:3], off
	s_mov_b64 s[2:3], 0
	s_waitcnt vmcnt(0)
	v_cvt_f64_i32_e32 v[6:7], v5
	v_cvt_f64_u32_e32 v[4:5], v4
	v_ldexp_f64 v[6:7], v[6:7], 32
	v_add_f64 v[6:7], v[6:7], v[4:5]
	s_branch .LBB14_1318
.LBB14_1315:
	s_mov_b64 s[2:3], -1
                                        ; implicit-def: $vgpr6_vgpr7
	s_branch .LBB14_1324
.LBB14_1316:
	s_mov_b64 s[2:3], -1
                                        ; implicit-def: $vgpr6_vgpr7
	s_branch .LBB14_1321
.LBB14_1317:
	s_mov_b64 s[2:3], -1
                                        ; implicit-def: $vgpr6_vgpr7
.LBB14_1318:
	s_andn2_b64 vcc, exec, s[2:3]
	s_cbranch_vccnz .LBB14_1320
; %bb.1319:
	global_load_dword v4, v[2:3], off
	s_waitcnt vmcnt(0)
	v_cvt_f64_i32_e32 v[6:7], v4
.LBB14_1320:
	s_mov_b64 s[2:3], 0
.LBB14_1321:
	s_andn2_b64 vcc, exec, s[2:3]
	s_cbranch_vccnz .LBB14_1323
; %bb.1322:
	global_load_sshort v4, v[2:3], off
	s_waitcnt vmcnt(0)
	v_cvt_f64_i32_e32 v[6:7], v4
.LBB14_1323:
	s_mov_b64 s[2:3], 0
.LBB14_1324:
	s_andn2_b64 vcc, exec, s[2:3]
	s_cbranch_vccnz .LBB14_1330
; %bb.1325:
	v_cmp_lt_i16_e32 vcc, 0, v13
	s_cbranch_vccz .LBB14_1327
; %bb.1326:
	global_load_sbyte v4, v[2:3], off
	s_mov_b64 s[2:3], 0
	s_waitcnt vmcnt(0)
	v_cvt_f64_i32_e32 v[6:7], v4
	s_branch .LBB14_1328
.LBB14_1327:
	s_mov_b64 s[2:3], -1
                                        ; implicit-def: $vgpr6_vgpr7
.LBB14_1328:
	s_andn2_b64 vcc, exec, s[2:3]
	s_cbranch_vccnz .LBB14_1330
; %bb.1329:
	global_load_ubyte v2, v[2:3], off
	s_waitcnt vmcnt(0)
	v_cvt_f64_u32_e32 v[6:7], v2
.LBB14_1330:
.LBB14_1331:
	v_cndmask_b32_e64 v2, 0, 1, s[14:15]
	v_cmp_ne_u32_e64 s[2:3], 1, v2
	s_andn2_b64 vcc, exec, s[14:15]
	v_pk_mov_b32 v[4:5], 0, 0
	s_cbranch_vccnz .LBB14_1341
; %bb.1332:
	v_cmp_lt_i64_e64 s[14:15], s[4:5], 1
	v_mov_b32_e32 v4, 0
	s_and_b64 vcc, exec, s[14:15]
	v_mov_b32_e32 v5, 0x3ff00000
	s_cbranch_vccnz .LBB14_1341
; %bb.1333:
	s_cmp_lg_u64 s[4:5], 1
	s_cbranch_scc0 .LBB14_1338
; %bb.1334:
	v_mov_b32_e32 v2, 0x200
	v_mov_b32_e32 v3, 0
	v_cmp_gt_u64_e32 vcc, s[4:5], v[2:3]
	v_mov_b32_e32 v4, 0
	v_mov_b32_e32 v5, 0x7ff80000
	s_cbranch_vccnz .LBB14_1337
; %bb.1335:
	v_mov_b32_e32 v2, 0
	s_mov_b64 s[14:15], 1
	v_mov_b32_e32 v3, 0x3ff00000
	s_waitcnt vmcnt(0)
	v_pk_mov_b32 v[4:5], v[6:7], v[6:7] op_sel:[0,1]
.LBB14_1336:                            ; =>This Inner Loop Header: Depth=1
	v_cvt_f64_u32_e32 v[10:11], s15
	v_cvt_f64_u32_e32 v[14:15], s14
	v_ldexp_f64 v[10:11], v[10:11], 32
	s_add_u32 s14, s14, 1
	v_add_f64 v[10:11], v[10:11], v[14:15]
	s_addc_u32 s15, s15, 0
	v_mul_f64 v[10:11], v[2:3], v[10:11]
	s_cmp_lg_u64 s[4:5], s[14:15]
	v_pk_mov_b32 v[2:3], v[4:5], v[4:5] op_sel:[0,1]
	v_fma_f64 v[4:5], v[6:7], v[4:5], -v[10:11]
	s_cbranch_scc1 .LBB14_1336
.LBB14_1337:
	s_mov_b64 s[14:15], 0
	s_branch .LBB14_1339
.LBB14_1338:
	s_mov_b64 s[14:15], -1
                                        ; implicit-def: $vgpr4_vgpr5
.LBB14_1339:
	s_andn2_b64 vcc, exec, s[14:15]
	s_cbranch_vccnz .LBB14_1341
; %bb.1340:
	s_waitcnt vmcnt(0)
	v_pk_mov_b32 v[4:5], v[6:7], v[6:7] op_sel:[0,1]
.LBB14_1341:
	v_add_u32_e32 v8, s13, v8
	v_ashrrev_i32_e32 v3, 31, v8
	s_waitcnt vmcnt(0)
	v_mov_b32_e32 v6, s11
	v_add_co_u32_e32 v2, vcc, s10, v8
	v_addc_co_u32_e32 v3, vcc, v6, v3, vcc
	s_and_b64 vcc, exec, s[0:1]
	s_cbranch_vccnz .LBB14_1348
; %bb.1342:
	v_cmp_lt_i16_e32 vcc, 25, v13
	s_mov_b64 s[20:21], 0
	s_cbranch_vccz .LBB14_1350
; %bb.1343:
	v_cmp_lt_i16_e32 vcc, 28, v13
	s_cbranch_vccz .LBB14_1351
; %bb.1344:
	v_cmp_lt_i16_e32 vcc, 43, v13
	;; [unrolled: 3-line block ×3, first 2 shown]
	s_cbranch_vccz .LBB14_1354
; %bb.1346:
	v_cmp_eq_u16_e32 vcc, 46, v13
	s_mov_b64 s[24:25], 0
	s_cbranch_vccz .LBB14_1355
; %bb.1347:
	global_load_dword v6, v[2:3], off
	s_mov_b64 s[14:15], 0
	s_mov_b64 s[22:23], -1
	s_waitcnt vmcnt(0)
	v_lshlrev_b32_e32 v6, 16, v6
	v_cvt_f64_f32_e32 v[6:7], v6
	s_branch .LBB14_1356
.LBB14_1348:
	s_mov_b64 s[22:23], 0
                                        ; implicit-def: $vgpr6_vgpr7
	s_cbranch_execnz .LBB14_1422
.LBB14_1349:
	s_andn2_b64 vcc, exec, s[22:23]
	s_cbranch_vccnz .LBB14_1617
	s_branch .LBB14_1470
.LBB14_1350:
	s_mov_b64 s[24:25], -1
	s_mov_b64 s[22:23], 0
	s_mov_b64 s[14:15], 0
                                        ; implicit-def: $vgpr6_vgpr7
	s_branch .LBB14_1385
.LBB14_1351:
	s_mov_b64 s[24:25], -1
	s_mov_b64 s[22:23], 0
	s_mov_b64 s[14:15], 0
                                        ; implicit-def: $vgpr6_vgpr7
	s_branch .LBB14_1366
.LBB14_1352:
	s_mov_b64 s[24:25], -1
	s_mov_b64 s[22:23], 0
	s_mov_b64 s[14:15], 0
                                        ; implicit-def: $vgpr6_vgpr7
	s_branch .LBB14_1361
.LBB14_1353:
	s_trap 2
	s_or_b64 s[18:19], s[18:19], exec
                                        ; implicit-def: $vgpr6_vgpr7
	s_cbranch_execz .LBB14_1282
	s_branch .LBB14_1283
.LBB14_1354:
	s_mov_b64 s[24:25], -1
	s_mov_b64 s[22:23], 0
	s_mov_b64 s[14:15], 0
                                        ; implicit-def: $vgpr6_vgpr7
	s_branch .LBB14_1356
.LBB14_1355:
	s_mov_b64 s[14:15], -1
                                        ; implicit-def: $vgpr6_vgpr7
	s_mov_b64 s[22:23], 0
.LBB14_1356:
	s_and_b64 vcc, exec, s[24:25]
	s_cbranch_vccz .LBB14_1360
; %bb.1357:
	v_cmp_eq_u16_e32 vcc, 44, v13
	s_cbranch_vccz .LBB14_1359
; %bb.1358:
	global_load_ubyte v9, v[2:3], off
	s_movk_i32 s22, 0xff
	v_bfrev_b32_e32 v10, 4
	v_mov_b32_e32 v11, 0x7ff80000
	v_bfrev_b32_e32 v14, 28
	s_mov_b64 s[14:15], 0
	s_waitcnt vmcnt(0)
	v_lshlrev_b32_e32 v6, 23, v9
	v_cvt_f64_f32_e32 v[6:7], v6
	v_cmp_ne_u32_e32 vcc, s22, v9
	v_cndmask_b32_e32 v6, v10, v6, vcc
	v_cndmask_b32_e32 v7, v11, v7, vcc
	v_cmp_ne_u32_e32 vcc, 0, v9
	v_cndmask_b32_e32 v7, v14, v7, vcc
	v_cndmask_b32_e32 v6, 0, v6, vcc
	s_mov_b64 s[22:23], -1
	s_branch .LBB14_1360
.LBB14_1359:
	s_mov_b64 s[14:15], -1
                                        ; implicit-def: $vgpr6_vgpr7
.LBB14_1360:
	s_mov_b64 s[24:25], 0
.LBB14_1361:
	s_and_b64 vcc, exec, s[24:25]
	s_cbranch_vccz .LBB14_1365
; %bb.1362:
	v_cmp_eq_u16_e32 vcc, 29, v13
	s_cbranch_vccz .LBB14_1364
; %bb.1363:
	global_load_dwordx2 v[6:7], v[2:3], off
	s_mov_b64 s[14:15], 0
	s_mov_b64 s[22:23], -1
	s_mov_b64 s[24:25], 0
	s_waitcnt vmcnt(0)
	v_cvt_f64_u32_e32 v[10:11], v7
	v_cvt_f64_u32_e32 v[6:7], v6
	v_ldexp_f64 v[10:11], v[10:11], 32
	v_add_f64 v[6:7], v[10:11], v[6:7]
	s_branch .LBB14_1366
.LBB14_1364:
	s_mov_b64 s[14:15], -1
                                        ; implicit-def: $vgpr6_vgpr7
.LBB14_1365:
	s_mov_b64 s[24:25], 0
.LBB14_1366:
	s_and_b64 vcc, exec, s[24:25]
	s_cbranch_vccz .LBB14_1384
; %bb.1367:
	v_cmp_gt_i16_e32 vcc, 27, v13
	s_cbranch_vccnz .LBB14_1370
; %bb.1368:
	v_cmp_lt_i16_e32 vcc, 27, v13
	s_cbranch_vccz .LBB14_1371
; %bb.1369:
	global_load_dword v6, v[2:3], off
	s_mov_b64 s[22:23], 0
	s_waitcnt vmcnt(0)
	v_cvt_f64_u32_e32 v[6:7], v6
	s_branch .LBB14_1372
.LBB14_1370:
	s_mov_b64 s[22:23], -1
                                        ; implicit-def: $vgpr6_vgpr7
	s_branch .LBB14_1375
.LBB14_1371:
	s_mov_b64 s[22:23], -1
                                        ; implicit-def: $vgpr6_vgpr7
.LBB14_1372:
	s_andn2_b64 vcc, exec, s[22:23]
	s_cbranch_vccnz .LBB14_1374
; %bb.1373:
	global_load_ushort v6, v[2:3], off
	s_waitcnt vmcnt(0)
	v_cvt_f64_u32_e32 v[6:7], v6
.LBB14_1374:
	s_mov_b64 s[22:23], 0
.LBB14_1375:
	s_andn2_b64 vcc, exec, s[22:23]
	s_cbranch_vccnz .LBB14_1383
; %bb.1376:
	global_load_ubyte v9, v[2:3], off
	s_movk_i32 s22, 0x7f
                                        ; implicit-def: $sgpr24_sgpr25
	s_waitcnt vmcnt(0)
	v_cmp_lt_i16_e32 vcc, s22, v9
	s_mov_b64 s[22:23], 0
	s_and_saveexec_b64 s[26:27], vcc
	s_xor_b64 s[26:27], exec, s[26:27]
	s_cbranch_execz .LBB14_1397
; %bb.1377:
	s_movk_i32 s22, 0x80
	v_cmp_eq_u16_e32 vcc, s22, v9
	s_mov_b64 s[28:29], -1
                                        ; implicit-def: $sgpr24_sgpr25
	s_and_saveexec_b64 s[22:23], vcc
; %bb.1378:
	s_mov_b32 s25, 0x7ff80000
	s_brev_b32 s24, 4
	s_xor_b64 s[28:29], exec, -1
; %bb.1379:
	s_or_b64 exec, exec, s[22:23]
	s_and_b64 s[22:23], s[28:29], exec
	s_or_saveexec_b64 s[26:27], s[26:27]
	v_pk_mov_b32 v[6:7], s[24:25], s[24:25] op_sel:[0,1]
	s_xor_b64 exec, exec, s[26:27]
	s_cbranch_execnz .LBB14_1398
.LBB14_1380:
	s_or_b64 exec, exec, s[26:27]
	s_and_saveexec_b64 s[24:25], s[22:23]
	s_cbranch_execz .LBB14_1382
.LBB14_1381:
	v_and_b32_e32 v7, 0xffff, v9
	v_lshlrev_b32_e32 v6, 24, v9
	v_and_b32_e32 v9, 7, v7
	v_ffbh_u32_e32 v11, v9
	v_min_u32_e32 v11, 32, v11
	v_subrev_u32_e32 v14, 28, v11
	v_bfe_u32 v10, v7, 3, 4
	v_lshlrev_b32_e32 v7, v14, v7
	v_sub_u32_e32 v11, 29, v11
	v_and_b32_e32 v7, 7, v7
	v_cmp_eq_u32_e32 vcc, 0, v10
	v_cndmask_b32_e32 v10, v10, v11, vcc
	v_cndmask_b32_e32 v7, v9, v7, vcc
	v_mov_b32_e32 v9, 0x3b800000
	v_lshlrev_b32_e32 v7, 20, v7
	v_and_b32_e32 v6, 0x80000000, v6
	v_lshl_add_u32 v9, v10, 23, v9
	v_or3_b32 v6, v6, v9, v7
	v_cvt_f64_f32_e32 v[6:7], v6
.LBB14_1382:
	s_or_b64 exec, exec, s[24:25]
.LBB14_1383:
	s_mov_b64 s[22:23], -1
.LBB14_1384:
	s_mov_b64 s[24:25], 0
.LBB14_1385:
	s_and_b64 vcc, exec, s[24:25]
	s_cbranch_vccz .LBB14_1418
; %bb.1386:
	v_cmp_lt_i16_e32 vcc, 22, v13
	s_cbranch_vccz .LBB14_1396
; %bb.1387:
	v_cmp_gt_i16_e32 vcc, 24, v13
	s_cbranch_vccnz .LBB14_1399
; %bb.1388:
	v_cmp_lt_i16_e32 vcc, 24, v13
	s_cbranch_vccz .LBB14_1400
; %bb.1389:
	global_load_ubyte v9, v[2:3], off
	s_movk_i32 s20, 0x7f
                                        ; implicit-def: $sgpr22_sgpr23
	s_waitcnt vmcnt(0)
	v_cmp_lt_i16_e32 vcc, s20, v9
	s_mov_b64 s[20:21], 0
	s_and_saveexec_b64 s[24:25], vcc
	s_xor_b64 s[24:25], exec, s[24:25]
	s_cbranch_execz .LBB14_1412
; %bb.1390:
	s_movk_i32 s20, 0x80
	v_cmp_eq_u16_e32 vcc, s20, v9
	s_mov_b64 s[26:27], -1
                                        ; implicit-def: $sgpr22_sgpr23
	s_and_saveexec_b64 s[20:21], vcc
; %bb.1391:
	s_mov_b32 s23, 0x7ff80000
	s_brev_b32 s22, 4
	s_xor_b64 s[26:27], exec, -1
; %bb.1392:
	s_or_b64 exec, exec, s[20:21]
	s_and_b64 s[20:21], s[26:27], exec
	s_or_saveexec_b64 s[24:25], s[24:25]
	v_pk_mov_b32 v[6:7], s[22:23], s[22:23] op_sel:[0,1]
	s_xor_b64 exec, exec, s[24:25]
	s_cbranch_execnz .LBB14_1413
.LBB14_1393:
	s_or_b64 exec, exec, s[24:25]
	s_and_saveexec_b64 s[22:23], s[20:21]
	s_cbranch_execz .LBB14_1395
.LBB14_1394:
	v_and_b32_e32 v7, 0xffff, v9
	v_lshlrev_b32_e32 v6, 24, v9
	v_and_b32_e32 v9, 3, v7
	v_ffbh_u32_e32 v11, v9
	v_min_u32_e32 v11, 32, v11
	v_subrev_u32_e32 v14, 29, v11
	v_bfe_u32 v10, v7, 2, 5
	v_lshlrev_b32_e32 v7, v14, v7
	v_sub_u32_e32 v11, 30, v11
	v_and_b32_e32 v7, 3, v7
	v_cmp_eq_u32_e32 vcc, 0, v10
	v_cndmask_b32_e32 v10, v10, v11, vcc
	v_cndmask_b32_e32 v7, v9, v7, vcc
	v_mov_b32_e32 v9, 0x37800000
	v_lshlrev_b32_e32 v7, 21, v7
	v_and_b32_e32 v6, 0x80000000, v6
	v_lshl_add_u32 v9, v10, 23, v9
	v_or3_b32 v6, v6, v9, v7
	v_cvt_f64_f32_e32 v[6:7], v6
.LBB14_1395:
	s_or_b64 exec, exec, s[22:23]
	s_mov_b64 s[20:21], 0
	s_branch .LBB14_1401
.LBB14_1396:
	s_mov_b64 s[20:21], -1
                                        ; implicit-def: $vgpr6_vgpr7
	s_branch .LBB14_1407
.LBB14_1397:
	s_or_saveexec_b64 s[26:27], s[26:27]
	v_pk_mov_b32 v[6:7], s[24:25], s[24:25] op_sel:[0,1]
	s_xor_b64 exec, exec, s[26:27]
	s_cbranch_execz .LBB14_1380
.LBB14_1398:
	v_cmp_ne_u16_e32 vcc, 0, v9
	s_andn2_b64 s[22:23], s[22:23], exec
	s_and_b64 s[24:25], vcc, exec
	v_pk_mov_b32 v[6:7], 0, 0
	s_or_b64 s[22:23], s[22:23], s[24:25]
	s_or_b64 exec, exec, s[26:27]
	s_and_saveexec_b64 s[24:25], s[22:23]
	s_cbranch_execnz .LBB14_1381
	s_branch .LBB14_1382
.LBB14_1399:
	s_mov_b64 s[20:21], -1
                                        ; implicit-def: $vgpr6_vgpr7
	s_branch .LBB14_1404
.LBB14_1400:
	s_mov_b64 s[20:21], -1
                                        ; implicit-def: $vgpr6_vgpr7
.LBB14_1401:
	s_and_b64 vcc, exec, s[20:21]
	s_cbranch_vccz .LBB14_1403
; %bb.1402:
	global_load_ubyte v6, v[2:3], off
	s_mov_b32 s20, 0x7f800000
	s_waitcnt vmcnt(0)
	v_lshlrev_b32_e32 v6, 24, v6
	v_and_b32_e32 v7, 0x7f000000, v6
	v_ffbh_u32_e32 v9, v7
	v_min_u32_e32 v9, 32, v9
	v_sub_u32_e64 v9, v9, 4 clamp
	v_lshlrev_b32_e32 v11, v9, v7
	v_lshlrev_b32_e32 v9, 23, v9
	v_lshrrev_b32_e32 v11, 4, v11
	v_add_u32_e32 v10, 0x1000000, v7
	v_sub_u32_e32 v9, v11, v9
	v_ashrrev_i32_e32 v10, 8, v10
	v_add_u32_e32 v9, 0x3c000000, v9
	v_and_or_b32 v9, v10, s20, v9
	v_cmp_ne_u32_e32 vcc, 0, v7
	v_cndmask_b32_e32 v7, 0, v9, vcc
	s_brev_b32 s20, 1
	v_and_or_b32 v6, v6, s20, v7
	v_cvt_f64_f32_e32 v[6:7], v6
.LBB14_1403:
	s_mov_b64 s[20:21], 0
.LBB14_1404:
	s_andn2_b64 vcc, exec, s[20:21]
	s_cbranch_vccnz .LBB14_1406
; %bb.1405:
	global_load_ubyte v6, v[2:3], off
	s_movk_i32 s20, 0x7f00
	s_brev_b32 s21, 16
	s_waitcnt vmcnt(0)
	v_lshlrev_b16_e32 v7, 8, v6
	v_lshlrev_b32_e32 v6, 25, v6
	v_lshrrev_b32_e32 v9, 4, v6
	v_and_or_b32 v10, v7, s20, 0.5
	v_or_b32_e32 v9, 0x70000000, v9
	v_add_f32_e32 v10, -0.5, v10
	v_mul_f32_e32 v9, 0x7800000, v9
	v_cmp_gt_u32_e32 vcc, s21, v6
	v_bfe_i32 v7, v7, 0, 16
	v_cndmask_b32_e32 v6, v9, v10, vcc
	s_brev_b32 s20, 1
	v_and_or_b32 v6, v7, s20, v6
	v_cvt_f64_f32_e32 v[6:7], v6
.LBB14_1406:
	s_mov_b64 s[20:21], 0
	s_mov_b64 s[22:23], -1
.LBB14_1407:
	s_andn2_b64 vcc, exec, s[20:21]
	s_mov_b64 s[20:21], 0
	s_cbranch_vccnz .LBB14_1418
; %bb.1408:
	v_cmp_lt_i16_e32 vcc, 14, v13
	s_cbranch_vccz .LBB14_1411
; %bb.1409:
	v_cmp_eq_u16_e32 vcc, 15, v13
	s_cbranch_vccz .LBB14_1414
; %bb.1410:
	global_load_ushort v6, v[2:3], off
	s_mov_b64 s[14:15], 0
	s_mov_b64 s[22:23], -1
	s_waitcnt vmcnt(0)
	v_lshlrev_b32_e32 v6, 16, v6
	v_cvt_f64_f32_e32 v[6:7], v6
	s_branch .LBB14_1415
.LBB14_1411:
	s_mov_b64 s[24:25], -1
                                        ; implicit-def: $vgpr6_vgpr7
	s_branch .LBB14_1416
.LBB14_1412:
	s_or_saveexec_b64 s[24:25], s[24:25]
	v_pk_mov_b32 v[6:7], s[22:23], s[22:23] op_sel:[0,1]
	s_xor_b64 exec, exec, s[24:25]
	s_cbranch_execz .LBB14_1393
.LBB14_1413:
	v_cmp_ne_u16_e32 vcc, 0, v9
	s_andn2_b64 s[20:21], s[20:21], exec
	s_and_b64 s[22:23], vcc, exec
	v_pk_mov_b32 v[6:7], 0, 0
	s_or_b64 s[20:21], s[20:21], s[22:23]
	s_or_b64 exec, exec, s[24:25]
	s_and_saveexec_b64 s[22:23], s[20:21]
	s_cbranch_execnz .LBB14_1394
	s_branch .LBB14_1395
.LBB14_1414:
	s_mov_b64 s[14:15], -1
                                        ; implicit-def: $vgpr6_vgpr7
.LBB14_1415:
	s_mov_b64 s[24:25], 0
.LBB14_1416:
	s_and_b64 vcc, exec, s[24:25]
	s_cbranch_vccz .LBB14_1418
; %bb.1417:
	v_cmp_ne_u16_e64 s[14:15], 11, v13
	s_mov_b64 s[20:21], -1
                                        ; implicit-def: $vgpr6_vgpr7
.LBB14_1418:
	s_and_b64 vcc, exec, s[14:15]
	s_cbranch_vccnz .LBB14_1491
; %bb.1419:
	s_andn2_b64 vcc, exec, s[20:21]
	s_cbranch_vccnz .LBB14_1421
.LBB14_1420:
	global_load_ubyte v7, v[2:3], off
	v_mov_b32_e32 v9, 0x3ff00000
	v_mov_b32_e32 v6, 0
	s_mov_b64 s[22:23], -1
	s_waitcnt vmcnt(0)
	v_cmp_ne_u16_e32 vcc, 0, v7
	v_cndmask_b32_e32 v7, 0, v9, vcc
.LBB14_1421:
	s_branch .LBB14_1349
.LBB14_1422:
	v_cmp_gt_i16_e32 vcc, 5, v13
	s_cbranch_vccnz .LBB14_1427
; %bb.1423:
	v_cmp_gt_i16_e32 vcc, 8, v13
	s_cbranch_vccnz .LBB14_1428
; %bb.1424:
	;; [unrolled: 3-line block ×3, first 2 shown]
	v_cmp_lt_i16_e32 vcc, 9, v13
	s_cbranch_vccz .LBB14_1430
; %bb.1426:
	global_load_dwordx2 v[6:7], v[2:3], off
	s_mov_b64 s[14:15], 0
	s_branch .LBB14_1431
.LBB14_1427:
	s_mov_b64 s[14:15], -1
                                        ; implicit-def: $vgpr6_vgpr7
	s_branch .LBB14_1449
.LBB14_1428:
	s_mov_b64 s[14:15], -1
                                        ; implicit-def: $vgpr6_vgpr7
	s_branch .LBB14_1437
.LBB14_1429:
	s_mov_b64 s[14:15], -1
                                        ; implicit-def: $vgpr6_vgpr7
	s_branch .LBB14_1434
.LBB14_1430:
	s_mov_b64 s[14:15], -1
                                        ; implicit-def: $vgpr6_vgpr7
.LBB14_1431:
	s_andn2_b64 vcc, exec, s[14:15]
	s_cbranch_vccnz .LBB14_1433
; %bb.1432:
	global_load_dword v6, v[2:3], off
	s_waitcnt vmcnt(0)
	v_cvt_f64_f32_e32 v[6:7], v6
.LBB14_1433:
	s_mov_b64 s[14:15], 0
.LBB14_1434:
	s_andn2_b64 vcc, exec, s[14:15]
	s_cbranch_vccnz .LBB14_1436
; %bb.1435:
	global_load_dword v6, v[2:3], off
	s_waitcnt vmcnt(0)
	v_cvt_f32_f16_e32 v6, v6
	v_cvt_f64_f32_e32 v[6:7], v6
.LBB14_1436:
	s_mov_b64 s[14:15], 0
.LBB14_1437:
	s_andn2_b64 vcc, exec, s[14:15]
	s_cbranch_vccnz .LBB14_1448
; %bb.1438:
	v_cmp_gt_i16_e32 vcc, 6, v13
	s_cbranch_vccnz .LBB14_1441
; %bb.1439:
	v_cmp_lt_i16_e32 vcc, 6, v13
	s_cbranch_vccz .LBB14_1442
; %bb.1440:
	global_load_dwordx2 v[6:7], v[2:3], off
	s_mov_b64 s[14:15], 0
	s_branch .LBB14_1443
.LBB14_1441:
	s_mov_b64 s[14:15], -1
                                        ; implicit-def: $vgpr6_vgpr7
	s_branch .LBB14_1446
.LBB14_1442:
	s_mov_b64 s[14:15], -1
                                        ; implicit-def: $vgpr6_vgpr7
.LBB14_1443:
	s_andn2_b64 vcc, exec, s[14:15]
	s_cbranch_vccnz .LBB14_1445
; %bb.1444:
	global_load_dword v6, v[2:3], off
	s_waitcnt vmcnt(0)
	v_cvt_f64_f32_e32 v[6:7], v6
.LBB14_1445:
	s_mov_b64 s[14:15], 0
.LBB14_1446:
	s_andn2_b64 vcc, exec, s[14:15]
	s_cbranch_vccnz .LBB14_1448
; %bb.1447:
	global_load_ushort v6, v[2:3], off
	s_waitcnt vmcnt(0)
	v_cvt_f32_f16_e32 v6, v6
	v_cvt_f64_f32_e32 v[6:7], v6
.LBB14_1448:
	s_mov_b64 s[14:15], 0
.LBB14_1449:
	s_andn2_b64 vcc, exec, s[14:15]
	s_cbranch_vccnz .LBB14_1469
; %bb.1450:
	v_cmp_gt_i16_e32 vcc, 2, v13
	s_cbranch_vccnz .LBB14_1454
; %bb.1451:
	v_cmp_gt_i16_e32 vcc, 3, v13
	s_cbranch_vccnz .LBB14_1455
; %bb.1452:
	v_cmp_lt_i16_e32 vcc, 3, v13
	s_cbranch_vccz .LBB14_1456
; %bb.1453:
	global_load_dwordx2 v[6:7], v[2:3], off
	s_mov_b64 s[14:15], 0
	s_waitcnt vmcnt(0)
	v_cvt_f64_i32_e32 v[10:11], v7
	v_cvt_f64_u32_e32 v[6:7], v6
	v_ldexp_f64 v[10:11], v[10:11], 32
	v_add_f64 v[6:7], v[10:11], v[6:7]
	s_branch .LBB14_1457
.LBB14_1454:
	s_mov_b64 s[14:15], -1
                                        ; implicit-def: $vgpr6_vgpr7
	s_branch .LBB14_1463
.LBB14_1455:
	s_mov_b64 s[14:15], -1
                                        ; implicit-def: $vgpr6_vgpr7
	s_branch .LBB14_1460
.LBB14_1456:
	s_mov_b64 s[14:15], -1
                                        ; implicit-def: $vgpr6_vgpr7
.LBB14_1457:
	s_andn2_b64 vcc, exec, s[14:15]
	s_cbranch_vccnz .LBB14_1459
; %bb.1458:
	global_load_dword v6, v[2:3], off
	s_waitcnt vmcnt(0)
	v_cvt_f64_i32_e32 v[6:7], v6
.LBB14_1459:
	s_mov_b64 s[14:15], 0
.LBB14_1460:
	s_andn2_b64 vcc, exec, s[14:15]
	s_cbranch_vccnz .LBB14_1462
; %bb.1461:
	global_load_sshort v6, v[2:3], off
	s_waitcnt vmcnt(0)
	v_cvt_f64_i32_e32 v[6:7], v6
.LBB14_1462:
	s_mov_b64 s[14:15], 0
.LBB14_1463:
	s_andn2_b64 vcc, exec, s[14:15]
	s_cbranch_vccnz .LBB14_1469
; %bb.1464:
	v_cmp_lt_i16_e32 vcc, 0, v13
	s_cbranch_vccz .LBB14_1466
; %bb.1465:
	global_load_sbyte v6, v[2:3], off
	s_mov_b64 s[14:15], 0
	s_waitcnt vmcnt(0)
	v_cvt_f64_i32_e32 v[6:7], v6
	s_branch .LBB14_1467
.LBB14_1466:
	s_mov_b64 s[14:15], -1
                                        ; implicit-def: $vgpr6_vgpr7
.LBB14_1467:
	s_andn2_b64 vcc, exec, s[14:15]
	s_cbranch_vccnz .LBB14_1469
; %bb.1468:
	global_load_ubyte v2, v[2:3], off
	s_waitcnt vmcnt(0)
	v_cvt_f64_u32_e32 v[6:7], v2
.LBB14_1469:
.LBB14_1470:
	s_and_b64 vcc, exec, s[2:3]
	v_pk_mov_b32 v[10:11], 0, 0
	s_cbranch_vccnz .LBB14_1480
; %bb.1471:
	v_cmp_lt_i64_e64 s[14:15], s[4:5], 1
	v_mov_b32_e32 v10, 0
	s_and_b64 vcc, exec, s[14:15]
	v_mov_b32_e32 v11, 0x3ff00000
	s_cbranch_vccnz .LBB14_1480
; %bb.1472:
	s_cmp_lg_u64 s[4:5], 1
	s_cbranch_scc0 .LBB14_1477
; %bb.1473:
	v_mov_b32_e32 v2, 0x200
	v_mov_b32_e32 v3, 0
	v_cmp_gt_u64_e32 vcc, s[4:5], v[2:3]
	v_mov_b32_e32 v10, 0
	v_mov_b32_e32 v11, 0x7ff80000
	s_cbranch_vccnz .LBB14_1476
; %bb.1474:
	v_mov_b32_e32 v2, 0
	s_mov_b64 s[14:15], 1
	v_mov_b32_e32 v3, 0x3ff00000
	s_waitcnt vmcnt(0)
	v_pk_mov_b32 v[10:11], v[6:7], v[6:7] op_sel:[0,1]
.LBB14_1475:                            ; =>This Inner Loop Header: Depth=1
	v_cvt_f64_u32_e32 v[14:15], s15
	v_cvt_f64_u32_e32 v[16:17], s14
	v_ldexp_f64 v[14:15], v[14:15], 32
	s_add_u32 s14, s14, 1
	v_add_f64 v[14:15], v[14:15], v[16:17]
	s_addc_u32 s15, s15, 0
	v_mul_f64 v[14:15], v[2:3], v[14:15]
	s_cmp_lg_u64 s[4:5], s[14:15]
	v_pk_mov_b32 v[2:3], v[10:11], v[10:11] op_sel:[0,1]
	v_fma_f64 v[10:11], v[6:7], v[10:11], -v[14:15]
	s_cbranch_scc1 .LBB14_1475
.LBB14_1476:
	s_mov_b64 s[14:15], 0
	s_branch .LBB14_1478
.LBB14_1477:
	s_mov_b64 s[14:15], -1
                                        ; implicit-def: $vgpr10_vgpr11
.LBB14_1478:
	s_andn2_b64 vcc, exec, s[14:15]
	s_cbranch_vccnz .LBB14_1480
; %bb.1479:
	s_waitcnt vmcnt(0)
	v_pk_mov_b32 v[10:11], v[6:7], v[6:7] op_sel:[0,1]
.LBB14_1480:
	v_add_u32_e32 v2, s13, v8
	v_ashrrev_i32_e32 v3, 31, v2
	s_waitcnt vmcnt(0)
	v_mov_b32_e32 v6, s11
	v_add_co_u32_e32 v2, vcc, s10, v2
	v_addc_co_u32_e32 v3, vcc, v6, v3, vcc
	s_and_b64 vcc, exec, s[0:1]
	s_cbranch_vccnz .LBB14_1487
; %bb.1481:
	v_cmp_lt_i16_e32 vcc, 25, v13
	s_mov_b64 s[10:11], 0
	s_cbranch_vccz .LBB14_1488
; %bb.1482:
	v_cmp_lt_i16_e32 vcc, 28, v13
	s_cbranch_vccz .LBB14_1489
; %bb.1483:
	v_cmp_lt_i16_e32 vcc, 43, v13
	;; [unrolled: 3-line block ×3, first 2 shown]
	s_cbranch_vccz .LBB14_1492
; %bb.1485:
	v_cmp_eq_u16_e32 vcc, 46, v13
	s_mov_b64 s[20:21], 0
	s_cbranch_vccz .LBB14_1493
; %bb.1486:
	global_load_dword v6, v[2:3], off
	s_mov_b64 s[0:1], 0
	s_mov_b64 s[14:15], -1
	s_waitcnt vmcnt(0)
	v_lshlrev_b32_e32 v6, 16, v6
	v_cvt_f64_f32_e32 v[6:7], v6
	s_branch .LBB14_1494
.LBB14_1487:
	s_mov_b64 s[0:1], -1
	s_mov_b64 s[14:15], 0
                                        ; implicit-def: $vgpr6_vgpr7
	s_branch .LBB14_1560
.LBB14_1488:
	s_mov_b64 s[20:21], -1
	s_mov_b64 s[14:15], 0
	s_mov_b64 s[0:1], 0
                                        ; implicit-def: $vgpr6_vgpr7
	s_branch .LBB14_1523
.LBB14_1489:
	s_mov_b64 s[20:21], -1
	s_mov_b64 s[14:15], 0
	s_mov_b64 s[0:1], 0
                                        ; implicit-def: $vgpr6_vgpr7
	s_branch .LBB14_1504
.LBB14_1490:
	s_mov_b64 s[20:21], -1
	s_mov_b64 s[14:15], 0
	s_mov_b64 s[0:1], 0
                                        ; implicit-def: $vgpr6_vgpr7
	s_branch .LBB14_1499
.LBB14_1491:
	s_trap 2
	s_or_b64 s[18:19], s[18:19], exec
                                        ; implicit-def: $vgpr6_vgpr7
	s_cbranch_execz .LBB14_1420
	s_branch .LBB14_1421
.LBB14_1492:
	s_mov_b64 s[20:21], -1
	s_mov_b64 s[14:15], 0
	s_mov_b64 s[0:1], 0
                                        ; implicit-def: $vgpr6_vgpr7
	s_branch .LBB14_1494
.LBB14_1493:
	s_mov_b64 s[0:1], -1
                                        ; implicit-def: $vgpr6_vgpr7
	s_mov_b64 s[14:15], 0
.LBB14_1494:
	s_and_b64 vcc, exec, s[20:21]
	s_cbranch_vccz .LBB14_1498
; %bb.1495:
	v_cmp_eq_u16_e32 vcc, 44, v13
	s_cbranch_vccz .LBB14_1497
; %bb.1496:
	global_load_ubyte v8, v[2:3], off
	s_movk_i32 s13, 0xff
	v_bfrev_b32_e32 v9, 4
	v_mov_b32_e32 v14, 0x7ff80000
	v_bfrev_b32_e32 v15, 28
	s_mov_b64 s[0:1], 0
	s_mov_b64 s[14:15], -1
	s_waitcnt vmcnt(0)
	v_lshlrev_b32_e32 v6, 23, v8
	v_cvt_f64_f32_e32 v[6:7], v6
	v_cmp_ne_u32_e32 vcc, s13, v8
	v_cndmask_b32_e32 v6, v9, v6, vcc
	v_cndmask_b32_e32 v7, v14, v7, vcc
	v_cmp_ne_u32_e32 vcc, 0, v8
	v_cndmask_b32_e32 v7, v15, v7, vcc
	v_cndmask_b32_e32 v6, 0, v6, vcc
	s_branch .LBB14_1498
.LBB14_1497:
	s_mov_b64 s[0:1], -1
                                        ; implicit-def: $vgpr6_vgpr7
.LBB14_1498:
	s_mov_b64 s[20:21], 0
.LBB14_1499:
	s_and_b64 vcc, exec, s[20:21]
	s_cbranch_vccz .LBB14_1503
; %bb.1500:
	v_cmp_eq_u16_e32 vcc, 29, v13
	s_cbranch_vccz .LBB14_1502
; %bb.1501:
	global_load_dwordx2 v[6:7], v[2:3], off
	s_mov_b64 s[0:1], 0
	s_mov_b64 s[14:15], -1
	s_mov_b64 s[20:21], 0
	s_waitcnt vmcnt(0)
	v_cvt_f64_u32_e32 v[8:9], v7
	v_cvt_f64_u32_e32 v[6:7], v6
	v_ldexp_f64 v[8:9], v[8:9], 32
	v_add_f64 v[6:7], v[8:9], v[6:7]
	s_branch .LBB14_1504
.LBB14_1502:
	s_mov_b64 s[0:1], -1
                                        ; implicit-def: $vgpr6_vgpr7
.LBB14_1503:
	s_mov_b64 s[20:21], 0
.LBB14_1504:
	s_and_b64 vcc, exec, s[20:21]
	s_cbranch_vccz .LBB14_1522
; %bb.1505:
	v_cmp_gt_i16_e32 vcc, 27, v13
	s_cbranch_vccnz .LBB14_1508
; %bb.1506:
	v_cmp_lt_i16_e32 vcc, 27, v13
	s_cbranch_vccz .LBB14_1509
; %bb.1507:
	global_load_dword v6, v[2:3], off
	s_mov_b64 s[14:15], 0
	s_waitcnt vmcnt(0)
	v_cvt_f64_u32_e32 v[6:7], v6
	s_branch .LBB14_1510
.LBB14_1508:
	s_mov_b64 s[14:15], -1
                                        ; implicit-def: $vgpr6_vgpr7
	s_branch .LBB14_1513
.LBB14_1509:
	s_mov_b64 s[14:15], -1
                                        ; implicit-def: $vgpr6_vgpr7
.LBB14_1510:
	s_andn2_b64 vcc, exec, s[14:15]
	s_cbranch_vccnz .LBB14_1512
; %bb.1511:
	global_load_ushort v6, v[2:3], off
	s_waitcnt vmcnt(0)
	v_cvt_f64_u32_e32 v[6:7], v6
.LBB14_1512:
	s_mov_b64 s[14:15], 0
.LBB14_1513:
	s_andn2_b64 vcc, exec, s[14:15]
	s_cbranch_vccnz .LBB14_1521
; %bb.1514:
	global_load_ubyte v8, v[2:3], off
	s_movk_i32 s13, 0x7f
	s_mov_b64 s[14:15], 0
                                        ; implicit-def: $sgpr20_sgpr21
	s_waitcnt vmcnt(0)
	v_cmp_lt_i16_e32 vcc, s13, v8
	s_and_saveexec_b64 s[22:23], vcc
	s_xor_b64 s[22:23], exec, s[22:23]
	s_cbranch_execz .LBB14_1535
; %bb.1515:
	s_movk_i32 s13, 0x80
	v_cmp_eq_u16_e32 vcc, s13, v8
	s_mov_b64 s[24:25], -1
                                        ; implicit-def: $sgpr20_sgpr21
	s_and_saveexec_b64 s[14:15], vcc
; %bb.1516:
	s_mov_b32 s21, 0x7ff80000
	s_brev_b32 s20, 4
	s_xor_b64 s[24:25], exec, -1
; %bb.1517:
	s_or_b64 exec, exec, s[14:15]
	s_and_b64 s[14:15], s[24:25], exec
	s_or_saveexec_b64 s[22:23], s[22:23]
	v_pk_mov_b32 v[6:7], s[20:21], s[20:21] op_sel:[0,1]
	s_xor_b64 exec, exec, s[22:23]
	s_cbranch_execnz .LBB14_1536
.LBB14_1518:
	s_or_b64 exec, exec, s[22:23]
	s_and_saveexec_b64 s[20:21], s[14:15]
	s_cbranch_execz .LBB14_1520
.LBB14_1519:
	v_and_b32_e32 v7, 0xffff, v8
	v_lshlrev_b32_e32 v6, 24, v8
	v_and_b32_e32 v8, 7, v7
	v_ffbh_u32_e32 v14, v8
	v_min_u32_e32 v14, 32, v14
	v_subrev_u32_e32 v15, 28, v14
	v_bfe_u32 v9, v7, 3, 4
	v_lshlrev_b32_e32 v7, v15, v7
	v_sub_u32_e32 v14, 29, v14
	v_and_b32_e32 v7, 7, v7
	v_cmp_eq_u32_e32 vcc, 0, v9
	v_cndmask_b32_e32 v9, v9, v14, vcc
	v_cndmask_b32_e32 v7, v8, v7, vcc
	v_mov_b32_e32 v8, 0x3b800000
	v_lshlrev_b32_e32 v7, 20, v7
	v_and_b32_e32 v6, 0x80000000, v6
	v_lshl_add_u32 v8, v9, 23, v8
	v_or3_b32 v6, v6, v8, v7
	v_cvt_f64_f32_e32 v[6:7], v6
.LBB14_1520:
	s_or_b64 exec, exec, s[20:21]
.LBB14_1521:
	s_mov_b64 s[14:15], -1
.LBB14_1522:
	s_mov_b64 s[20:21], 0
.LBB14_1523:
	s_and_b64 vcc, exec, s[20:21]
	s_cbranch_vccz .LBB14_1556
; %bb.1524:
	v_cmp_lt_i16_e32 vcc, 22, v13
	s_cbranch_vccz .LBB14_1534
; %bb.1525:
	v_cmp_gt_i16_e32 vcc, 24, v13
	s_cbranch_vccnz .LBB14_1537
; %bb.1526:
	v_cmp_lt_i16_e32 vcc, 24, v13
	s_cbranch_vccz .LBB14_1538
; %bb.1527:
	global_load_ubyte v8, v[2:3], off
	s_movk_i32 s10, 0x7f
                                        ; implicit-def: $sgpr14_sgpr15
	s_waitcnt vmcnt(0)
	v_cmp_lt_i16_e32 vcc, s10, v8
	s_mov_b64 s[10:11], 0
	s_and_saveexec_b64 s[20:21], vcc
	s_xor_b64 s[20:21], exec, s[20:21]
	s_cbranch_execz .LBB14_1550
; %bb.1528:
	s_movk_i32 s10, 0x80
	v_cmp_eq_u16_e32 vcc, s10, v8
	s_mov_b64 s[22:23], -1
                                        ; implicit-def: $sgpr14_sgpr15
	s_and_saveexec_b64 s[10:11], vcc
; %bb.1529:
	s_mov_b32 s15, 0x7ff80000
	s_brev_b32 s14, 4
	s_xor_b64 s[22:23], exec, -1
; %bb.1530:
	s_or_b64 exec, exec, s[10:11]
	s_and_b64 s[10:11], s[22:23], exec
	s_or_saveexec_b64 s[20:21], s[20:21]
	v_pk_mov_b32 v[6:7], s[14:15], s[14:15] op_sel:[0,1]
	s_xor_b64 exec, exec, s[20:21]
	s_cbranch_execnz .LBB14_1551
.LBB14_1531:
	s_or_b64 exec, exec, s[20:21]
	s_and_saveexec_b64 s[14:15], s[10:11]
	s_cbranch_execz .LBB14_1533
.LBB14_1532:
	v_and_b32_e32 v7, 0xffff, v8
	v_lshlrev_b32_e32 v6, 24, v8
	v_and_b32_e32 v8, 3, v7
	v_ffbh_u32_e32 v14, v8
	v_min_u32_e32 v14, 32, v14
	v_subrev_u32_e32 v15, 29, v14
	v_bfe_u32 v9, v7, 2, 5
	v_lshlrev_b32_e32 v7, v15, v7
	v_sub_u32_e32 v14, 30, v14
	v_and_b32_e32 v7, 3, v7
	v_cmp_eq_u32_e32 vcc, 0, v9
	v_cndmask_b32_e32 v9, v9, v14, vcc
	v_cndmask_b32_e32 v7, v8, v7, vcc
	v_mov_b32_e32 v8, 0x37800000
	v_lshlrev_b32_e32 v7, 21, v7
	v_and_b32_e32 v6, 0x80000000, v6
	v_lshl_add_u32 v8, v9, 23, v8
	v_or3_b32 v6, v6, v8, v7
	v_cvt_f64_f32_e32 v[6:7], v6
.LBB14_1533:
	s_or_b64 exec, exec, s[14:15]
	s_mov_b64 s[10:11], 0
	s_branch .LBB14_1539
.LBB14_1534:
	s_mov_b64 s[10:11], -1
                                        ; implicit-def: $vgpr6_vgpr7
	s_branch .LBB14_1545
.LBB14_1535:
	s_or_saveexec_b64 s[22:23], s[22:23]
	v_pk_mov_b32 v[6:7], s[20:21], s[20:21] op_sel:[0,1]
	s_xor_b64 exec, exec, s[22:23]
	s_cbranch_execz .LBB14_1518
.LBB14_1536:
	v_cmp_ne_u16_e32 vcc, 0, v8
	s_andn2_b64 s[14:15], s[14:15], exec
	s_and_b64 s[20:21], vcc, exec
	v_pk_mov_b32 v[6:7], 0, 0
	s_or_b64 s[14:15], s[14:15], s[20:21]
	s_or_b64 exec, exec, s[22:23]
	s_and_saveexec_b64 s[20:21], s[14:15]
	s_cbranch_execnz .LBB14_1519
	s_branch .LBB14_1520
.LBB14_1537:
	s_mov_b64 s[10:11], -1
                                        ; implicit-def: $vgpr6_vgpr7
	s_branch .LBB14_1542
.LBB14_1538:
	s_mov_b64 s[10:11], -1
                                        ; implicit-def: $vgpr6_vgpr7
.LBB14_1539:
	s_and_b64 vcc, exec, s[10:11]
	s_cbranch_vccz .LBB14_1541
; %bb.1540:
	global_load_ubyte v6, v[2:3], off
	s_mov_b32 s10, 0x7f800000
	s_waitcnt vmcnt(0)
	v_lshlrev_b32_e32 v6, 24, v6
	v_and_b32_e32 v7, 0x7f000000, v6
	v_ffbh_u32_e32 v8, v7
	v_min_u32_e32 v8, 32, v8
	v_sub_u32_e64 v8, v8, 4 clamp
	v_lshlrev_b32_e32 v14, v8, v7
	v_lshlrev_b32_e32 v8, 23, v8
	v_lshrrev_b32_e32 v14, 4, v14
	v_add_u32_e32 v9, 0x1000000, v7
	v_sub_u32_e32 v8, v14, v8
	v_ashrrev_i32_e32 v9, 8, v9
	v_add_u32_e32 v8, 0x3c000000, v8
	v_and_or_b32 v8, v9, s10, v8
	v_cmp_ne_u32_e32 vcc, 0, v7
	v_cndmask_b32_e32 v7, 0, v8, vcc
	s_brev_b32 s10, 1
	v_and_or_b32 v6, v6, s10, v7
	v_cvt_f64_f32_e32 v[6:7], v6
.LBB14_1541:
	s_mov_b64 s[10:11], 0
.LBB14_1542:
	s_andn2_b64 vcc, exec, s[10:11]
	s_cbranch_vccnz .LBB14_1544
; %bb.1543:
	global_load_ubyte v6, v[2:3], off
	s_movk_i32 s10, 0x7f00
	s_brev_b32 s11, 16
	s_waitcnt vmcnt(0)
	v_lshlrev_b16_e32 v7, 8, v6
	v_lshlrev_b32_e32 v6, 25, v6
	v_lshrrev_b32_e32 v8, 4, v6
	v_and_or_b32 v9, v7, s10, 0.5
	v_or_b32_e32 v8, 0x70000000, v8
	v_add_f32_e32 v9, -0.5, v9
	v_mul_f32_e32 v8, 0x7800000, v8
	v_cmp_gt_u32_e32 vcc, s11, v6
	v_bfe_i32 v7, v7, 0, 16
	v_cndmask_b32_e32 v6, v8, v9, vcc
	s_brev_b32 s10, 1
	v_and_or_b32 v6, v7, s10, v6
	v_cvt_f64_f32_e32 v[6:7], v6
.LBB14_1544:
	s_mov_b64 s[10:11], 0
	s_mov_b64 s[14:15], -1
.LBB14_1545:
	s_andn2_b64 vcc, exec, s[10:11]
	s_mov_b64 s[10:11], 0
	s_cbranch_vccnz .LBB14_1556
; %bb.1546:
	v_cmp_lt_i16_e32 vcc, 14, v13
	s_cbranch_vccz .LBB14_1549
; %bb.1547:
	v_cmp_eq_u16_e32 vcc, 15, v13
	s_cbranch_vccz .LBB14_1552
; %bb.1548:
	global_load_ushort v6, v[2:3], off
	s_mov_b64 s[0:1], 0
	s_mov_b64 s[14:15], -1
	s_waitcnt vmcnt(0)
	v_lshlrev_b32_e32 v6, 16, v6
	v_cvt_f64_f32_e32 v[6:7], v6
	s_branch .LBB14_1553
.LBB14_1549:
	s_mov_b64 s[20:21], -1
                                        ; implicit-def: $vgpr6_vgpr7
	s_branch .LBB14_1554
.LBB14_1550:
	s_or_saveexec_b64 s[20:21], s[20:21]
	v_pk_mov_b32 v[6:7], s[14:15], s[14:15] op_sel:[0,1]
	s_xor_b64 exec, exec, s[20:21]
	s_cbranch_execz .LBB14_1531
.LBB14_1551:
	v_cmp_ne_u16_e32 vcc, 0, v8
	s_andn2_b64 s[10:11], s[10:11], exec
	s_and_b64 s[14:15], vcc, exec
	v_pk_mov_b32 v[6:7], 0, 0
	s_or_b64 s[10:11], s[10:11], s[14:15]
	s_or_b64 exec, exec, s[20:21]
	s_and_saveexec_b64 s[14:15], s[10:11]
	s_cbranch_execnz .LBB14_1532
	s_branch .LBB14_1533
.LBB14_1552:
	s_mov_b64 s[0:1], -1
                                        ; implicit-def: $vgpr6_vgpr7
.LBB14_1553:
	s_mov_b64 s[20:21], 0
.LBB14_1554:
	s_and_b64 vcc, exec, s[20:21]
	s_cbranch_vccz .LBB14_1556
; %bb.1555:
	v_cmp_ne_u16_e64 s[0:1], 11, v13
	s_mov_b64 s[10:11], -1
                                        ; implicit-def: $vgpr6_vgpr7
.LBB14_1556:
	s_and_b64 vcc, exec, s[0:1]
	s_cbranch_vccnz .LBB14_1676
; %bb.1557:
	s_andn2_b64 vcc, exec, s[10:11]
	s_cbranch_vccnz .LBB14_1559
.LBB14_1558:
	global_load_ubyte v7, v[2:3], off
	v_mov_b32_e32 v8, 0x3ff00000
	v_mov_b32_e32 v6, 0
	s_mov_b64 s[14:15], -1
	s_waitcnt vmcnt(0)
	v_cmp_ne_u16_e32 vcc, 0, v7
	v_cndmask_b32_e32 v7, 0, v8, vcc
.LBB14_1559:
	s_mov_b64 s[0:1], 0
.LBB14_1560:
	s_and_b64 vcc, exec, s[0:1]
	s_cbranch_vccz .LBB14_1609
; %bb.1561:
	v_cmp_gt_i16_e32 vcc, 5, v13
	s_cbranch_vccnz .LBB14_1566
; %bb.1562:
	v_cmp_gt_i16_e32 vcc, 8, v13
	s_cbranch_vccnz .LBB14_1567
	;; [unrolled: 3-line block ×3, first 2 shown]
; %bb.1564:
	v_cmp_lt_i16_e32 vcc, 9, v13
	s_cbranch_vccz .LBB14_1569
; %bb.1565:
	global_load_dwordx2 v[6:7], v[2:3], off
	s_mov_b64 s[0:1], 0
	s_branch .LBB14_1570
.LBB14_1566:
	s_mov_b64 s[0:1], -1
                                        ; implicit-def: $vgpr6_vgpr7
	s_branch .LBB14_1588
.LBB14_1567:
	s_mov_b64 s[0:1], -1
                                        ; implicit-def: $vgpr6_vgpr7
	s_branch .LBB14_1576
.LBB14_1568:
	s_mov_b64 s[0:1], -1
                                        ; implicit-def: $vgpr6_vgpr7
	s_branch .LBB14_1573
.LBB14_1569:
	s_mov_b64 s[0:1], -1
                                        ; implicit-def: $vgpr6_vgpr7
.LBB14_1570:
	s_andn2_b64 vcc, exec, s[0:1]
	s_cbranch_vccnz .LBB14_1572
; %bb.1571:
	global_load_dword v6, v[2:3], off
	s_waitcnt vmcnt(0)
	v_cvt_f64_f32_e32 v[6:7], v6
.LBB14_1572:
	s_mov_b64 s[0:1], 0
.LBB14_1573:
	s_andn2_b64 vcc, exec, s[0:1]
	s_cbranch_vccnz .LBB14_1575
; %bb.1574:
	global_load_dword v6, v[2:3], off
	s_waitcnt vmcnt(0)
	v_cvt_f32_f16_e32 v6, v6
	v_cvt_f64_f32_e32 v[6:7], v6
.LBB14_1575:
	s_mov_b64 s[0:1], 0
.LBB14_1576:
	s_andn2_b64 vcc, exec, s[0:1]
	s_cbranch_vccnz .LBB14_1587
; %bb.1577:
	v_cmp_gt_i16_e32 vcc, 6, v13
	s_cbranch_vccnz .LBB14_1580
; %bb.1578:
	v_cmp_lt_i16_e32 vcc, 6, v13
	s_cbranch_vccz .LBB14_1581
; %bb.1579:
	global_load_dwordx2 v[6:7], v[2:3], off
	s_mov_b64 s[0:1], 0
	s_branch .LBB14_1582
.LBB14_1580:
	s_mov_b64 s[0:1], -1
                                        ; implicit-def: $vgpr6_vgpr7
	s_branch .LBB14_1585
.LBB14_1581:
	s_mov_b64 s[0:1], -1
                                        ; implicit-def: $vgpr6_vgpr7
.LBB14_1582:
	s_andn2_b64 vcc, exec, s[0:1]
	s_cbranch_vccnz .LBB14_1584
; %bb.1583:
	global_load_dword v6, v[2:3], off
	s_waitcnt vmcnt(0)
	v_cvt_f64_f32_e32 v[6:7], v6
.LBB14_1584:
	s_mov_b64 s[0:1], 0
.LBB14_1585:
	s_andn2_b64 vcc, exec, s[0:1]
	s_cbranch_vccnz .LBB14_1587
; %bb.1586:
	global_load_ushort v6, v[2:3], off
	s_waitcnt vmcnt(0)
	v_cvt_f32_f16_e32 v6, v6
	v_cvt_f64_f32_e32 v[6:7], v6
.LBB14_1587:
	s_mov_b64 s[0:1], 0
.LBB14_1588:
	s_andn2_b64 vcc, exec, s[0:1]
	s_cbranch_vccnz .LBB14_1608
; %bb.1589:
	v_cmp_gt_i16_e32 vcc, 2, v13
	s_cbranch_vccnz .LBB14_1593
; %bb.1590:
	v_cmp_gt_i16_e32 vcc, 3, v13
	s_cbranch_vccnz .LBB14_1594
; %bb.1591:
	v_cmp_lt_i16_e32 vcc, 3, v13
	s_cbranch_vccz .LBB14_1595
; %bb.1592:
	global_load_dwordx2 v[6:7], v[2:3], off
	s_mov_b64 s[0:1], 0
	s_waitcnt vmcnt(0)
	v_cvt_f64_i32_e32 v[8:9], v7
	v_cvt_f64_u32_e32 v[6:7], v6
	v_ldexp_f64 v[8:9], v[8:9], 32
	v_add_f64 v[6:7], v[8:9], v[6:7]
	s_branch .LBB14_1596
.LBB14_1593:
	s_mov_b64 s[0:1], -1
                                        ; implicit-def: $vgpr6_vgpr7
	s_branch .LBB14_1602
.LBB14_1594:
	s_mov_b64 s[0:1], -1
                                        ; implicit-def: $vgpr6_vgpr7
	s_branch .LBB14_1599
.LBB14_1595:
	s_mov_b64 s[0:1], -1
                                        ; implicit-def: $vgpr6_vgpr7
.LBB14_1596:
	s_andn2_b64 vcc, exec, s[0:1]
	s_cbranch_vccnz .LBB14_1598
; %bb.1597:
	global_load_dword v6, v[2:3], off
	s_waitcnt vmcnt(0)
	v_cvt_f64_i32_e32 v[6:7], v6
.LBB14_1598:
	s_mov_b64 s[0:1], 0
.LBB14_1599:
	s_andn2_b64 vcc, exec, s[0:1]
	s_cbranch_vccnz .LBB14_1601
; %bb.1600:
	global_load_sshort v6, v[2:3], off
	s_waitcnt vmcnt(0)
	v_cvt_f64_i32_e32 v[6:7], v6
.LBB14_1601:
	s_mov_b64 s[0:1], 0
.LBB14_1602:
	s_andn2_b64 vcc, exec, s[0:1]
	s_cbranch_vccnz .LBB14_1608
; %bb.1603:
	v_cmp_lt_i16_e32 vcc, 0, v13
	s_cbranch_vccz .LBB14_1605
; %bb.1604:
	global_load_sbyte v6, v[2:3], off
	s_mov_b64 s[0:1], 0
	s_waitcnt vmcnt(0)
	v_cvt_f64_i32_e32 v[6:7], v6
	s_branch .LBB14_1606
.LBB14_1605:
	s_mov_b64 s[0:1], -1
                                        ; implicit-def: $vgpr6_vgpr7
.LBB14_1606:
	s_andn2_b64 vcc, exec, s[0:1]
	s_cbranch_vccnz .LBB14_1608
; %bb.1607:
	global_load_ubyte v2, v[2:3], off
	s_waitcnt vmcnt(0)
	v_cvt_f64_u32_e32 v[6:7], v2
.LBB14_1608:
	s_mov_b64 s[14:15], -1
.LBB14_1609:
	s_andn2_b64 vcc, exec, s[14:15]
	s_cbranch_vccnz .LBB14_1617
; %bb.1610:
	s_and_b64 vcc, exec, s[2:3]
	v_pk_mov_b32 v[8:9], 0, 0
	s_cbranch_vccnz .LBB14_1666
; %bb.1611:
	v_cmp_lt_i64_e64 s[0:1], s[4:5], 1
	v_mov_b32_e32 v8, 0
	s_and_b64 vcc, exec, s[0:1]
	v_mov_b32_e32 v9, 0x3ff00000
	s_cbranch_vccnz .LBB14_1666
; %bb.1612:
	s_cmp_lg_u64 s[4:5], 1
	s_cbranch_scc0 .LBB14_1663
; %bb.1613:
	v_mov_b32_e32 v2, 0x200
	v_mov_b32_e32 v3, 0
	v_cmp_gt_u64_e32 vcc, s[4:5], v[2:3]
	v_mov_b32_e32 v8, 0
	v_mov_b32_e32 v9, 0x7ff80000
	s_cbranch_vccnz .LBB14_1616
; %bb.1614:
	v_mov_b32_e32 v2, 0
	s_mov_b64 s[0:1], 1
	v_mov_b32_e32 v3, 0x3ff00000
	s_waitcnt vmcnt(0)
	v_pk_mov_b32 v[8:9], v[6:7], v[6:7] op_sel:[0,1]
.LBB14_1615:                            ; =>This Inner Loop Header: Depth=1
	v_cvt_f64_u32_e32 v[14:15], s1
	v_cvt_f64_u32_e32 v[16:17], s0
	v_ldexp_f64 v[14:15], v[14:15], 32
	s_add_u32 s0, s0, 1
	v_add_f64 v[14:15], v[14:15], v[16:17]
	s_addc_u32 s1, s1, 0
	v_mul_f64 v[14:15], v[2:3], v[14:15]
	s_cmp_lg_u64 s[4:5], s[0:1]
	v_pk_mov_b32 v[2:3], v[8:9], v[8:9] op_sel:[0,1]
	v_fma_f64 v[8:9], v[6:7], v[8:9], -v[14:15]
	s_cbranch_scc1 .LBB14_1615
.LBB14_1616:
	s_mov_b64 s[0:1], 0
	s_branch .LBB14_1664
.LBB14_1617:
	s_mov_b64 s[0:1], 0
                                        ; implicit-def: $vgpr2
                                        ; implicit-def: $vgpr0_vgpr1
                                        ; implicit-def: $vgpr8_vgpr9
.LBB14_1618:
	s_mov_b64 s[2:3], 0
.LBB14_1619:
	s_and_b64 s[4:5], s[2:3], exec
	s_andn2_b64 s[2:3], s[16:17], exec
	s_and_b64 s[8:9], s[18:19], exec
	s_and_b64 s[0:1], s[0:1], exec
	s_or_b64 s[16:17], s[2:3], s[8:9]
.LBB14_1620:
	s_or_b64 exec, exec, s[6:7]
	s_and_saveexec_b64 s[2:3], s[16:17]
	s_cbranch_execz .LBB14_1623
; %bb.1621:
	; divergent unreachable
	s_or_b64 exec, exec, s[2:3]
	s_and_saveexec_b64 s[2:3], s[4:5]
	s_xor_b64 s[2:3], exec, s[2:3]
	s_cbranch_execnz .LBB14_1624
.LBB14_1622:
	s_or_b64 exec, exec, s[2:3]
	s_and_saveexec_b64 s[2:3], s[0:1]
	s_cbranch_execnz .LBB14_1625
	s_branch .LBB14_1662
.LBB14_1623:
	s_or_b64 exec, exec, s[2:3]
	s_and_saveexec_b64 s[2:3], s[4:5]
	s_xor_b64 s[2:3], exec, s[2:3]
	s_cbranch_execz .LBB14_1622
.LBB14_1624:
	v_cmp_neq_f64_e32 vcc, 0, v[8:9]
	s_waitcnt vmcnt(0)
	v_cndmask_b32_e64 v3, 0, 1, vcc
	global_store_byte v[0:1], v3, off
	s_or_b64 exec, exec, s[2:3]
	s_and_saveexec_b64 s[2:3], s[0:1]
	s_cbranch_execz .LBB14_1662
.LBB14_1625:
	s_waitcnt vmcnt(0)
	v_cmp_gt_i16_e32 vcc, 5, v2
	s_mov_b64 s[0:1], -1
	s_cbranch_vccnz .LBB14_1646
; %bb.1626:
	v_cmp_gt_i16_e32 vcc, 8, v2
	s_cbranch_vccnz .LBB14_1636
; %bb.1627:
	v_cmp_gt_i16_e32 vcc, 9, v2
	s_cbranch_vccnz .LBB14_1633
; %bb.1628:
	v_cmp_lt_i16_e32 vcc, 9, v2
	s_cbranch_vccz .LBB14_1630
; %bb.1629:
	v_mov_b32_e32 v10, 0
	v_mov_b32_e32 v11, v10
	global_store_dwordx4 v[0:1], v[8:11], off
	s_mov_b64 s[0:1], 0
.LBB14_1630:
	s_andn2_b64 vcc, exec, s[0:1]
	s_cbranch_vccnz .LBB14_1632
; %bb.1631:
	v_cvt_f32_f64_e32 v4, v[8:9]
	v_mov_b32_e32 v5, 0
	global_store_dwordx2 v[0:1], v[4:5], off
.LBB14_1632:
	s_mov_b64 s[0:1], 0
.LBB14_1633:
	s_andn2_b64 vcc, exec, s[0:1]
	s_cbranch_vccnz .LBB14_1635
; %bb.1634:
	v_cvt_f32_f64_e32 v3, v[8:9]
	v_cvt_f16_f32_e32 v3, v3
	global_store_dword v[0:1], v3, off
.LBB14_1635:
	s_mov_b64 s[0:1], 0
.LBB14_1636:
	s_andn2_b64 vcc, exec, s[0:1]
	s_cbranch_vccnz .LBB14_1645
; %bb.1637:
	v_cmp_gt_i16_e32 vcc, 6, v2
	s_mov_b64 s[0:1], -1
	s_cbranch_vccnz .LBB14_1643
; %bb.1638:
	v_cmp_lt_i16_e32 vcc, 6, v2
	s_cbranch_vccz .LBB14_1640
; %bb.1639:
	global_store_dwordx2 v[0:1], v[8:9], off
	s_mov_b64 s[0:1], 0
.LBB14_1640:
	s_andn2_b64 vcc, exec, s[0:1]
	s_cbranch_vccnz .LBB14_1642
; %bb.1641:
	v_cvt_f32_f64_e32 v3, v[8:9]
	global_store_dword v[0:1], v3, off
.LBB14_1642:
	s_mov_b64 s[0:1], 0
.LBB14_1643:
	s_andn2_b64 vcc, exec, s[0:1]
	s_cbranch_vccnz .LBB14_1645
; %bb.1644:
	v_cvt_f32_f64_e32 v3, v[8:9]
	v_cvt_f16_f32_e32 v3, v3
	global_store_short v[0:1], v3, off
.LBB14_1645:
	s_mov_b64 s[0:1], 0
.LBB14_1646:
	s_andn2_b64 vcc, exec, s[0:1]
	s_cbranch_vccnz .LBB14_1662
; %bb.1647:
	v_cmp_gt_i16_e32 vcc, 2, v2
	s_mov_b64 s[0:1], -1
	s_cbranch_vccnz .LBB14_1657
; %bb.1648:
	v_cmp_gt_i16_e32 vcc, 3, v2
	s_cbranch_vccnz .LBB14_1654
; %bb.1649:
	v_cmp_lt_i16_e32 vcc, 3, v2
	s_cbranch_vccz .LBB14_1651
; %bb.1650:
	v_trunc_f64_e32 v[4:5], v[8:9]
	s_movk_i32 s0, 0xffe0
	v_ldexp_f64 v[6:7], v[4:5], s0
	v_floor_f64_e32 v[6:7], v[6:7]
	v_fmac_f64_e32 v[4:5], 0xc1f00000, v[6:7]
	v_cvt_i32_f64_e32 v11, v[6:7]
	v_cvt_u32_f64_e32 v10, v[4:5]
	global_store_dwordx2 v[0:1], v[10:11], off
	s_mov_b64 s[0:1], 0
.LBB14_1651:
	s_andn2_b64 vcc, exec, s[0:1]
	s_cbranch_vccnz .LBB14_1653
; %bb.1652:
	v_cvt_i32_f64_e32 v3, v[8:9]
	global_store_dword v[0:1], v3, off
.LBB14_1653:
	s_mov_b64 s[0:1], 0
.LBB14_1654:
	s_andn2_b64 vcc, exec, s[0:1]
	s_cbranch_vccnz .LBB14_1656
; %bb.1655:
	v_cvt_i32_f64_e32 v3, v[8:9]
	global_store_short v[0:1], v3, off
.LBB14_1656:
	s_mov_b64 s[0:1], 0
.LBB14_1657:
	s_andn2_b64 vcc, exec, s[0:1]
	s_cbranch_vccnz .LBB14_1662
; %bb.1658:
	v_cmp_lt_i16_e32 vcc, 0, v2
	s_mov_b64 s[0:1], -1
	s_cbranch_vccz .LBB14_1660
; %bb.1659:
	v_cvt_i32_f64_e32 v2, v[8:9]
	global_store_byte v[0:1], v2, off
	s_mov_b64 s[0:1], 0
.LBB14_1660:
	s_andn2_b64 vcc, exec, s[0:1]
	s_cbranch_vccnz .LBB14_1662
; %bb.1661:
	v_trunc_f64_e32 v[2:3], v[8:9]
	s_movk_i32 s0, 0xffe0
	v_ldexp_f64 v[4:5], v[2:3], s0
	v_floor_f64_e32 v[4:5], v[4:5]
	v_fmac_f64_e32 v[2:3], 0xc1f00000, v[4:5]
	v_cvt_u32_f64_e32 v2, v[2:3]
	global_store_byte v[0:1], v2, off
	s_endpgm
.LBB14_1662:
	s_endpgm
.LBB14_1663:
	s_mov_b64 s[0:1], -1
                                        ; implicit-def: $vgpr8_vgpr9
.LBB14_1664:
	s_andn2_b64 vcc, exec, s[0:1]
	s_cbranch_vccnz .LBB14_1666
; %bb.1665:
	s_waitcnt vmcnt(0)
	v_pk_mov_b32 v[8:9], v[6:7], v[6:7] op_sel:[0,1]
.LBB14_1666:
	v_mul_lo_u32 v12, s12, v12
	v_ashrrev_i32_e32 v2, 31, v12
	v_mov_b32_e32 v3, s9
	s_waitcnt vmcnt(0)
	v_add_co_u32_e32 v6, vcc, s8, v12
	v_addc_co_u32_e32 v7, vcc, v3, v2, vcc
	v_mov_b32_e32 v2, 11
	v_cmp_lt_i16_sdwa s[0:1], s33, v2 src0_sel:BYTE_0 src1_sel:DWORD
	s_and_b64 vcc, exec, s[0:1]
	s_cbranch_vccnz .LBB14_1673
; %bb.1667:
	v_mov_b32_e32 v2, 25
	v_cmp_gt_i16_sdwa s[0:1], s33, v2 src0_sel:BYTE_0 src1_sel:DWORD
	s_mov_b64 s[10:11], -1
	s_mov_b64 s[2:3], 0
	s_and_b64 vcc, exec, s[0:1]
	s_mov_b64 s[4:5], 0
	s_mov_b64 s[0:1], 0
	s_cbranch_vccz .LBB14_1705
; %bb.1668:
	v_mov_b32_e32 v2, 28
	v_cmp_gt_i16_sdwa s[0:1], s33, v2 src0_sel:BYTE_0 src1_sel:DWORD
	s_and_b64 vcc, exec, s[0:1]
	s_cbranch_vccz .LBB14_1674
; %bb.1669:
	v_mov_b32_e32 v2, 43
	v_cmp_gt_i16_sdwa s[0:1], s33, v2 src0_sel:BYTE_0 src1_sel:DWORD
	s_and_b64 vcc, exec, s[0:1]
	s_cbranch_vccz .LBB14_1675
; %bb.1670:
	v_mov_b32_e32 v2, 45
	v_cmp_gt_i16_sdwa s[0:1], s33, v2 src0_sel:BYTE_0 src1_sel:DWORD
	s_and_b64 vcc, exec, s[0:1]
	s_cbranch_vccz .LBB14_1677
; %bb.1671:
	v_mov_b32_e32 v2, 46
	v_cmp_eq_u16_sdwa s[4:5], s33, v2 src0_sel:BYTE_0 src1_sel:DWORD
	s_mov_b64 s[0:1], -1
	s_mov_b64 s[10:11], 0
	s_and_b64 vcc, exec, s[4:5]
	s_mov_b64 s[4:5], 0
	s_cbranch_vccz .LBB14_1678
; %bb.1672:
	v_cvt_f32_f64_e32 v2, v[0:1]
	v_bfe_u32 v3, v2, 16, 1
	s_movk_i32 s0, 0x7fff
	v_add3_u32 v3, v2, v3, s0
	v_lshrrev_b32_e32 v3, 16, v3
	v_mov_b32_e32 v13, 0x7fc0
	v_cmp_o_f32_e32 vcc, v2, v2
	v_cndmask_b32_e32 v2, v13, v3, vcc
	global_store_dword v[6:7], v2, off
	s_mov_b64 s[0:1], 0
	s_mov_b64 s[4:5], -1
	s_branch .LBB14_1678
.LBB14_1673:
	s_mov_b64 s[0:1], -1
	s_mov_b64 s[4:5], 0
	s_branch .LBB14_1749
.LBB14_1674:
	s_mov_b64 s[0:1], 0
	s_branch .LBB14_1688
.LBB14_1675:
	s_mov_b64 s[0:1], 0
	s_branch .LBB14_1684
.LBB14_1676:
	s_trap 2
	s_or_b64 s[18:19], s[18:19], exec
                                        ; implicit-def: $vgpr6_vgpr7
	s_cbranch_execz .LBB14_1558
	s_branch .LBB14_1559
.LBB14_1677:
	s_mov_b64 s[0:1], 0
.LBB14_1678:
	s_and_b64 vcc, exec, s[10:11]
	s_cbranch_vccz .LBB14_1683
; %bb.1679:
	v_mov_b32_e32 v2, 44
	v_cmp_eq_u16_sdwa s[10:11], s33, v2 src0_sel:BYTE_0 src1_sel:DWORD
	s_mov_b64 s[0:1], -1
	s_and_b64 vcc, exec, s[10:11]
	s_cbranch_vccz .LBB14_1683
; %bb.1680:
	v_cvt_f32_f64_e32 v2, v[0:1]
	v_bfe_u32 v3, v2, 23, 8
	s_movk_i32 s0, 0xff
	v_cmp_ne_u32_e32 vcc, s0, v3
	v_mov_b32_e32 v13, 0xff
	s_and_saveexec_b64 s[4:5], vcc
; %bb.1681:
	s_mov_b32 s0, 0x3fffff
	v_lshrrev_b32_e32 v13, 23, v2
	v_and_b32_e32 v14, 0x400000, v2
	v_and_or_b32 v2, v2, s0, v3
	v_cmp_ne_u32_e32 vcc, 0, v14
	v_cmp_ne_u32_e64 s[0:1], 0, v2
	s_and_b64 s[0:1], vcc, s[0:1]
	v_cndmask_b32_e64 v2, 0, 1, s[0:1]
	v_add_u32_e32 v13, v13, v2
; %bb.1682:
	s_or_b64 exec, exec, s[4:5]
	s_mov_b64 s[0:1], 0
	s_mov_b64 s[4:5], -1
	global_store_byte v[6:7], v13, off
.LBB14_1683:
	s_mov_b64 s[10:11], 0
.LBB14_1684:
	s_and_b64 vcc, exec, s[10:11]
	s_cbranch_vccz .LBB14_1687
; %bb.1685:
	v_mov_b32_e32 v2, 29
	v_cmp_eq_u16_sdwa s[10:11], s33, v2 src0_sel:BYTE_0 src1_sel:DWORD
	s_mov_b64 s[0:1], -1
	s_and_b64 vcc, exec, s[10:11]
	s_cbranch_vccz .LBB14_1687
; %bb.1686:
	v_trunc_f64_e32 v[2:3], v[0:1]
	s_movk_i32 s0, 0xffe0
	v_ldexp_f64 v[14:15], v[2:3], s0
	v_floor_f64_e32 v[14:15], v[14:15]
	v_fmac_f64_e32 v[2:3], 0xc1f00000, v[14:15]
	v_cvt_u32_f64_e32 v17, v[14:15]
	v_cvt_u32_f64_e32 v16, v[2:3]
	global_store_dwordx2 v[6:7], v[16:17], off
	s_mov_b64 s[0:1], 0
	s_mov_b64 s[4:5], -1
.LBB14_1687:
	s_mov_b64 s[10:11], 0
.LBB14_1688:
	s_and_b64 vcc, exec, s[10:11]
	s_cbranch_vccz .LBB14_1704
; %bb.1689:
	v_mov_b32_e32 v2, 27
	v_cmp_lt_i16_sdwa s[10:11], s33, v2 src0_sel:BYTE_0 src1_sel:DWORD
	s_mov_b64 s[4:5], -1
	s_and_b64 vcc, exec, s[10:11]
	s_cbranch_vccnz .LBB14_1695
; %bb.1690:
	v_cmp_gt_i16_sdwa s[10:11], s33, v2 src0_sel:BYTE_0 src1_sel:DWORD
	s_and_b64 vcc, exec, s[10:11]
	v_cvt_u32_f64_e32 v2, v[0:1]
	s_cbranch_vccz .LBB14_1692
; %bb.1691:
	s_mov_b64 s[4:5], 0
	global_store_dword v[6:7], v2, off
.LBB14_1692:
	s_andn2_b64 vcc, exec, s[4:5]
	s_cbranch_vccnz .LBB14_1694
; %bb.1693:
	global_store_short v[6:7], v2, off
.LBB14_1694:
	s_mov_b64 s[4:5], 0
.LBB14_1695:
	s_andn2_b64 vcc, exec, s[4:5]
	s_cbranch_vccnz .LBB14_1703
; %bb.1696:
	v_cvt_f32_f64_e32 v2, v[0:1]
	v_and_b32_e32 v3, 0x7fffffff, v2
	s_mov_b32 s4, 0x43800000
	v_cmp_gt_u32_e32 vcc, s4, v3
	v_mov_b32_e32 v13, 0x80
	s_and_saveexec_b64 s[4:5], vcc
	s_cbranch_execz .LBB14_1702
; %bb.1697:
	s_mov_b32 s10, 0x3bffffff
	v_cmp_lt_u32_e32 vcc, s10, v3
	s_mov_b64 s[10:11], 0
                                        ; implicit-def: $vgpr3
	s_and_saveexec_b64 s[14:15], vcc
	s_xor_b64 s[14:15], exec, s[14:15]
	s_cbranch_execz .LBB14_1798
; %bb.1698:
	v_bfe_u32 v3, v2, 20, 1
	s_mov_b32 s13, 0x487ffff
	v_add3_u32 v3, v2, v3, s13
	s_mov_b64 s[10:11], exec
	v_lshrrev_b32_e32 v3, 20, v3
	s_or_saveexec_b64 s[14:15], s[14:15]
                                        ; implicit-def: $sgpr13
	s_xor_b64 exec, exec, s[14:15]
	s_cbranch_execnz .LBB14_1799
.LBB14_1699:
	s_or_b64 exec, exec, s[14:15]
	v_mov_b32_e32 v13, s13
	s_and_saveexec_b64 s[14:15], s[10:11]
.LBB14_1700:
	v_lshrrev_b32_e32 v2, 24, v2
	s_movk_i32 s10, 0x80
	v_and_or_b32 v13, v2, s10, v3
.LBB14_1701:
	s_or_b64 exec, exec, s[14:15]
.LBB14_1702:
	s_or_b64 exec, exec, s[4:5]
	global_store_byte v[6:7], v13, off
.LBB14_1703:
	s_mov_b64 s[4:5], -1
.LBB14_1704:
	s_mov_b64 s[10:11], 0
.LBB14_1705:
	s_and_b64 vcc, exec, s[10:11]
	s_cbranch_vccz .LBB14_1745
; %bb.1706:
	v_mov_b32_e32 v2, 22
	v_cmp_gt_i16_sdwa s[10:11], s33, v2 src0_sel:BYTE_0 src1_sel:DWORD
	s_mov_b64 s[2:3], -1
	s_and_b64 vcc, exec, s[10:11]
	s_cbranch_vccz .LBB14_1738
; %bb.1707:
	v_mov_b32_e32 v2, 24
	v_cmp_lt_i16_sdwa s[4:5], s33, v2 src0_sel:BYTE_0 src1_sel:DWORD
	s_and_b64 vcc, exec, s[4:5]
	s_cbranch_vccnz .LBB14_1727
; %bb.1708:
	v_cmp_gt_i16_sdwa s[4:5], s33, v2 src0_sel:BYTE_0 src1_sel:DWORD
	s_and_b64 vcc, exec, s[4:5]
	s_cbranch_vccz .LBB14_1716
; %bb.1709:
	v_cvt_f32_f64_e32 v2, v[0:1]
	v_and_b32_e32 v3, 0x7fffffff, v2
	s_mov_b32 s2, 0x47800000
	v_cmp_gt_u32_e32 vcc, s2, v3
	v_mov_b32_e32 v13, 0x80
	s_and_saveexec_b64 s[2:3], vcc
	s_cbranch_execz .LBB14_1715
; %bb.1710:
	s_mov_b32 s4, 0x37ffffff
	v_cmp_lt_u32_e32 vcc, s4, v3
	s_mov_b64 s[4:5], 0
                                        ; implicit-def: $vgpr3
	s_and_saveexec_b64 s[10:11], vcc
	s_xor_b64 s[10:11], exec, s[10:11]
	s_cbranch_execz .LBB14_1802
; %bb.1711:
	v_bfe_u32 v3, v2, 21, 1
	s_mov_b32 s13, 0x88fffff
	v_add3_u32 v3, v2, v3, s13
	s_mov_b64 s[4:5], exec
	v_lshrrev_b32_e32 v3, 21, v3
	s_or_saveexec_b64 s[10:11], s[10:11]
                                        ; implicit-def: $sgpr13
	s_xor_b64 exec, exec, s[10:11]
	s_cbranch_execnz .LBB14_1803
.LBB14_1712:
	s_or_b64 exec, exec, s[10:11]
	v_mov_b32_e32 v13, s13
	s_and_saveexec_b64 s[10:11], s[4:5]
.LBB14_1713:
	v_lshrrev_b32_e32 v2, 24, v2
	s_movk_i32 s4, 0x80
	v_and_or_b32 v13, v2, s4, v3
.LBB14_1714:
	s_or_b64 exec, exec, s[10:11]
.LBB14_1715:
	s_or_b64 exec, exec, s[2:3]
	s_mov_b64 s[2:3], 0
	global_store_byte v[6:7], v13, off
.LBB14_1716:
	s_and_b64 vcc, exec, s[2:3]
	s_cbranch_vccz .LBB14_1726
; %bb.1717:
	v_cvt_f32_f64_e32 v2, v[0:1]
	v_and_b32_e32 v13, 0x7fffffff, v2
	s_mov_b32 s2, 0x43f00000
	v_cmp_gt_u32_e32 vcc, s2, v13
                                        ; implicit-def: $vgpr3
	s_and_saveexec_b64 s[2:3], vcc
	s_xor_b64 s[2:3], exec, s[2:3]
	s_cbranch_execz .LBB14_1723
; %bb.1718:
	s_mov_b32 s4, 0x3c7fffff
	v_cmp_lt_u32_e32 vcc, s4, v13
                                        ; implicit-def: $vgpr3
	s_and_saveexec_b64 s[4:5], vcc
	s_xor_b64 s[4:5], exec, s[4:5]
; %bb.1719:
	v_bfe_u32 v3, v2, 20, 1
	s_mov_b32 s10, 0x407ffff
	v_add3_u32 v3, v2, v3, s10
	v_lshrrev_b32_e32 v13, 20, v3
	v_and_b32_e32 v3, 0xff00000, v3
	s_mov_b32 s10, 0x7f00000
	v_mov_b32_e32 v14, 0x7e
	v_cmp_ne_u32_e32 vcc, s10, v3
	v_cndmask_b32_e32 v3, v14, v13, vcc
; %bb.1720:
	s_andn2_saveexec_b64 s[4:5], s[4:5]
; %bb.1721:
	s_mov_b32 s10, 0x46800000
	v_add_f32_e64 v3, |v2|, s10
; %bb.1722:
	s_or_b64 exec, exec, s[4:5]
                                        ; implicit-def: $vgpr13
.LBB14_1723:
	s_andn2_saveexec_b64 s[2:3], s[2:3]
; %bb.1724:
	s_mov_b32 s4, 0x7f800000
	v_mov_b32_e32 v3, 0x7e
	v_mov_b32_e32 v14, 0x7f
	v_cmp_lt_u32_e32 vcc, s4, v13
	v_cndmask_b32_e32 v3, v3, v14, vcc
; %bb.1725:
	s_or_b64 exec, exec, s[2:3]
	v_lshrrev_b32_e32 v2, 24, v2
	s_movk_i32 s2, 0x80
	v_and_or_b32 v2, v2, s2, v3
	global_store_byte v[6:7], v2, off
.LBB14_1726:
	s_mov_b64 s[2:3], 0
.LBB14_1727:
	s_andn2_b64 vcc, exec, s[2:3]
	s_cbranch_vccnz .LBB14_1737
; %bb.1728:
	v_cvt_f32_f64_e32 v2, v[0:1]
	v_and_b32_e32 v13, 0x7fffffff, v2
	s_mov_b32 s2, 0x47800000
	v_cmp_gt_u32_e32 vcc, s2, v13
                                        ; implicit-def: $vgpr3
	s_and_saveexec_b64 s[2:3], vcc
	s_xor_b64 s[2:3], exec, s[2:3]
	s_cbranch_execz .LBB14_1734
; %bb.1729:
	s_mov_b32 s4, 0x387fffff
	v_cmp_lt_u32_e32 vcc, s4, v13
                                        ; implicit-def: $vgpr3
	s_and_saveexec_b64 s[4:5], vcc
	s_xor_b64 s[4:5], exec, s[4:5]
; %bb.1730:
	v_bfe_u32 v3, v2, 21, 1
	s_mov_b32 s10, 0x80fffff
	v_add3_u32 v3, v2, v3, s10
	v_lshrrev_b32_e32 v3, 21, v3
; %bb.1731:
	s_andn2_saveexec_b64 s[4:5], s[4:5]
; %bb.1732:
	s_mov_b32 s10, 0x43000000
	v_add_f32_e64 v3, |v2|, s10
; %bb.1733:
	s_or_b64 exec, exec, s[4:5]
                                        ; implicit-def: $vgpr13
.LBB14_1734:
	s_andn2_saveexec_b64 s[2:3], s[2:3]
; %bb.1735:
	s_mov_b32 s4, 0x7f800000
	v_mov_b32_e32 v3, 0x7c
	v_mov_b32_e32 v14, 0x7f
	v_cmp_lt_u32_e32 vcc, s4, v13
	v_cndmask_b32_e32 v3, v3, v14, vcc
; %bb.1736:
	s_or_b64 exec, exec, s[2:3]
	v_lshrrev_b32_e32 v2, 24, v2
	s_movk_i32 s2, 0x80
	v_and_or_b32 v2, v2, s2, v3
	global_store_byte v[6:7], v2, off
.LBB14_1737:
	s_mov_b64 s[2:3], 0
	s_mov_b64 s[4:5], -1
.LBB14_1738:
	s_andn2_b64 vcc, exec, s[2:3]
	s_mov_b64 s[2:3], 0
	s_cbranch_vccnz .LBB14_1745
; %bb.1739:
	v_mov_b32_e32 v2, 14
	v_cmp_gt_i16_sdwa s[2:3], s33, v2 src0_sel:BYTE_0 src1_sel:DWORD
	s_mov_b64 s[10:11], -1
	s_and_b64 vcc, exec, s[2:3]
	s_cbranch_vccz .LBB14_1743
; %bb.1740:
	v_mov_b32_e32 v2, 15
	v_cmp_eq_u16_sdwa s[2:3], s33, v2 src0_sel:BYTE_0 src1_sel:DWORD
	s_mov_b64 s[0:1], -1
	s_and_b64 vcc, exec, s[2:3]
	s_cbranch_vccz .LBB14_1742
; %bb.1741:
	v_cvt_f32_f64_e32 v2, v[0:1]
	v_bfe_u32 v3, v2, 16, 1
	s_movk_i32 s0, 0x7fff
	v_add3_u32 v3, v2, v3, s0
	v_lshrrev_b32_e32 v3, 16, v3
	v_mov_b32_e32 v13, 0x7fc0
	v_cmp_o_f32_e32 vcc, v2, v2
	v_cndmask_b32_e32 v2, v13, v3, vcc
	global_store_short v[6:7], v2, off
	s_mov_b64 s[0:1], 0
	s_mov_b64 s[4:5], -1
.LBB14_1742:
	s_mov_b64 s[10:11], 0
.LBB14_1743:
	s_mov_b64 s[2:3], 0
	s_and_b64 vcc, exec, s[10:11]
	s_cbranch_vccz .LBB14_1745
; %bb.1744:
	v_mov_b32_e32 v2, 11
	v_cmp_ne_u16_sdwa s[0:1], s33, v2 src0_sel:BYTE_0 src1_sel:DWORD
	s_mov_b64 s[2:3], -1
.LBB14_1745:
	s_and_b64 vcc, exec, s[0:1]
	s_cbranch_vccnz .LBB14_1801
; %bb.1746:
	s_andn2_b64 vcc, exec, s[2:3]
	s_cbranch_vccnz .LBB14_1748
.LBB14_1747:
	v_cmp_neq_f64_e32 vcc, 0, v[0:1]
	v_cndmask_b32_e64 v2, 0, 1, vcc
	s_mov_b64 s[4:5], -1
	global_store_byte v[6:7], v2, off
.LBB14_1748:
	s_mov_b64 s[0:1], 0
.LBB14_1749:
	s_and_b64 vcc, exec, s[0:1]
	s_cbranch_vccz .LBB14_1788
; %bb.1750:
	v_mov_b32_e32 v2, 5
	v_cmp_lt_i16_sdwa s[2:3], s33, v2 src0_sel:BYTE_0 src1_sel:DWORD
	s_mov_b64 s[0:1], -1
	s_and_b64 vcc, exec, s[2:3]
	s_cbranch_vccnz .LBB14_1771
; %bb.1751:
	v_mov_b32_e32 v2, 8
	v_cmp_lt_i16_sdwa s[2:3], s33, v2 src0_sel:BYTE_0 src1_sel:DWORD
	s_and_b64 vcc, exec, s[2:3]
	s_cbranch_vccnz .LBB14_1761
; %bb.1752:
	v_mov_b32_e32 v2, 9
	v_cmp_lt_i16_sdwa s[2:3], s33, v2 src0_sel:BYTE_0 src1_sel:DWORD
	s_and_b64 vcc, exec, s[2:3]
	s_cbranch_vccnz .LBB14_1758
; %bb.1753:
	v_cmp_gt_i16_sdwa s[2:3], s33, v2 src0_sel:BYTE_0 src1_sel:DWORD
	s_and_b64 vcc, exec, s[2:3]
	s_cbranch_vccz .LBB14_1755
; %bb.1754:
	v_mov_b32_e32 v2, 0
	v_mov_b32_e32 v3, v2
	global_store_dwordx4 v[6:7], v[0:3], off
	s_mov_b64 s[0:1], 0
.LBB14_1755:
	s_andn2_b64 vcc, exec, s[0:1]
	s_cbranch_vccnz .LBB14_1757
; %bb.1756:
	v_cvt_f32_f64_e32 v2, v[0:1]
	v_mov_b32_e32 v3, 0
	global_store_dwordx2 v[6:7], v[2:3], off
.LBB14_1757:
	s_mov_b64 s[0:1], 0
.LBB14_1758:
	s_andn2_b64 vcc, exec, s[0:1]
	s_cbranch_vccnz .LBB14_1760
; %bb.1759:
	v_cvt_f32_f64_e32 v2, v[0:1]
	v_cvt_f16_f32_e32 v2, v2
	global_store_dword v[6:7], v2, off
.LBB14_1760:
	s_mov_b64 s[0:1], 0
.LBB14_1761:
	s_andn2_b64 vcc, exec, s[0:1]
	s_cbranch_vccnz .LBB14_1770
; %bb.1762:
	v_mov_b32_e32 v2, 6
	v_cmp_lt_i16_sdwa s[2:3], s33, v2 src0_sel:BYTE_0 src1_sel:DWORD
	s_mov_b64 s[0:1], -1
	s_and_b64 vcc, exec, s[2:3]
	s_cbranch_vccnz .LBB14_1768
; %bb.1763:
	v_cmp_gt_i16_sdwa s[2:3], s33, v2 src0_sel:BYTE_0 src1_sel:DWORD
	s_and_b64 vcc, exec, s[2:3]
	s_cbranch_vccz .LBB14_1765
; %bb.1764:
	global_store_dwordx2 v[6:7], v[0:1], off
	s_mov_b64 s[0:1], 0
.LBB14_1765:
	s_andn2_b64 vcc, exec, s[0:1]
	s_cbranch_vccnz .LBB14_1767
; %bb.1766:
	v_cvt_f32_f64_e32 v2, v[0:1]
	global_store_dword v[6:7], v2, off
.LBB14_1767:
	s_mov_b64 s[0:1], 0
.LBB14_1768:
	s_andn2_b64 vcc, exec, s[0:1]
	s_cbranch_vccnz .LBB14_1770
; %bb.1769:
	v_cvt_f32_f64_e32 v2, v[0:1]
	v_cvt_f16_f32_e32 v2, v2
	global_store_short v[6:7], v2, off
.LBB14_1770:
	s_mov_b64 s[0:1], 0
.LBB14_1771:
	s_andn2_b64 vcc, exec, s[0:1]
	s_cbranch_vccnz .LBB14_1787
; %bb.1772:
	v_mov_b32_e32 v2, 2
	v_cmp_lt_i16_sdwa s[2:3], s33, v2 src0_sel:BYTE_0 src1_sel:DWORD
	s_mov_b64 s[0:1], -1
	s_and_b64 vcc, exec, s[2:3]
	s_cbranch_vccnz .LBB14_1782
; %bb.1773:
	v_mov_b32_e32 v2, 3
	v_cmp_lt_i16_sdwa s[2:3], s33, v2 src0_sel:BYTE_0 src1_sel:DWORD
	s_and_b64 vcc, exec, s[2:3]
	s_cbranch_vccnz .LBB14_1779
; %bb.1774:
	v_cmp_gt_i16_sdwa s[2:3], s33, v2 src0_sel:BYTE_0 src1_sel:DWORD
	s_and_b64 vcc, exec, s[2:3]
	s_cbranch_vccz .LBB14_1776
; %bb.1775:
	v_trunc_f64_e32 v[2:3], v[0:1]
	s_movk_i32 s0, 0xffe0
	v_ldexp_f64 v[14:15], v[2:3], s0
	v_floor_f64_e32 v[14:15], v[14:15]
	v_fmac_f64_e32 v[2:3], 0xc1f00000, v[14:15]
	v_cvt_i32_f64_e32 v17, v[14:15]
	v_cvt_u32_f64_e32 v16, v[2:3]
	global_store_dwordx2 v[6:7], v[16:17], off
	s_mov_b64 s[0:1], 0
.LBB14_1776:
	s_andn2_b64 vcc, exec, s[0:1]
	s_cbranch_vccnz .LBB14_1778
; %bb.1777:
	v_cvt_i32_f64_e32 v2, v[0:1]
	global_store_dword v[6:7], v2, off
.LBB14_1778:
	s_mov_b64 s[0:1], 0
.LBB14_1779:
	s_andn2_b64 vcc, exec, s[0:1]
	s_cbranch_vccnz .LBB14_1781
; %bb.1780:
	v_cvt_i32_f64_e32 v2, v[0:1]
	global_store_short v[6:7], v2, off
.LBB14_1781:
	s_mov_b64 s[0:1], 0
.LBB14_1782:
	s_andn2_b64 vcc, exec, s[0:1]
	s_cbranch_vccnz .LBB14_1787
; %bb.1783:
	v_mov_b32_e32 v2, 0
	v_cmp_gt_i16_sdwa s[2:3], s33, v2 src0_sel:BYTE_0 src1_sel:DWORD
	s_mov_b64 s[0:1], -1
	s_and_b64 vcc, exec, s[2:3]
	s_cbranch_vccz .LBB14_1785
; %bb.1784:
	v_cvt_i32_f64_e32 v2, v[0:1]
	global_store_byte v[6:7], v2, off
	s_mov_b64 s[0:1], 0
.LBB14_1785:
	s_andn2_b64 vcc, exec, s[0:1]
	s_cbranch_vccnz .LBB14_1787
; %bb.1786:
	v_trunc_f64_e32 v[0:1], v[0:1]
	s_movk_i32 s0, 0xffe0
	v_ldexp_f64 v[2:3], v[0:1], s0
	v_floor_f64_e32 v[2:3], v[2:3]
	v_fmac_f64_e32 v[0:1], 0xc1f00000, v[2:3]
	v_cvt_u32_f64_e32 v0, v[0:1]
	global_store_byte v[6:7], v0, off
.LBB14_1787:
	s_mov_b64 s[4:5], -1
.LBB14_1788:
	s_andn2_b64 vcc, exec, s[4:5]
	s_cbranch_vccnz .LBB14_2119
; %bb.1789:
	s_lshl_b32 s14, s12, 7
	v_add_u32_e32 v2, s14, v12
	v_ashrrev_i32_e32 v1, 31, v2
	v_mov_b32_e32 v3, s9
	v_add_co_u32_e32 v0, vcc, s8, v2
	v_addc_co_u32_e32 v1, vcc, v3, v1, vcc
	v_mov_b32_e32 v3, 11
	v_cmp_lt_i16_sdwa s[0:1], s33, v3 src0_sel:BYTE_0 src1_sel:DWORD
	s_and_b64 vcc, exec, s[0:1]
	s_cbranch_vccnz .LBB14_1796
; %bb.1790:
	v_mov_b32_e32 v3, 25
	v_cmp_gt_i16_sdwa s[0:1], s33, v3 src0_sel:BYTE_0 src1_sel:DWORD
	s_mov_b64 s[10:11], -1
	s_mov_b64 s[2:3], 0
	s_and_b64 vcc, exec, s[0:1]
	s_mov_b64 s[4:5], 0
	s_mov_b64 s[0:1], 0
	s_cbranch_vccz .LBB14_1832
; %bb.1791:
	v_mov_b32_e32 v3, 28
	v_cmp_gt_i16_sdwa s[0:1], s33, v3 src0_sel:BYTE_0 src1_sel:DWORD
	s_and_b64 vcc, exec, s[0:1]
	s_cbranch_vccz .LBB14_1797
; %bb.1792:
	v_mov_b32_e32 v3, 43
	v_cmp_gt_i16_sdwa s[0:1], s33, v3 src0_sel:BYTE_0 src1_sel:DWORD
	s_and_b64 vcc, exec, s[0:1]
	;; [unrolled: 5-line block ×3, first 2 shown]
	s_cbranch_vccz .LBB14_1804
; %bb.1794:
	v_mov_b32_e32 v3, 46
	v_cmp_eq_u16_sdwa s[4:5], s33, v3 src0_sel:BYTE_0 src1_sel:DWORD
	s_mov_b64 s[0:1], -1
	s_mov_b64 s[10:11], 0
	s_and_b64 vcc, exec, s[4:5]
	s_mov_b64 s[4:5], 0
	s_cbranch_vccz .LBB14_1805
; %bb.1795:
	v_cvt_f32_f64_e32 v3, v[4:5]
	v_bfe_u32 v6, v3, 16, 1
	s_movk_i32 s0, 0x7fff
	v_add3_u32 v6, v3, v6, s0
	v_lshrrev_b32_e32 v6, 16, v6
	v_mov_b32_e32 v7, 0x7fc0
	v_cmp_o_f32_e32 vcc, v3, v3
	v_cndmask_b32_e32 v3, v7, v6, vcc
	global_store_dword v[0:1], v3, off
	s_mov_b64 s[0:1], 0
	s_mov_b64 s[4:5], -1
	s_branch .LBB14_1805
.LBB14_1796:
	s_mov_b64 s[0:1], -1
	s_mov_b64 s[4:5], 0
	s_branch .LBB14_1876
.LBB14_1797:
	s_mov_b64 s[0:1], 0
	s_branch .LBB14_1815
.LBB14_1798:
	s_or_saveexec_b64 s[14:15], s[14:15]
                                        ; implicit-def: $sgpr13
	s_xor_b64 exec, exec, s[14:15]
	s_cbranch_execz .LBB14_1699
.LBB14_1799:
	s_mov_b32 s13, 0x46000000
	v_add_f32_e64 v3, |v2|, s13
	v_and_b32_e32 v3, 0xff, v3
	v_cmp_ne_u32_e32 vcc, 0, v3
	s_andn2_b64 s[10:11], s[10:11], exec
	s_and_b64 s[20:21], vcc, exec
	s_mov_b32 s13, 0
	s_or_b64 s[10:11], s[10:11], s[20:21]
	s_or_b64 exec, exec, s[14:15]
	v_mov_b32_e32 v13, s13
	s_and_saveexec_b64 s[14:15], s[10:11]
	s_cbranch_execnz .LBB14_1700
	s_branch .LBB14_1701
.LBB14_1800:
	s_mov_b64 s[0:1], 0
	s_branch .LBB14_1811
.LBB14_1801:
	s_trap 2
	s_or_b64 s[18:19], s[18:19], exec
	s_cbranch_execz .LBB14_1747
	s_branch .LBB14_1748
.LBB14_1802:
	s_or_saveexec_b64 s[10:11], s[10:11]
                                        ; implicit-def: $sgpr13
	s_xor_b64 exec, exec, s[10:11]
	s_cbranch_execz .LBB14_1712
.LBB14_1803:
	s_mov_b32 s13, 0x42800000
	v_add_f32_e64 v3, |v2|, s13
	v_and_b32_e32 v3, 0xff, v3
	v_cmp_ne_u32_e32 vcc, 0, v3
	s_andn2_b64 s[4:5], s[4:5], exec
	s_and_b64 s[14:15], vcc, exec
	s_mov_b32 s13, 0
	s_or_b64 s[4:5], s[4:5], s[14:15]
	s_or_b64 exec, exec, s[10:11]
	v_mov_b32_e32 v13, s13
	s_and_saveexec_b64 s[10:11], s[4:5]
	s_cbranch_execnz .LBB14_1713
	s_branch .LBB14_1714
.LBB14_1804:
	s_mov_b64 s[0:1], 0
.LBB14_1805:
	s_and_b64 vcc, exec, s[10:11]
	s_cbranch_vccz .LBB14_1810
; %bb.1806:
	v_mov_b32_e32 v3, 44
	v_cmp_eq_u16_sdwa s[10:11], s33, v3 src0_sel:BYTE_0 src1_sel:DWORD
	s_mov_b64 s[0:1], -1
	s_and_b64 vcc, exec, s[10:11]
	s_cbranch_vccz .LBB14_1810
; %bb.1807:
	v_cvt_f32_f64_e32 v3, v[4:5]
	v_bfe_u32 v6, v3, 23, 8
	s_movk_i32 s0, 0xff
	v_cmp_ne_u32_e32 vcc, s0, v6
	v_mov_b32_e32 v7, 0xff
	s_and_saveexec_b64 s[4:5], vcc
; %bb.1808:
	s_mov_b32 s0, 0x3fffff
	v_lshrrev_b32_e32 v7, 23, v3
	v_and_b32_e32 v12, 0x400000, v3
	v_and_or_b32 v3, v3, s0, v6
	v_cmp_ne_u32_e32 vcc, 0, v12
	v_cmp_ne_u32_e64 s[0:1], 0, v3
	s_and_b64 s[0:1], vcc, s[0:1]
	v_cndmask_b32_e64 v3, 0, 1, s[0:1]
	v_add_u32_e32 v7, v7, v3
; %bb.1809:
	s_or_b64 exec, exec, s[4:5]
	s_mov_b64 s[0:1], 0
	s_mov_b64 s[4:5], -1
	global_store_byte v[0:1], v7, off
.LBB14_1810:
	s_mov_b64 s[10:11], 0
.LBB14_1811:
	s_and_b64 vcc, exec, s[10:11]
	s_cbranch_vccz .LBB14_1814
; %bb.1812:
	v_mov_b32_e32 v3, 29
	v_cmp_eq_u16_sdwa s[10:11], s33, v3 src0_sel:BYTE_0 src1_sel:DWORD
	s_mov_b64 s[0:1], -1
	s_and_b64 vcc, exec, s[10:11]
	s_cbranch_vccz .LBB14_1814
; %bb.1813:
	v_trunc_f64_e32 v[6:7], v[4:5]
	s_movk_i32 s0, 0xffe0
	v_ldexp_f64 v[12:13], v[6:7], s0
	v_floor_f64_e32 v[12:13], v[12:13]
	v_fmac_f64_e32 v[6:7], 0xc1f00000, v[12:13]
	v_cvt_u32_f64_e32 v15, v[12:13]
	v_cvt_u32_f64_e32 v14, v[6:7]
	global_store_dwordx2 v[0:1], v[14:15], off
	s_mov_b64 s[0:1], 0
	s_mov_b64 s[4:5], -1
.LBB14_1814:
	s_mov_b64 s[10:11], 0
.LBB14_1815:
	s_and_b64 vcc, exec, s[10:11]
	s_cbranch_vccz .LBB14_1831
; %bb.1816:
	v_mov_b32_e32 v3, 27
	v_cmp_lt_i16_sdwa s[10:11], s33, v3 src0_sel:BYTE_0 src1_sel:DWORD
	s_mov_b64 s[4:5], -1
	s_and_b64 vcc, exec, s[10:11]
	s_cbranch_vccnz .LBB14_1822
; %bb.1817:
	v_cmp_gt_i16_sdwa s[10:11], s33, v3 src0_sel:BYTE_0 src1_sel:DWORD
	s_and_b64 vcc, exec, s[10:11]
	v_cvt_u32_f64_e32 v3, v[4:5]
	s_cbranch_vccz .LBB14_1819
; %bb.1818:
	s_mov_b64 s[4:5], 0
	global_store_dword v[0:1], v3, off
.LBB14_1819:
	s_andn2_b64 vcc, exec, s[4:5]
	s_cbranch_vccnz .LBB14_1821
; %bb.1820:
	global_store_short v[0:1], v3, off
.LBB14_1821:
	s_mov_b64 s[4:5], 0
.LBB14_1822:
	s_andn2_b64 vcc, exec, s[4:5]
	s_cbranch_vccnz .LBB14_1830
; %bb.1823:
	v_cvt_f32_f64_e32 v3, v[4:5]
	v_and_b32_e32 v6, 0x7fffffff, v3
	s_mov_b32 s4, 0x43800000
	v_cmp_gt_u32_e32 vcc, s4, v6
	v_mov_b32_e32 v7, 0x80
	s_and_saveexec_b64 s[4:5], vcc
	s_cbranch_execz .LBB14_1829
; %bb.1824:
	s_mov_b32 s10, 0x3bffffff
	v_cmp_lt_u32_e32 vcc, s10, v6
	s_mov_b64 s[10:11], 0
                                        ; implicit-def: $vgpr6
	s_and_saveexec_b64 s[12:13], vcc
	s_xor_b64 s[12:13], exec, s[12:13]
	s_cbranch_execz .LBB14_1925
; %bb.1825:
	v_bfe_u32 v6, v3, 20, 1
	s_mov_b32 s15, 0x487ffff
	v_add3_u32 v6, v3, v6, s15
	s_mov_b64 s[10:11], exec
	v_lshrrev_b32_e32 v6, 20, v6
	s_or_saveexec_b64 s[12:13], s[12:13]
                                        ; implicit-def: $sgpr15
	s_xor_b64 exec, exec, s[12:13]
	s_cbranch_execnz .LBB14_1926
.LBB14_1826:
	s_or_b64 exec, exec, s[12:13]
	v_mov_b32_e32 v7, s15
	s_and_saveexec_b64 s[12:13], s[10:11]
.LBB14_1827:
	v_lshrrev_b32_e32 v3, 24, v3
	s_movk_i32 s10, 0x80
	v_and_or_b32 v7, v3, s10, v6
.LBB14_1828:
	s_or_b64 exec, exec, s[12:13]
.LBB14_1829:
	s_or_b64 exec, exec, s[4:5]
	global_store_byte v[0:1], v7, off
.LBB14_1830:
	s_mov_b64 s[4:5], -1
.LBB14_1831:
	s_mov_b64 s[10:11], 0
.LBB14_1832:
	s_and_b64 vcc, exec, s[10:11]
	s_cbranch_vccz .LBB14_1872
; %bb.1833:
	v_mov_b32_e32 v3, 22
	v_cmp_gt_i16_sdwa s[10:11], s33, v3 src0_sel:BYTE_0 src1_sel:DWORD
	s_mov_b64 s[2:3], -1
	s_and_b64 vcc, exec, s[10:11]
	s_cbranch_vccz .LBB14_1865
; %bb.1834:
	v_mov_b32_e32 v3, 24
	v_cmp_lt_i16_sdwa s[4:5], s33, v3 src0_sel:BYTE_0 src1_sel:DWORD
	s_and_b64 vcc, exec, s[4:5]
	s_cbranch_vccnz .LBB14_1854
; %bb.1835:
	v_cmp_gt_i16_sdwa s[4:5], s33, v3 src0_sel:BYTE_0 src1_sel:DWORD
	s_and_b64 vcc, exec, s[4:5]
	s_cbranch_vccz .LBB14_1843
; %bb.1836:
	v_cvt_f32_f64_e32 v3, v[4:5]
	v_and_b32_e32 v6, 0x7fffffff, v3
	s_mov_b32 s2, 0x47800000
	v_cmp_gt_u32_e32 vcc, s2, v6
	v_mov_b32_e32 v7, 0x80
	s_and_saveexec_b64 s[2:3], vcc
	s_cbranch_execz .LBB14_1842
; %bb.1837:
	s_mov_b32 s4, 0x37ffffff
	v_cmp_lt_u32_e32 vcc, s4, v6
	s_mov_b64 s[4:5], 0
                                        ; implicit-def: $vgpr6
	s_and_saveexec_b64 s[10:11], vcc
	s_xor_b64 s[10:11], exec, s[10:11]
	s_cbranch_execz .LBB14_1929
; %bb.1838:
	v_bfe_u32 v6, v3, 21, 1
	s_mov_b32 s12, 0x88fffff
	v_add3_u32 v6, v3, v6, s12
	s_mov_b64 s[4:5], exec
	v_lshrrev_b32_e32 v6, 21, v6
	s_or_saveexec_b64 s[10:11], s[10:11]
                                        ; implicit-def: $sgpr12
	s_xor_b64 exec, exec, s[10:11]
	s_cbranch_execnz .LBB14_1930
.LBB14_1839:
	s_or_b64 exec, exec, s[10:11]
	v_mov_b32_e32 v7, s12
	s_and_saveexec_b64 s[10:11], s[4:5]
.LBB14_1840:
	v_lshrrev_b32_e32 v3, 24, v3
	s_movk_i32 s4, 0x80
	v_and_or_b32 v7, v3, s4, v6
.LBB14_1841:
	s_or_b64 exec, exec, s[10:11]
.LBB14_1842:
	s_or_b64 exec, exec, s[2:3]
	s_mov_b64 s[2:3], 0
	global_store_byte v[0:1], v7, off
.LBB14_1843:
	s_and_b64 vcc, exec, s[2:3]
	s_cbranch_vccz .LBB14_1853
; %bb.1844:
	v_cvt_f32_f64_e32 v3, v[4:5]
	v_and_b32_e32 v7, 0x7fffffff, v3
	s_mov_b32 s2, 0x43f00000
	v_cmp_gt_u32_e32 vcc, s2, v7
                                        ; implicit-def: $vgpr6
	s_and_saveexec_b64 s[2:3], vcc
	s_xor_b64 s[2:3], exec, s[2:3]
	s_cbranch_execz .LBB14_1850
; %bb.1845:
	s_mov_b32 s4, 0x3c7fffff
	v_cmp_lt_u32_e32 vcc, s4, v7
                                        ; implicit-def: $vgpr6
	s_and_saveexec_b64 s[4:5], vcc
	s_xor_b64 s[4:5], exec, s[4:5]
; %bb.1846:
	v_bfe_u32 v6, v3, 20, 1
	s_mov_b32 s10, 0x407ffff
	v_add3_u32 v6, v3, v6, s10
	v_lshrrev_b32_e32 v7, 20, v6
	v_and_b32_e32 v6, 0xff00000, v6
	s_mov_b32 s10, 0x7f00000
	v_mov_b32_e32 v12, 0x7e
	v_cmp_ne_u32_e32 vcc, s10, v6
	v_cndmask_b32_e32 v6, v12, v7, vcc
; %bb.1847:
	s_andn2_saveexec_b64 s[4:5], s[4:5]
; %bb.1848:
	s_mov_b32 s10, 0x46800000
	v_add_f32_e64 v6, |v3|, s10
; %bb.1849:
	s_or_b64 exec, exec, s[4:5]
                                        ; implicit-def: $vgpr7
.LBB14_1850:
	s_andn2_saveexec_b64 s[2:3], s[2:3]
; %bb.1851:
	s_mov_b32 s4, 0x7f800000
	v_mov_b32_e32 v6, 0x7e
	v_mov_b32_e32 v12, 0x7f
	v_cmp_lt_u32_e32 vcc, s4, v7
	v_cndmask_b32_e32 v6, v6, v12, vcc
; %bb.1852:
	s_or_b64 exec, exec, s[2:3]
	v_lshrrev_b32_e32 v3, 24, v3
	s_movk_i32 s2, 0x80
	v_and_or_b32 v3, v3, s2, v6
	global_store_byte v[0:1], v3, off
.LBB14_1853:
	s_mov_b64 s[2:3], 0
.LBB14_1854:
	s_andn2_b64 vcc, exec, s[2:3]
	s_cbranch_vccnz .LBB14_1864
; %bb.1855:
	v_cvt_f32_f64_e32 v3, v[4:5]
	v_and_b32_e32 v7, 0x7fffffff, v3
	s_mov_b32 s2, 0x47800000
	v_cmp_gt_u32_e32 vcc, s2, v7
                                        ; implicit-def: $vgpr6
	s_and_saveexec_b64 s[2:3], vcc
	s_xor_b64 s[2:3], exec, s[2:3]
	s_cbranch_execz .LBB14_1861
; %bb.1856:
	s_mov_b32 s4, 0x387fffff
	v_cmp_lt_u32_e32 vcc, s4, v7
                                        ; implicit-def: $vgpr6
	s_and_saveexec_b64 s[4:5], vcc
	s_xor_b64 s[4:5], exec, s[4:5]
; %bb.1857:
	v_bfe_u32 v6, v3, 21, 1
	s_mov_b32 s10, 0x80fffff
	v_add3_u32 v6, v3, v6, s10
	v_lshrrev_b32_e32 v6, 21, v6
; %bb.1858:
	s_andn2_saveexec_b64 s[4:5], s[4:5]
; %bb.1859:
	s_mov_b32 s10, 0x43000000
	v_add_f32_e64 v6, |v3|, s10
; %bb.1860:
	s_or_b64 exec, exec, s[4:5]
                                        ; implicit-def: $vgpr7
.LBB14_1861:
	s_andn2_saveexec_b64 s[2:3], s[2:3]
; %bb.1862:
	s_mov_b32 s4, 0x7f800000
	v_mov_b32_e32 v6, 0x7c
	v_mov_b32_e32 v12, 0x7f
	v_cmp_lt_u32_e32 vcc, s4, v7
	v_cndmask_b32_e32 v6, v6, v12, vcc
; %bb.1863:
	s_or_b64 exec, exec, s[2:3]
	v_lshrrev_b32_e32 v3, 24, v3
	s_movk_i32 s2, 0x80
	v_and_or_b32 v3, v3, s2, v6
	global_store_byte v[0:1], v3, off
.LBB14_1864:
	s_mov_b64 s[2:3], 0
	s_mov_b64 s[4:5], -1
.LBB14_1865:
	s_andn2_b64 vcc, exec, s[2:3]
	s_mov_b64 s[2:3], 0
	s_cbranch_vccnz .LBB14_1872
; %bb.1866:
	v_mov_b32_e32 v3, 14
	v_cmp_gt_i16_sdwa s[2:3], s33, v3 src0_sel:BYTE_0 src1_sel:DWORD
	s_mov_b64 s[10:11], -1
	s_and_b64 vcc, exec, s[2:3]
	s_cbranch_vccz .LBB14_1870
; %bb.1867:
	v_mov_b32_e32 v3, 15
	v_cmp_eq_u16_sdwa s[2:3], s33, v3 src0_sel:BYTE_0 src1_sel:DWORD
	s_mov_b64 s[0:1], -1
	s_and_b64 vcc, exec, s[2:3]
	s_cbranch_vccz .LBB14_1869
; %bb.1868:
	v_cvt_f32_f64_e32 v3, v[4:5]
	v_bfe_u32 v6, v3, 16, 1
	s_movk_i32 s0, 0x7fff
	v_add3_u32 v6, v3, v6, s0
	v_lshrrev_b32_e32 v6, 16, v6
	v_mov_b32_e32 v7, 0x7fc0
	v_cmp_o_f32_e32 vcc, v3, v3
	v_cndmask_b32_e32 v3, v7, v6, vcc
	global_store_short v[0:1], v3, off
	s_mov_b64 s[0:1], 0
	s_mov_b64 s[4:5], -1
.LBB14_1869:
	s_mov_b64 s[10:11], 0
.LBB14_1870:
	s_mov_b64 s[2:3], 0
	s_and_b64 vcc, exec, s[10:11]
	s_cbranch_vccz .LBB14_1872
; %bb.1871:
	v_mov_b32_e32 v3, 11
	v_cmp_ne_u16_sdwa s[0:1], s33, v3 src0_sel:BYTE_0 src1_sel:DWORD
	s_mov_b64 s[2:3], -1
.LBB14_1872:
	s_and_b64 vcc, exec, s[0:1]
	s_cbranch_vccnz .LBB14_1928
; %bb.1873:
	s_andn2_b64 vcc, exec, s[2:3]
	s_cbranch_vccnz .LBB14_1875
.LBB14_1874:
	v_cmp_neq_f64_e32 vcc, 0, v[4:5]
	v_cndmask_b32_e64 v3, 0, 1, vcc
	s_mov_b64 s[4:5], -1
	global_store_byte v[0:1], v3, off
.LBB14_1875:
	s_mov_b64 s[0:1], 0
.LBB14_1876:
	s_and_b64 vcc, exec, s[0:1]
	s_cbranch_vccz .LBB14_1915
; %bb.1877:
	v_mov_b32_e32 v3, 5
	v_cmp_lt_i16_sdwa s[2:3], s33, v3 src0_sel:BYTE_0 src1_sel:DWORD
	s_mov_b64 s[0:1], -1
	s_and_b64 vcc, exec, s[2:3]
	s_cbranch_vccnz .LBB14_1898
; %bb.1878:
	v_mov_b32_e32 v3, 8
	v_cmp_lt_i16_sdwa s[2:3], s33, v3 src0_sel:BYTE_0 src1_sel:DWORD
	s_and_b64 vcc, exec, s[2:3]
	s_cbranch_vccnz .LBB14_1888
; %bb.1879:
	v_mov_b32_e32 v3, 9
	v_cmp_lt_i16_sdwa s[2:3], s33, v3 src0_sel:BYTE_0 src1_sel:DWORD
	s_and_b64 vcc, exec, s[2:3]
	s_cbranch_vccnz .LBB14_1885
; %bb.1880:
	v_cmp_gt_i16_sdwa s[2:3], s33, v3 src0_sel:BYTE_0 src1_sel:DWORD
	s_and_b64 vcc, exec, s[2:3]
	s_cbranch_vccz .LBB14_1882
; %bb.1881:
	v_mov_b32_e32 v6, 0
	v_mov_b32_e32 v7, v6
	global_store_dwordx4 v[0:1], v[4:7], off
	s_mov_b64 s[0:1], 0
.LBB14_1882:
	s_andn2_b64 vcc, exec, s[0:1]
	s_cbranch_vccnz .LBB14_1884
; %bb.1883:
	v_cvt_f32_f64_e32 v6, v[4:5]
	v_mov_b32_e32 v7, 0
	global_store_dwordx2 v[0:1], v[6:7], off
.LBB14_1884:
	s_mov_b64 s[0:1], 0
.LBB14_1885:
	s_andn2_b64 vcc, exec, s[0:1]
	s_cbranch_vccnz .LBB14_1887
; %bb.1886:
	v_cvt_f32_f64_e32 v3, v[4:5]
	v_cvt_f16_f32_e32 v3, v3
	global_store_dword v[0:1], v3, off
.LBB14_1887:
	s_mov_b64 s[0:1], 0
.LBB14_1888:
	s_andn2_b64 vcc, exec, s[0:1]
	s_cbranch_vccnz .LBB14_1897
; %bb.1889:
	v_mov_b32_e32 v3, 6
	v_cmp_lt_i16_sdwa s[2:3], s33, v3 src0_sel:BYTE_0 src1_sel:DWORD
	s_mov_b64 s[0:1], -1
	s_and_b64 vcc, exec, s[2:3]
	s_cbranch_vccnz .LBB14_1895
; %bb.1890:
	v_cmp_gt_i16_sdwa s[2:3], s33, v3 src0_sel:BYTE_0 src1_sel:DWORD
	s_and_b64 vcc, exec, s[2:3]
	s_cbranch_vccz .LBB14_1892
; %bb.1891:
	global_store_dwordx2 v[0:1], v[4:5], off
	s_mov_b64 s[0:1], 0
.LBB14_1892:
	s_andn2_b64 vcc, exec, s[0:1]
	s_cbranch_vccnz .LBB14_1894
; %bb.1893:
	v_cvt_f32_f64_e32 v3, v[4:5]
	global_store_dword v[0:1], v3, off
.LBB14_1894:
	s_mov_b64 s[0:1], 0
.LBB14_1895:
	s_andn2_b64 vcc, exec, s[0:1]
	s_cbranch_vccnz .LBB14_1897
; %bb.1896:
	v_cvt_f32_f64_e32 v3, v[4:5]
	v_cvt_f16_f32_e32 v3, v3
	global_store_short v[0:1], v3, off
.LBB14_1897:
	s_mov_b64 s[0:1], 0
.LBB14_1898:
	s_andn2_b64 vcc, exec, s[0:1]
	s_cbranch_vccnz .LBB14_1914
; %bb.1899:
	v_mov_b32_e32 v3, 2
	v_cmp_lt_i16_sdwa s[2:3], s33, v3 src0_sel:BYTE_0 src1_sel:DWORD
	s_mov_b64 s[0:1], -1
	s_and_b64 vcc, exec, s[2:3]
	s_cbranch_vccnz .LBB14_1909
; %bb.1900:
	v_mov_b32_e32 v3, 3
	v_cmp_lt_i16_sdwa s[2:3], s33, v3 src0_sel:BYTE_0 src1_sel:DWORD
	s_and_b64 vcc, exec, s[2:3]
	s_cbranch_vccnz .LBB14_1906
; %bb.1901:
	v_cmp_gt_i16_sdwa s[2:3], s33, v3 src0_sel:BYTE_0 src1_sel:DWORD
	s_and_b64 vcc, exec, s[2:3]
	s_cbranch_vccz .LBB14_1903
; %bb.1902:
	v_trunc_f64_e32 v[6:7], v[4:5]
	s_movk_i32 s0, 0xffe0
	v_ldexp_f64 v[12:13], v[6:7], s0
	v_floor_f64_e32 v[12:13], v[12:13]
	v_fmac_f64_e32 v[6:7], 0xc1f00000, v[12:13]
	v_cvt_i32_f64_e32 v15, v[12:13]
	v_cvt_u32_f64_e32 v14, v[6:7]
	global_store_dwordx2 v[0:1], v[14:15], off
	s_mov_b64 s[0:1], 0
.LBB14_1903:
	s_andn2_b64 vcc, exec, s[0:1]
	s_cbranch_vccnz .LBB14_1905
; %bb.1904:
	v_cvt_i32_f64_e32 v3, v[4:5]
	global_store_dword v[0:1], v3, off
.LBB14_1905:
	s_mov_b64 s[0:1], 0
.LBB14_1906:
	s_andn2_b64 vcc, exec, s[0:1]
	s_cbranch_vccnz .LBB14_1908
; %bb.1907:
	v_cvt_i32_f64_e32 v3, v[4:5]
	global_store_short v[0:1], v3, off
.LBB14_1908:
	s_mov_b64 s[0:1], 0
.LBB14_1909:
	s_andn2_b64 vcc, exec, s[0:1]
	s_cbranch_vccnz .LBB14_1914
; %bb.1910:
	v_mov_b32_e32 v3, 0
	v_cmp_gt_i16_sdwa s[2:3], s33, v3 src0_sel:BYTE_0 src1_sel:DWORD
	s_mov_b64 s[0:1], -1
	s_and_b64 vcc, exec, s[2:3]
	s_cbranch_vccz .LBB14_1912
; %bb.1911:
	v_cvt_i32_f64_e32 v3, v[4:5]
	global_store_byte v[0:1], v3, off
	s_mov_b64 s[0:1], 0
.LBB14_1912:
	s_andn2_b64 vcc, exec, s[0:1]
	s_cbranch_vccnz .LBB14_1914
; %bb.1913:
	v_trunc_f64_e32 v[4:5], v[4:5]
	s_movk_i32 s0, 0xffe0
	v_ldexp_f64 v[6:7], v[4:5], s0
	v_floor_f64_e32 v[6:7], v[6:7]
	v_fmac_f64_e32 v[4:5], 0xc1f00000, v[6:7]
	v_cvt_u32_f64_e32 v3, v[4:5]
	global_store_byte v[0:1], v3, off
.LBB14_1914:
	s_mov_b64 s[4:5], -1
.LBB14_1915:
	s_andn2_b64 vcc, exec, s[4:5]
	s_cbranch_vccnz .LBB14_2119
; %bb.1916:
	v_add_u32_e32 v2, s14, v2
	v_ashrrev_i32_e32 v1, 31, v2
	v_mov_b32_e32 v3, s9
	v_add_co_u32_e32 v0, vcc, s8, v2
	v_addc_co_u32_e32 v1, vcc, v3, v1, vcc
	v_mov_b32_e32 v3, 11
	v_cmp_lt_i16_sdwa s[0:1], s33, v3 src0_sel:BYTE_0 src1_sel:DWORD
	s_and_b64 vcc, exec, s[0:1]
	s_cbranch_vccnz .LBB14_1923
; %bb.1917:
	v_mov_b32_e32 v3, 25
	v_cmp_gt_i16_sdwa s[0:1], s33, v3 src0_sel:BYTE_0 src1_sel:DWORD
	s_mov_b64 s[10:11], -1
	s_mov_b64 s[2:3], 0
	s_and_b64 vcc, exec, s[0:1]
	s_mov_b64 s[4:5], 0
	s_mov_b64 s[0:1], 0
	s_cbranch_vccz .LBB14_1959
; %bb.1918:
	v_mov_b32_e32 v3, 28
	v_cmp_gt_i16_sdwa s[0:1], s33, v3 src0_sel:BYTE_0 src1_sel:DWORD
	s_and_b64 vcc, exec, s[0:1]
	s_cbranch_vccz .LBB14_1924
; %bb.1919:
	v_mov_b32_e32 v3, 43
	v_cmp_gt_i16_sdwa s[0:1], s33, v3 src0_sel:BYTE_0 src1_sel:DWORD
	s_and_b64 vcc, exec, s[0:1]
	;; [unrolled: 5-line block ×3, first 2 shown]
	s_cbranch_vccz .LBB14_1931
; %bb.1921:
	v_mov_b32_e32 v3, 46
	v_cmp_eq_u16_sdwa s[4:5], s33, v3 src0_sel:BYTE_0 src1_sel:DWORD
	s_mov_b64 s[0:1], -1
	s_mov_b64 s[10:11], 0
	s_and_b64 vcc, exec, s[4:5]
	s_mov_b64 s[4:5], 0
	s_cbranch_vccz .LBB14_1932
; %bb.1922:
	v_cvt_f32_f64_e32 v3, v[10:11]
	v_bfe_u32 v4, v3, 16, 1
	s_movk_i32 s0, 0x7fff
	v_add3_u32 v4, v3, v4, s0
	v_lshrrev_b32_e32 v4, 16, v4
	v_mov_b32_e32 v5, 0x7fc0
	v_cmp_o_f32_e32 vcc, v3, v3
	v_cndmask_b32_e32 v3, v5, v4, vcc
	global_store_dword v[0:1], v3, off
	s_mov_b64 s[0:1], 0
	s_mov_b64 s[4:5], -1
	s_branch .LBB14_1932
.LBB14_1923:
	s_mov_b64 s[0:1], -1
	s_mov_b64 s[4:5], 0
	s_branch .LBB14_2003
.LBB14_1924:
	s_mov_b64 s[0:1], 0
	s_branch .LBB14_1942
.LBB14_1925:
	s_or_saveexec_b64 s[12:13], s[12:13]
                                        ; implicit-def: $sgpr15
	s_xor_b64 exec, exec, s[12:13]
	s_cbranch_execz .LBB14_1826
.LBB14_1926:
	s_mov_b32 s15, 0x46000000
	v_add_f32_e64 v6, |v3|, s15
	v_and_b32_e32 v6, 0xff, v6
	v_cmp_ne_u32_e32 vcc, 0, v6
	s_andn2_b64 s[10:11], s[10:11], exec
	s_and_b64 s[20:21], vcc, exec
	s_mov_b32 s15, 0
	s_or_b64 s[10:11], s[10:11], s[20:21]
	s_or_b64 exec, exec, s[12:13]
	v_mov_b32_e32 v7, s15
	s_and_saveexec_b64 s[12:13], s[10:11]
	s_cbranch_execnz .LBB14_1827
	s_branch .LBB14_1828
.LBB14_1927:
	s_mov_b64 s[0:1], 0
	s_branch .LBB14_1938
.LBB14_1928:
	s_trap 2
	s_or_b64 s[18:19], s[18:19], exec
	s_cbranch_execz .LBB14_1874
	s_branch .LBB14_1875
.LBB14_1929:
	s_or_saveexec_b64 s[10:11], s[10:11]
                                        ; implicit-def: $sgpr12
	s_xor_b64 exec, exec, s[10:11]
	s_cbranch_execz .LBB14_1839
.LBB14_1930:
	s_mov_b32 s12, 0x42800000
	v_add_f32_e64 v6, |v3|, s12
	v_and_b32_e32 v6, 0xff, v6
	v_cmp_ne_u32_e32 vcc, 0, v6
	s_andn2_b64 s[4:5], s[4:5], exec
	s_and_b64 s[20:21], vcc, exec
	s_mov_b32 s12, 0
	s_or_b64 s[4:5], s[4:5], s[20:21]
	s_or_b64 exec, exec, s[10:11]
	v_mov_b32_e32 v7, s12
	s_and_saveexec_b64 s[10:11], s[4:5]
	s_cbranch_execnz .LBB14_1840
	s_branch .LBB14_1841
.LBB14_1931:
	s_mov_b64 s[0:1], 0
.LBB14_1932:
	s_and_b64 vcc, exec, s[10:11]
	s_cbranch_vccz .LBB14_1937
; %bb.1933:
	v_mov_b32_e32 v3, 44
	v_cmp_eq_u16_sdwa s[10:11], s33, v3 src0_sel:BYTE_0 src1_sel:DWORD
	s_mov_b64 s[0:1], -1
	s_and_b64 vcc, exec, s[10:11]
	s_cbranch_vccz .LBB14_1937
; %bb.1934:
	v_cvt_f32_f64_e32 v3, v[10:11]
	v_bfe_u32 v4, v3, 23, 8
	s_movk_i32 s0, 0xff
	v_cmp_ne_u32_e32 vcc, s0, v4
	v_mov_b32_e32 v5, 0xff
	s_and_saveexec_b64 s[4:5], vcc
; %bb.1935:
	s_mov_b32 s0, 0x3fffff
	v_lshrrev_b32_e32 v5, 23, v3
	v_and_b32_e32 v6, 0x400000, v3
	v_and_or_b32 v3, v3, s0, v4
	v_cmp_ne_u32_e32 vcc, 0, v6
	v_cmp_ne_u32_e64 s[0:1], 0, v3
	s_and_b64 s[0:1], vcc, s[0:1]
	v_cndmask_b32_e64 v3, 0, 1, s[0:1]
	v_add_u32_e32 v5, v5, v3
; %bb.1936:
	s_or_b64 exec, exec, s[4:5]
	s_mov_b64 s[0:1], 0
	s_mov_b64 s[4:5], -1
	global_store_byte v[0:1], v5, off
.LBB14_1937:
	s_mov_b64 s[10:11], 0
.LBB14_1938:
	s_and_b64 vcc, exec, s[10:11]
	s_cbranch_vccz .LBB14_1941
; %bb.1939:
	v_mov_b32_e32 v3, 29
	v_cmp_eq_u16_sdwa s[10:11], s33, v3 src0_sel:BYTE_0 src1_sel:DWORD
	s_mov_b64 s[0:1], -1
	s_and_b64 vcc, exec, s[10:11]
	s_cbranch_vccz .LBB14_1941
; %bb.1940:
	v_trunc_f64_e32 v[4:5], v[10:11]
	s_movk_i32 s0, 0xffe0
	v_ldexp_f64 v[6:7], v[4:5], s0
	v_floor_f64_e32 v[6:7], v[6:7]
	v_fmac_f64_e32 v[4:5], 0xc1f00000, v[6:7]
	v_cvt_u32_f64_e32 v13, v[6:7]
	v_cvt_u32_f64_e32 v12, v[4:5]
	global_store_dwordx2 v[0:1], v[12:13], off
	s_mov_b64 s[0:1], 0
	s_mov_b64 s[4:5], -1
.LBB14_1941:
	s_mov_b64 s[10:11], 0
.LBB14_1942:
	s_and_b64 vcc, exec, s[10:11]
	s_cbranch_vccz .LBB14_1958
; %bb.1943:
	v_mov_b32_e32 v3, 27
	v_cmp_lt_i16_sdwa s[10:11], s33, v3 src0_sel:BYTE_0 src1_sel:DWORD
	s_mov_b64 s[4:5], -1
	s_and_b64 vcc, exec, s[10:11]
	s_cbranch_vccnz .LBB14_1949
; %bb.1944:
	v_cmp_gt_i16_sdwa s[10:11], s33, v3 src0_sel:BYTE_0 src1_sel:DWORD
	s_and_b64 vcc, exec, s[10:11]
	v_cvt_u32_f64_e32 v3, v[10:11]
	s_cbranch_vccz .LBB14_1946
; %bb.1945:
	s_mov_b64 s[4:5], 0
	global_store_dword v[0:1], v3, off
.LBB14_1946:
	s_andn2_b64 vcc, exec, s[4:5]
	s_cbranch_vccnz .LBB14_1948
; %bb.1947:
	global_store_short v[0:1], v3, off
.LBB14_1948:
	s_mov_b64 s[4:5], 0
.LBB14_1949:
	s_andn2_b64 vcc, exec, s[4:5]
	s_cbranch_vccnz .LBB14_1957
; %bb.1950:
	v_cvt_f32_f64_e32 v3, v[10:11]
	v_and_b32_e32 v4, 0x7fffffff, v3
	s_mov_b32 s4, 0x43800000
	v_cmp_gt_u32_e32 vcc, s4, v4
	v_mov_b32_e32 v5, 0x80
	s_and_saveexec_b64 s[4:5], vcc
	s_cbranch_execz .LBB14_1956
; %bb.1951:
	s_mov_b32 s10, 0x3bffffff
	v_cmp_lt_u32_e32 vcc, s10, v4
	s_mov_b64 s[10:11], 0
                                        ; implicit-def: $vgpr4
	s_and_saveexec_b64 s[12:13], vcc
	s_xor_b64 s[12:13], exec, s[12:13]
	s_cbranch_execz .LBB14_2121
; %bb.1952:
	v_bfe_u32 v4, v3, 20, 1
	s_mov_b32 s15, 0x487ffff
	v_add3_u32 v4, v3, v4, s15
	s_mov_b64 s[10:11], exec
	v_lshrrev_b32_e32 v4, 20, v4
	s_or_saveexec_b64 s[12:13], s[12:13]
                                        ; implicit-def: $sgpr15
	s_xor_b64 exec, exec, s[12:13]
	s_cbranch_execnz .LBB14_2122
.LBB14_1953:
	s_or_b64 exec, exec, s[12:13]
	v_mov_b32_e32 v5, s15
	s_and_saveexec_b64 s[12:13], s[10:11]
.LBB14_1954:
	v_lshrrev_b32_e32 v3, 24, v3
	s_movk_i32 s10, 0x80
	v_and_or_b32 v5, v3, s10, v4
.LBB14_1955:
	s_or_b64 exec, exec, s[12:13]
.LBB14_1956:
	s_or_b64 exec, exec, s[4:5]
	global_store_byte v[0:1], v5, off
.LBB14_1957:
	s_mov_b64 s[4:5], -1
.LBB14_1958:
	s_mov_b64 s[10:11], 0
.LBB14_1959:
	s_and_b64 vcc, exec, s[10:11]
	s_cbranch_vccz .LBB14_1999
; %bb.1960:
	v_mov_b32_e32 v3, 22
	v_cmp_gt_i16_sdwa s[10:11], s33, v3 src0_sel:BYTE_0 src1_sel:DWORD
	s_mov_b64 s[2:3], -1
	s_and_b64 vcc, exec, s[10:11]
	s_cbranch_vccz .LBB14_1992
; %bb.1961:
	v_mov_b32_e32 v3, 24
	v_cmp_lt_i16_sdwa s[4:5], s33, v3 src0_sel:BYTE_0 src1_sel:DWORD
	s_and_b64 vcc, exec, s[4:5]
	s_cbranch_vccnz .LBB14_1981
; %bb.1962:
	v_cmp_gt_i16_sdwa s[4:5], s33, v3 src0_sel:BYTE_0 src1_sel:DWORD
	s_and_b64 vcc, exec, s[4:5]
	s_cbranch_vccz .LBB14_1970
; %bb.1963:
	v_cvt_f32_f64_e32 v3, v[10:11]
	v_and_b32_e32 v4, 0x7fffffff, v3
	s_mov_b32 s2, 0x47800000
	v_cmp_gt_u32_e32 vcc, s2, v4
	v_mov_b32_e32 v5, 0x80
	s_and_saveexec_b64 s[2:3], vcc
	s_cbranch_execz .LBB14_1969
; %bb.1964:
	s_mov_b32 s4, 0x37ffffff
	v_cmp_lt_u32_e32 vcc, s4, v4
	s_mov_b64 s[4:5], 0
                                        ; implicit-def: $vgpr4
	s_and_saveexec_b64 s[10:11], vcc
	s_xor_b64 s[10:11], exec, s[10:11]
	s_cbranch_execz .LBB14_2124
; %bb.1965:
	v_bfe_u32 v4, v3, 21, 1
	s_mov_b32 s12, 0x88fffff
	v_add3_u32 v4, v3, v4, s12
	s_mov_b64 s[4:5], exec
	v_lshrrev_b32_e32 v4, 21, v4
	s_or_saveexec_b64 s[10:11], s[10:11]
                                        ; implicit-def: $sgpr12
	s_xor_b64 exec, exec, s[10:11]
	s_cbranch_execnz .LBB14_2125
.LBB14_1966:
	s_or_b64 exec, exec, s[10:11]
	v_mov_b32_e32 v5, s12
	s_and_saveexec_b64 s[10:11], s[4:5]
.LBB14_1967:
	v_lshrrev_b32_e32 v3, 24, v3
	s_movk_i32 s4, 0x80
	v_and_or_b32 v5, v3, s4, v4
.LBB14_1968:
	s_or_b64 exec, exec, s[10:11]
.LBB14_1969:
	s_or_b64 exec, exec, s[2:3]
	s_mov_b64 s[2:3], 0
	global_store_byte v[0:1], v5, off
.LBB14_1970:
	s_and_b64 vcc, exec, s[2:3]
	s_cbranch_vccz .LBB14_1980
; %bb.1971:
	v_cvt_f32_f64_e32 v3, v[10:11]
	v_and_b32_e32 v5, 0x7fffffff, v3
	s_mov_b32 s2, 0x43f00000
	v_cmp_gt_u32_e32 vcc, s2, v5
                                        ; implicit-def: $vgpr4
	s_and_saveexec_b64 s[2:3], vcc
	s_xor_b64 s[2:3], exec, s[2:3]
	s_cbranch_execz .LBB14_1977
; %bb.1972:
	s_mov_b32 s4, 0x3c7fffff
	v_cmp_lt_u32_e32 vcc, s4, v5
                                        ; implicit-def: $vgpr4
	s_and_saveexec_b64 s[4:5], vcc
	s_xor_b64 s[4:5], exec, s[4:5]
; %bb.1973:
	v_bfe_u32 v4, v3, 20, 1
	s_mov_b32 s10, 0x407ffff
	v_add3_u32 v4, v3, v4, s10
	v_lshrrev_b32_e32 v5, 20, v4
	v_and_b32_e32 v4, 0xff00000, v4
	s_mov_b32 s10, 0x7f00000
	v_mov_b32_e32 v6, 0x7e
	v_cmp_ne_u32_e32 vcc, s10, v4
	v_cndmask_b32_e32 v4, v6, v5, vcc
; %bb.1974:
	s_andn2_saveexec_b64 s[4:5], s[4:5]
; %bb.1975:
	s_mov_b32 s10, 0x46800000
	v_add_f32_e64 v4, |v3|, s10
; %bb.1976:
	s_or_b64 exec, exec, s[4:5]
                                        ; implicit-def: $vgpr5
.LBB14_1977:
	s_andn2_saveexec_b64 s[2:3], s[2:3]
; %bb.1978:
	s_mov_b32 s4, 0x7f800000
	v_mov_b32_e32 v4, 0x7e
	v_mov_b32_e32 v6, 0x7f
	v_cmp_lt_u32_e32 vcc, s4, v5
	v_cndmask_b32_e32 v4, v4, v6, vcc
; %bb.1979:
	s_or_b64 exec, exec, s[2:3]
	v_lshrrev_b32_e32 v3, 24, v3
	s_movk_i32 s2, 0x80
	v_and_or_b32 v3, v3, s2, v4
	global_store_byte v[0:1], v3, off
.LBB14_1980:
	s_mov_b64 s[2:3], 0
.LBB14_1981:
	s_andn2_b64 vcc, exec, s[2:3]
	s_cbranch_vccnz .LBB14_1991
; %bb.1982:
	v_cvt_f32_f64_e32 v3, v[10:11]
	v_and_b32_e32 v5, 0x7fffffff, v3
	s_mov_b32 s2, 0x47800000
	v_cmp_gt_u32_e32 vcc, s2, v5
                                        ; implicit-def: $vgpr4
	s_and_saveexec_b64 s[2:3], vcc
	s_xor_b64 s[2:3], exec, s[2:3]
	s_cbranch_execz .LBB14_1988
; %bb.1983:
	s_mov_b32 s4, 0x387fffff
	v_cmp_lt_u32_e32 vcc, s4, v5
                                        ; implicit-def: $vgpr4
	s_and_saveexec_b64 s[4:5], vcc
	s_xor_b64 s[4:5], exec, s[4:5]
; %bb.1984:
	v_bfe_u32 v4, v3, 21, 1
	s_mov_b32 s10, 0x80fffff
	v_add3_u32 v4, v3, v4, s10
	v_lshrrev_b32_e32 v4, 21, v4
; %bb.1985:
	s_andn2_saveexec_b64 s[4:5], s[4:5]
; %bb.1986:
	s_mov_b32 s10, 0x43000000
	v_add_f32_e64 v4, |v3|, s10
; %bb.1987:
	s_or_b64 exec, exec, s[4:5]
                                        ; implicit-def: $vgpr5
.LBB14_1988:
	s_andn2_saveexec_b64 s[2:3], s[2:3]
; %bb.1989:
	s_mov_b32 s4, 0x7f800000
	v_mov_b32_e32 v4, 0x7c
	v_mov_b32_e32 v6, 0x7f
	v_cmp_lt_u32_e32 vcc, s4, v5
	v_cndmask_b32_e32 v4, v4, v6, vcc
; %bb.1990:
	s_or_b64 exec, exec, s[2:3]
	v_lshrrev_b32_e32 v3, 24, v3
	s_movk_i32 s2, 0x80
	v_and_or_b32 v3, v3, s2, v4
	global_store_byte v[0:1], v3, off
.LBB14_1991:
	s_mov_b64 s[2:3], 0
	s_mov_b64 s[4:5], -1
.LBB14_1992:
	s_andn2_b64 vcc, exec, s[2:3]
	s_mov_b64 s[2:3], 0
	s_cbranch_vccnz .LBB14_1999
; %bb.1993:
	v_mov_b32_e32 v3, 14
	v_cmp_gt_i16_sdwa s[2:3], s33, v3 src0_sel:BYTE_0 src1_sel:DWORD
	s_mov_b64 s[10:11], -1
	s_and_b64 vcc, exec, s[2:3]
	s_cbranch_vccz .LBB14_1997
; %bb.1994:
	v_mov_b32_e32 v3, 15
	v_cmp_eq_u16_sdwa s[2:3], s33, v3 src0_sel:BYTE_0 src1_sel:DWORD
	s_mov_b64 s[0:1], -1
	s_and_b64 vcc, exec, s[2:3]
	s_cbranch_vccz .LBB14_1996
; %bb.1995:
	v_cvt_f32_f64_e32 v3, v[10:11]
	v_bfe_u32 v4, v3, 16, 1
	s_movk_i32 s0, 0x7fff
	v_add3_u32 v4, v3, v4, s0
	v_lshrrev_b32_e32 v4, 16, v4
	v_mov_b32_e32 v5, 0x7fc0
	v_cmp_o_f32_e32 vcc, v3, v3
	v_cndmask_b32_e32 v3, v5, v4, vcc
	global_store_short v[0:1], v3, off
	s_mov_b64 s[0:1], 0
	s_mov_b64 s[4:5], -1
.LBB14_1996:
	s_mov_b64 s[10:11], 0
.LBB14_1997:
	s_mov_b64 s[2:3], 0
	s_and_b64 vcc, exec, s[10:11]
	s_cbranch_vccz .LBB14_1999
; %bb.1998:
	v_mov_b32_e32 v3, 11
	v_cmp_ne_u16_sdwa s[0:1], s33, v3 src0_sel:BYTE_0 src1_sel:DWORD
	s_mov_b64 s[2:3], -1
.LBB14_1999:
	s_and_b64 vcc, exec, s[0:1]
	s_cbranch_vccnz .LBB14_2123
; %bb.2000:
	s_andn2_b64 vcc, exec, s[2:3]
	s_cbranch_vccnz .LBB14_2002
.LBB14_2001:
	v_cmp_neq_f64_e32 vcc, 0, v[10:11]
	v_cndmask_b32_e64 v3, 0, 1, vcc
	s_mov_b64 s[4:5], -1
	global_store_byte v[0:1], v3, off
.LBB14_2002:
	s_mov_b64 s[0:1], 0
.LBB14_2003:
	s_and_b64 vcc, exec, s[0:1]
	s_cbranch_vccz .LBB14_2042
; %bb.2004:
	v_mov_b32_e32 v3, 5
	v_cmp_lt_i16_sdwa s[2:3], s33, v3 src0_sel:BYTE_0 src1_sel:DWORD
	s_mov_b64 s[0:1], -1
	s_and_b64 vcc, exec, s[2:3]
	s_cbranch_vccnz .LBB14_2025
; %bb.2005:
	v_mov_b32_e32 v3, 8
	v_cmp_lt_i16_sdwa s[2:3], s33, v3 src0_sel:BYTE_0 src1_sel:DWORD
	s_and_b64 vcc, exec, s[2:3]
	s_cbranch_vccnz .LBB14_2015
; %bb.2006:
	v_mov_b32_e32 v3, 9
	v_cmp_lt_i16_sdwa s[2:3], s33, v3 src0_sel:BYTE_0 src1_sel:DWORD
	s_and_b64 vcc, exec, s[2:3]
	s_cbranch_vccnz .LBB14_2012
; %bb.2007:
	v_cmp_gt_i16_sdwa s[2:3], s33, v3 src0_sel:BYTE_0 src1_sel:DWORD
	s_and_b64 vcc, exec, s[2:3]
	s_cbranch_vccz .LBB14_2009
; %bb.2008:
	v_mov_b32_e32 v12, 0
	v_mov_b32_e32 v13, v12
	global_store_dwordx4 v[0:1], v[10:13], off
	s_mov_b64 s[0:1], 0
.LBB14_2009:
	s_andn2_b64 vcc, exec, s[0:1]
	s_cbranch_vccnz .LBB14_2011
; %bb.2010:
	v_cvt_f32_f64_e32 v4, v[10:11]
	v_mov_b32_e32 v5, 0
	global_store_dwordx2 v[0:1], v[4:5], off
.LBB14_2011:
	s_mov_b64 s[0:1], 0
.LBB14_2012:
	s_andn2_b64 vcc, exec, s[0:1]
	s_cbranch_vccnz .LBB14_2014
; %bb.2013:
	v_cvt_f32_f64_e32 v3, v[10:11]
	v_cvt_f16_f32_e32 v3, v3
	global_store_dword v[0:1], v3, off
.LBB14_2014:
	s_mov_b64 s[0:1], 0
.LBB14_2015:
	s_andn2_b64 vcc, exec, s[0:1]
	s_cbranch_vccnz .LBB14_2024
; %bb.2016:
	v_mov_b32_e32 v3, 6
	v_cmp_lt_i16_sdwa s[2:3], s33, v3 src0_sel:BYTE_0 src1_sel:DWORD
	s_mov_b64 s[0:1], -1
	s_and_b64 vcc, exec, s[2:3]
	s_cbranch_vccnz .LBB14_2022
; %bb.2017:
	v_cmp_gt_i16_sdwa s[2:3], s33, v3 src0_sel:BYTE_0 src1_sel:DWORD
	s_and_b64 vcc, exec, s[2:3]
	s_cbranch_vccz .LBB14_2019
; %bb.2018:
	global_store_dwordx2 v[0:1], v[10:11], off
	s_mov_b64 s[0:1], 0
.LBB14_2019:
	s_andn2_b64 vcc, exec, s[0:1]
	s_cbranch_vccnz .LBB14_2021
; %bb.2020:
	v_cvt_f32_f64_e32 v3, v[10:11]
	global_store_dword v[0:1], v3, off
.LBB14_2021:
	s_mov_b64 s[0:1], 0
.LBB14_2022:
	s_andn2_b64 vcc, exec, s[0:1]
	s_cbranch_vccnz .LBB14_2024
; %bb.2023:
	v_cvt_f32_f64_e32 v3, v[10:11]
	v_cvt_f16_f32_e32 v3, v3
	global_store_short v[0:1], v3, off
.LBB14_2024:
	s_mov_b64 s[0:1], 0
.LBB14_2025:
	s_andn2_b64 vcc, exec, s[0:1]
	s_cbranch_vccnz .LBB14_2041
; %bb.2026:
	v_mov_b32_e32 v3, 2
	v_cmp_lt_i16_sdwa s[2:3], s33, v3 src0_sel:BYTE_0 src1_sel:DWORD
	s_mov_b64 s[0:1], -1
	s_and_b64 vcc, exec, s[2:3]
	s_cbranch_vccnz .LBB14_2036
; %bb.2027:
	v_mov_b32_e32 v3, 3
	v_cmp_lt_i16_sdwa s[2:3], s33, v3 src0_sel:BYTE_0 src1_sel:DWORD
	s_and_b64 vcc, exec, s[2:3]
	s_cbranch_vccnz .LBB14_2033
; %bb.2028:
	v_cmp_gt_i16_sdwa s[2:3], s33, v3 src0_sel:BYTE_0 src1_sel:DWORD
	s_and_b64 vcc, exec, s[2:3]
	s_cbranch_vccz .LBB14_2030
; %bb.2029:
	v_trunc_f64_e32 v[4:5], v[10:11]
	s_movk_i32 s0, 0xffe0
	v_ldexp_f64 v[6:7], v[4:5], s0
	v_floor_f64_e32 v[6:7], v[6:7]
	v_fmac_f64_e32 v[4:5], 0xc1f00000, v[6:7]
	v_cvt_i32_f64_e32 v13, v[6:7]
	v_cvt_u32_f64_e32 v12, v[4:5]
	global_store_dwordx2 v[0:1], v[12:13], off
	s_mov_b64 s[0:1], 0
.LBB14_2030:
	s_andn2_b64 vcc, exec, s[0:1]
	s_cbranch_vccnz .LBB14_2032
; %bb.2031:
	v_cvt_i32_f64_e32 v3, v[10:11]
	global_store_dword v[0:1], v3, off
.LBB14_2032:
	s_mov_b64 s[0:1], 0
.LBB14_2033:
	s_andn2_b64 vcc, exec, s[0:1]
	s_cbranch_vccnz .LBB14_2035
; %bb.2034:
	v_cvt_i32_f64_e32 v3, v[10:11]
	global_store_short v[0:1], v3, off
.LBB14_2035:
	s_mov_b64 s[0:1], 0
.LBB14_2036:
	s_andn2_b64 vcc, exec, s[0:1]
	s_cbranch_vccnz .LBB14_2041
; %bb.2037:
	v_mov_b32_e32 v3, 0
	v_cmp_gt_i16_sdwa s[2:3], s33, v3 src0_sel:BYTE_0 src1_sel:DWORD
	s_mov_b64 s[0:1], -1
	s_and_b64 vcc, exec, s[2:3]
	s_cbranch_vccz .LBB14_2039
; %bb.2038:
	v_cvt_i32_f64_e32 v3, v[10:11]
	global_store_byte v[0:1], v3, off
	s_mov_b64 s[0:1], 0
.LBB14_2039:
	s_andn2_b64 vcc, exec, s[0:1]
	s_cbranch_vccnz .LBB14_2041
; %bb.2040:
	v_trunc_f64_e32 v[4:5], v[10:11]
	s_movk_i32 s0, 0xffe0
	v_ldexp_f64 v[6:7], v[4:5], s0
	v_floor_f64_e32 v[6:7], v[6:7]
	v_fmac_f64_e32 v[4:5], 0xc1f00000, v[6:7]
	v_cvt_u32_f64_e32 v3, v[4:5]
	global_store_byte v[0:1], v3, off
.LBB14_2041:
	s_mov_b64 s[4:5], -1
.LBB14_2042:
	s_andn2_b64 vcc, exec, s[4:5]
	s_cbranch_vccnz .LBB14_2119
; %bb.2043:
	v_add_u32_e32 v0, s14, v2
	v_ashrrev_i32_e32 v1, 31, v0
	v_mov_b32_e32 v2, s9
	v_add_co_u32_e32 v0, vcc, s8, v0
	v_addc_co_u32_e32 v1, vcc, v2, v1, vcc
	v_mov_b32_e32 v2, 0xff
	v_and_b32_e32 v2, s33, v2
	v_cmp_gt_i16_e32 vcc, 11, v2
	s_cbranch_vccnz .LBB14_2120
; %bb.2044:
	v_cmp_lt_i16_e32 vcc, 25, v2
	s_mov_b64 s[4:5], -1
	s_mov_b64 s[2:3], 0
	s_mov_b64 s[0:1], 0
	s_cbranch_vccz .LBB14_2077
; %bb.2045:
	v_cmp_lt_i16_e32 vcc, 28, v2
	s_cbranch_vccz .LBB14_2061
; %bb.2046:
	v_cmp_lt_i16_e32 vcc, 43, v2
	;; [unrolled: 3-line block ×3, first 2 shown]
	s_cbranch_vccz .LBB14_2051
; %bb.2048:
	v_cmp_eq_u16_e32 vcc, 46, v2
	s_mov_b64 s[0:1], -1
	s_cbranch_vccz .LBB14_2050
; %bb.2049:
	v_cvt_f32_f64_e32 v3, v[8:9]
	v_bfe_u32 v4, v3, 16, 1
	s_movk_i32 s0, 0x7fff
	v_add3_u32 v4, v3, v4, s0
	v_lshrrev_b32_e32 v4, 16, v4
	v_mov_b32_e32 v5, 0x7fc0
	v_cmp_o_f32_e32 vcc, v3, v3
	v_cndmask_b32_e32 v3, v5, v4, vcc
	global_store_dword v[0:1], v3, off
	s_mov_b64 s[0:1], 0
.LBB14_2050:
	s_mov_b64 s[4:5], 0
.LBB14_2051:
	s_and_b64 vcc, exec, s[4:5]
	s_cbranch_vccz .LBB14_2056
; %bb.2052:
	v_cmp_eq_u16_e32 vcc, 44, v2
	s_mov_b64 s[0:1], -1
	s_cbranch_vccz .LBB14_2056
; %bb.2053:
	v_cvt_f32_f64_e32 v3, v[8:9]
	v_bfe_u32 v4, v3, 23, 8
	s_movk_i32 s0, 0xff
	v_cmp_ne_u32_e32 vcc, s0, v4
	v_mov_b32_e32 v5, 0xff
	s_and_saveexec_b64 s[4:5], vcc
; %bb.2054:
	s_mov_b32 s0, 0x3fffff
	v_lshrrev_b32_e32 v5, 23, v3
	v_and_b32_e32 v6, 0x400000, v3
	v_and_or_b32 v3, v3, s0, v4
	v_cmp_ne_u32_e32 vcc, 0, v6
	v_cmp_ne_u32_e64 s[0:1], 0, v3
	s_and_b64 s[0:1], vcc, s[0:1]
	v_cndmask_b32_e64 v3, 0, 1, s[0:1]
	v_add_u32_e32 v5, v5, v3
; %bb.2055:
	s_or_b64 exec, exec, s[4:5]
	s_mov_b64 s[0:1], 0
	global_store_byte v[0:1], v5, off
.LBB14_2056:
	s_mov_b64 s[4:5], 0
.LBB14_2057:
	s_and_b64 vcc, exec, s[4:5]
	s_cbranch_vccz .LBB14_2060
; %bb.2058:
	v_cmp_eq_u16_e32 vcc, 29, v2
	s_mov_b64 s[0:1], -1
	s_cbranch_vccz .LBB14_2060
; %bb.2059:
	v_trunc_f64_e32 v[4:5], v[8:9]
	s_movk_i32 s0, 0xffe0
	v_ldexp_f64 v[6:7], v[4:5], s0
	v_floor_f64_e32 v[6:7], v[6:7]
	v_fmac_f64_e32 v[4:5], 0xc1f00000, v[6:7]
	v_cvt_u32_f64_e32 v11, v[6:7]
	v_cvt_u32_f64_e32 v10, v[4:5]
	global_store_dwordx2 v[0:1], v[10:11], off
	s_mov_b64 s[0:1], 0
.LBB14_2060:
	s_mov_b64 s[4:5], 0
.LBB14_2061:
	s_and_b64 vcc, exec, s[4:5]
	s_cbranch_vccz .LBB14_2076
; %bb.2062:
	v_cmp_gt_i16_e32 vcc, 27, v2
	s_mov_b64 s[4:5], -1
	s_cbranch_vccnz .LBB14_2068
; %bb.2063:
	v_cmp_lt_i16_e32 vcc, 27, v2
	v_cvt_u32_f64_e32 v3, v[8:9]
	s_cbranch_vccz .LBB14_2065
; %bb.2064:
	global_store_dword v[0:1], v3, off
	s_mov_b64 s[4:5], 0
.LBB14_2065:
	s_andn2_b64 vcc, exec, s[4:5]
	s_cbranch_vccnz .LBB14_2067
; %bb.2066:
	global_store_short v[0:1], v3, off
.LBB14_2067:
	s_mov_b64 s[4:5], 0
.LBB14_2068:
	s_andn2_b64 vcc, exec, s[4:5]
	s_cbranch_vccnz .LBB14_2076
; %bb.2069:
	v_cvt_f32_f64_e32 v3, v[8:9]
	v_and_b32_e32 v4, 0x7fffffff, v3
	s_mov_b32 s4, 0x43800000
	v_cmp_gt_u32_e32 vcc, s4, v4
	v_mov_b32_e32 v5, 0x80
	s_and_saveexec_b64 s[4:5], vcc
	s_cbranch_execz .LBB14_2075
; %bb.2070:
	s_mov_b32 s8, 0x3bffffff
	v_cmp_lt_u32_e32 vcc, s8, v4
	s_mov_b64 s[8:9], 0
                                        ; implicit-def: $vgpr4
	s_and_saveexec_b64 s[10:11], vcc
	s_xor_b64 s[10:11], exec, s[10:11]
	s_cbranch_execz .LBB14_2126
; %bb.2071:
	v_bfe_u32 v4, v3, 20, 1
	s_mov_b32 s12, 0x487ffff
	v_add3_u32 v4, v3, v4, s12
	s_mov_b64 s[8:9], exec
	v_lshrrev_b32_e32 v4, 20, v4
	s_or_saveexec_b64 s[10:11], s[10:11]
                                        ; implicit-def: $sgpr12
	s_xor_b64 exec, exec, s[10:11]
	s_cbranch_execnz .LBB14_2127
.LBB14_2072:
	s_or_b64 exec, exec, s[10:11]
	v_mov_b32_e32 v5, s12
	s_and_saveexec_b64 s[10:11], s[8:9]
.LBB14_2073:
	v_lshrrev_b32_e32 v3, 24, v3
	s_movk_i32 s8, 0x80
	v_and_or_b32 v5, v3, s8, v4
.LBB14_2074:
	s_or_b64 exec, exec, s[10:11]
.LBB14_2075:
	s_or_b64 exec, exec, s[4:5]
	global_store_byte v[0:1], v5, off
.LBB14_2076:
	s_mov_b64 s[4:5], 0
.LBB14_2077:
	s_and_b64 vcc, exec, s[4:5]
	s_cbranch_vccz .LBB14_2117
; %bb.2078:
	v_cmp_lt_i16_e32 vcc, 22, v2
	s_mov_b64 s[2:3], -1
	s_cbranch_vccz .LBB14_2110
; %bb.2079:
	v_cmp_gt_i16_e32 vcc, 24, v2
	s_cbranch_vccnz .LBB14_2099
; %bb.2080:
	v_cmp_lt_i16_e32 vcc, 24, v2
	s_cbranch_vccz .LBB14_2088
; %bb.2081:
	v_cvt_f32_f64_e32 v3, v[8:9]
	v_and_b32_e32 v4, 0x7fffffff, v3
	s_mov_b32 s2, 0x47800000
	v_cmp_gt_u32_e32 vcc, s2, v4
	v_mov_b32_e32 v5, 0x80
	s_and_saveexec_b64 s[2:3], vcc
	s_cbranch_execz .LBB14_2087
; %bb.2082:
	s_mov_b32 s4, 0x37ffffff
	v_cmp_lt_u32_e32 vcc, s4, v4
	s_mov_b64 s[4:5], 0
                                        ; implicit-def: $vgpr4
	s_and_saveexec_b64 s[8:9], vcc
	s_xor_b64 s[8:9], exec, s[8:9]
	s_cbranch_execz .LBB14_2129
; %bb.2083:
	v_bfe_u32 v4, v3, 21, 1
	s_mov_b32 s10, 0x88fffff
	v_add3_u32 v4, v3, v4, s10
	s_mov_b64 s[4:5], exec
	v_lshrrev_b32_e32 v4, 21, v4
	s_or_saveexec_b64 s[8:9], s[8:9]
                                        ; implicit-def: $sgpr10
	s_xor_b64 exec, exec, s[8:9]
	s_cbranch_execnz .LBB14_2130
.LBB14_2084:
	s_or_b64 exec, exec, s[8:9]
	v_mov_b32_e32 v5, s10
	s_and_saveexec_b64 s[8:9], s[4:5]
.LBB14_2085:
	v_lshrrev_b32_e32 v3, 24, v3
	s_movk_i32 s4, 0x80
	v_and_or_b32 v5, v3, s4, v4
.LBB14_2086:
	s_or_b64 exec, exec, s[8:9]
.LBB14_2087:
	s_or_b64 exec, exec, s[2:3]
	s_mov_b64 s[2:3], 0
	global_store_byte v[0:1], v5, off
.LBB14_2088:
	s_and_b64 vcc, exec, s[2:3]
	s_cbranch_vccz .LBB14_2098
; %bb.2089:
	v_cvt_f32_f64_e32 v3, v[8:9]
	v_and_b32_e32 v5, 0x7fffffff, v3
	s_mov_b32 s2, 0x43f00000
	v_cmp_gt_u32_e32 vcc, s2, v5
                                        ; implicit-def: $vgpr4
	s_and_saveexec_b64 s[2:3], vcc
	s_xor_b64 s[2:3], exec, s[2:3]
	s_cbranch_execz .LBB14_2095
; %bb.2090:
	s_mov_b32 s4, 0x3c7fffff
	v_cmp_lt_u32_e32 vcc, s4, v5
                                        ; implicit-def: $vgpr4
	s_and_saveexec_b64 s[4:5], vcc
	s_xor_b64 s[4:5], exec, s[4:5]
; %bb.2091:
	v_bfe_u32 v4, v3, 20, 1
	s_mov_b32 s8, 0x407ffff
	v_add3_u32 v4, v3, v4, s8
	v_lshrrev_b32_e32 v5, 20, v4
	v_and_b32_e32 v4, 0xff00000, v4
	s_mov_b32 s8, 0x7f00000
	v_mov_b32_e32 v6, 0x7e
	v_cmp_ne_u32_e32 vcc, s8, v4
	v_cndmask_b32_e32 v4, v6, v5, vcc
; %bb.2092:
	s_andn2_saveexec_b64 s[4:5], s[4:5]
; %bb.2093:
	s_mov_b32 s8, 0x46800000
	v_add_f32_e64 v4, |v3|, s8
; %bb.2094:
	s_or_b64 exec, exec, s[4:5]
                                        ; implicit-def: $vgpr5
.LBB14_2095:
	s_andn2_saveexec_b64 s[2:3], s[2:3]
; %bb.2096:
	s_mov_b32 s4, 0x7f800000
	v_mov_b32_e32 v4, 0x7e
	v_mov_b32_e32 v6, 0x7f
	v_cmp_lt_u32_e32 vcc, s4, v5
	v_cndmask_b32_e32 v4, v4, v6, vcc
; %bb.2097:
	s_or_b64 exec, exec, s[2:3]
	v_lshrrev_b32_e32 v3, 24, v3
	s_movk_i32 s2, 0x80
	v_and_or_b32 v3, v3, s2, v4
	global_store_byte v[0:1], v3, off
.LBB14_2098:
	s_mov_b64 s[2:3], 0
.LBB14_2099:
	s_andn2_b64 vcc, exec, s[2:3]
	s_cbranch_vccnz .LBB14_2109
; %bb.2100:
	v_cvt_f32_f64_e32 v3, v[8:9]
	v_and_b32_e32 v5, 0x7fffffff, v3
	s_mov_b32 s2, 0x47800000
	v_cmp_gt_u32_e32 vcc, s2, v5
                                        ; implicit-def: $vgpr4
	s_and_saveexec_b64 s[2:3], vcc
	s_xor_b64 s[2:3], exec, s[2:3]
	s_cbranch_execz .LBB14_2106
; %bb.2101:
	s_mov_b32 s4, 0x387fffff
	v_cmp_lt_u32_e32 vcc, s4, v5
                                        ; implicit-def: $vgpr4
	s_and_saveexec_b64 s[4:5], vcc
	s_xor_b64 s[4:5], exec, s[4:5]
; %bb.2102:
	v_bfe_u32 v4, v3, 21, 1
	s_mov_b32 s8, 0x80fffff
	v_add3_u32 v4, v3, v4, s8
	v_lshrrev_b32_e32 v4, 21, v4
; %bb.2103:
	s_andn2_saveexec_b64 s[4:5], s[4:5]
; %bb.2104:
	s_mov_b32 s8, 0x43000000
	v_add_f32_e64 v4, |v3|, s8
; %bb.2105:
	s_or_b64 exec, exec, s[4:5]
                                        ; implicit-def: $vgpr5
.LBB14_2106:
	s_andn2_saveexec_b64 s[2:3], s[2:3]
; %bb.2107:
	s_mov_b32 s4, 0x7f800000
	v_mov_b32_e32 v4, 0x7c
	v_mov_b32_e32 v6, 0x7f
	v_cmp_lt_u32_e32 vcc, s4, v5
	v_cndmask_b32_e32 v4, v4, v6, vcc
; %bb.2108:
	s_or_b64 exec, exec, s[2:3]
	v_lshrrev_b32_e32 v3, 24, v3
	s_movk_i32 s2, 0x80
	v_and_or_b32 v3, v3, s2, v4
	global_store_byte v[0:1], v3, off
.LBB14_2109:
	s_mov_b64 s[2:3], 0
.LBB14_2110:
	s_andn2_b64 vcc, exec, s[2:3]
	s_mov_b64 s[2:3], 0
	s_cbranch_vccnz .LBB14_2117
; %bb.2111:
	v_cmp_lt_i16_e32 vcc, 14, v2
	s_mov_b64 s[4:5], -1
	s_cbranch_vccz .LBB14_2115
; %bb.2112:
	v_cmp_eq_u16_e32 vcc, 15, v2
	s_mov_b64 s[0:1], -1
	s_cbranch_vccz .LBB14_2114
; %bb.2113:
	v_cvt_f32_f64_e32 v3, v[8:9]
	v_bfe_u32 v4, v3, 16, 1
	s_movk_i32 s0, 0x7fff
	v_add3_u32 v4, v3, v4, s0
	v_lshrrev_b32_e32 v4, 16, v4
	v_mov_b32_e32 v5, 0x7fc0
	v_cmp_o_f32_e32 vcc, v3, v3
	v_cndmask_b32_e32 v3, v5, v4, vcc
	global_store_short v[0:1], v3, off
	s_mov_b64 s[0:1], 0
.LBB14_2114:
	s_mov_b64 s[4:5], 0
.LBB14_2115:
	s_and_b64 vcc, exec, s[4:5]
	s_cbranch_vccz .LBB14_2117
; %bb.2116:
	v_cmp_ne_u16_e64 s[0:1], 11, v2
	s_mov_b64 s[2:3], -1
.LBB14_2117:
	s_and_b64 vcc, exec, s[0:1]
	s_cbranch_vccnz .LBB14_2128
.LBB14_2118:
	s_mov_b64 s[0:1], 0
	s_branch .LBB14_1619
.LBB14_2119:
	s_mov_b64 s[0:1], 0
                                        ; implicit-def: $vgpr2
                                        ; implicit-def: $vgpr0_vgpr1
	s_branch .LBB14_1618
.LBB14_2120:
	s_mov_b64 s[2:3], 0
	s_mov_b64 s[0:1], -1
	s_branch .LBB14_1619
.LBB14_2121:
	s_or_saveexec_b64 s[12:13], s[12:13]
                                        ; implicit-def: $sgpr15
	s_xor_b64 exec, exec, s[12:13]
	s_cbranch_execz .LBB14_1953
.LBB14_2122:
	s_mov_b32 s15, 0x46000000
	v_add_f32_e64 v4, |v3|, s15
	v_and_b32_e32 v4, 0xff, v4
	v_cmp_ne_u32_e32 vcc, 0, v4
	s_andn2_b64 s[10:11], s[10:11], exec
	s_and_b64 s[20:21], vcc, exec
	s_mov_b32 s15, 0
	s_or_b64 s[10:11], s[10:11], s[20:21]
	s_or_b64 exec, exec, s[12:13]
	v_mov_b32_e32 v5, s15
	s_and_saveexec_b64 s[12:13], s[10:11]
	s_cbranch_execnz .LBB14_1954
	s_branch .LBB14_1955
.LBB14_2123:
	s_trap 2
	s_or_b64 s[18:19], s[18:19], exec
	s_cbranch_execz .LBB14_2001
	s_branch .LBB14_2002
.LBB14_2124:
	s_or_saveexec_b64 s[10:11], s[10:11]
                                        ; implicit-def: $sgpr12
	s_xor_b64 exec, exec, s[10:11]
	s_cbranch_execz .LBB14_1966
.LBB14_2125:
	s_mov_b32 s12, 0x42800000
	v_add_f32_e64 v4, |v3|, s12
	v_and_b32_e32 v4, 0xff, v4
	v_cmp_ne_u32_e32 vcc, 0, v4
	s_andn2_b64 s[4:5], s[4:5], exec
	s_and_b64 s[20:21], vcc, exec
	s_mov_b32 s12, 0
	s_or_b64 s[4:5], s[4:5], s[20:21]
	s_or_b64 exec, exec, s[10:11]
	v_mov_b32_e32 v5, s12
	s_and_saveexec_b64 s[10:11], s[4:5]
	s_cbranch_execnz .LBB14_1967
	s_branch .LBB14_1968
.LBB14_2126:
	s_or_saveexec_b64 s[10:11], s[10:11]
                                        ; implicit-def: $sgpr12
	s_xor_b64 exec, exec, s[10:11]
	s_cbranch_execz .LBB14_2072
.LBB14_2127:
	s_mov_b32 s12, 0x46000000
	v_add_f32_e64 v4, |v3|, s12
	v_and_b32_e32 v4, 0xff, v4
	v_cmp_ne_u32_e32 vcc, 0, v4
	s_andn2_b64 s[8:9], s[8:9], exec
	s_and_b64 s[14:15], vcc, exec
	s_mov_b32 s12, 0
	s_or_b64 s[8:9], s[8:9], s[14:15]
	s_or_b64 exec, exec, s[10:11]
	v_mov_b32_e32 v5, s12
	s_and_saveexec_b64 s[10:11], s[8:9]
	s_cbranch_execnz .LBB14_2073
	s_branch .LBB14_2074
.LBB14_2128:
	s_mov_b64 s[2:3], 0
	s_or_b64 s[18:19], s[18:19], exec
	s_trap 2
	s_branch .LBB14_2118
.LBB14_2129:
	s_or_saveexec_b64 s[8:9], s[8:9]
                                        ; implicit-def: $sgpr10
	s_xor_b64 exec, exec, s[8:9]
	s_cbranch_execz .LBB14_2084
.LBB14_2130:
	s_mov_b32 s10, 0x42800000
	v_add_f32_e64 v4, |v3|, s10
	v_and_b32_e32 v4, 0xff, v4
	v_cmp_ne_u32_e32 vcc, 0, v4
	s_andn2_b64 s[4:5], s[4:5], exec
	s_and_b64 s[12:13], vcc, exec
	s_mov_b32 s10, 0
	s_or_b64 s[4:5], s[4:5], s[12:13]
	s_or_b64 exec, exec, s[8:9]
	v_mov_b32_e32 v5, s10
	s_and_saveexec_b64 s[8:9], s[4:5]
	s_cbranch_execnz .LBB14_2085
	s_branch .LBB14_2086
	.section	.rodata,"a",@progbits
	.p2align	6, 0x0
	.amdhsa_kernel _ZN2at6native32elementwise_kernel_manual_unrollILi128ELi4EZNS0_15gpu_kernel_implINS0_13BUnaryFunctorIdddZZZNS0_12_GLOBAL__N_133hermite_polynomial_he_kernel_cudaERNS_18TensorIteratorBaseEENKUlvE_clEvENKUlvE_clEvEUlddE_EEEEvS6_RKT_EUlibE_EEviT1_
		.amdhsa_group_segment_fixed_size 0
		.amdhsa_private_segment_fixed_size 0
		.amdhsa_kernarg_size 56
		.amdhsa_user_sgpr_count 6
		.amdhsa_user_sgpr_private_segment_buffer 1
		.amdhsa_user_sgpr_dispatch_ptr 0
		.amdhsa_user_sgpr_queue_ptr 0
		.amdhsa_user_sgpr_kernarg_segment_ptr 1
		.amdhsa_user_sgpr_dispatch_id 0
		.amdhsa_user_sgpr_flat_scratch_init 0
		.amdhsa_user_sgpr_kernarg_preload_length 0
		.amdhsa_user_sgpr_kernarg_preload_offset 0
		.amdhsa_user_sgpr_private_segment_size 0
		.amdhsa_uses_dynamic_stack 0
		.amdhsa_system_sgpr_private_segment_wavefront_offset 0
		.amdhsa_system_sgpr_workgroup_id_x 1
		.amdhsa_system_sgpr_workgroup_id_y 0
		.amdhsa_system_sgpr_workgroup_id_z 0
		.amdhsa_system_sgpr_workgroup_info 0
		.amdhsa_system_vgpr_workitem_id 0
		.amdhsa_next_free_vgpr 18
		.amdhsa_next_free_sgpr 52
		.amdhsa_accum_offset 20
		.amdhsa_reserve_vcc 1
		.amdhsa_reserve_flat_scratch 0
		.amdhsa_float_round_mode_32 0
		.amdhsa_float_round_mode_16_64 0
		.amdhsa_float_denorm_mode_32 3
		.amdhsa_float_denorm_mode_16_64 3
		.amdhsa_dx10_clamp 1
		.amdhsa_ieee_mode 1
		.amdhsa_fp16_overflow 0
		.amdhsa_tg_split 0
		.amdhsa_exception_fp_ieee_invalid_op 0
		.amdhsa_exception_fp_denorm_src 0
		.amdhsa_exception_fp_ieee_div_zero 0
		.amdhsa_exception_fp_ieee_overflow 0
		.amdhsa_exception_fp_ieee_underflow 0
		.amdhsa_exception_fp_ieee_inexact 0
		.amdhsa_exception_int_div_zero 0
	.end_amdhsa_kernel
	.section	.text._ZN2at6native32elementwise_kernel_manual_unrollILi128ELi4EZNS0_15gpu_kernel_implINS0_13BUnaryFunctorIdddZZZNS0_12_GLOBAL__N_133hermite_polynomial_he_kernel_cudaERNS_18TensorIteratorBaseEENKUlvE_clEvENKUlvE_clEvEUlddE_EEEEvS6_RKT_EUlibE_EEviT1_,"axG",@progbits,_ZN2at6native32elementwise_kernel_manual_unrollILi128ELi4EZNS0_15gpu_kernel_implINS0_13BUnaryFunctorIdddZZZNS0_12_GLOBAL__N_133hermite_polynomial_he_kernel_cudaERNS_18TensorIteratorBaseEENKUlvE_clEvENKUlvE_clEvEUlddE_EEEEvS6_RKT_EUlibE_EEviT1_,comdat
.Lfunc_end14:
	.size	_ZN2at6native32elementwise_kernel_manual_unrollILi128ELi4EZNS0_15gpu_kernel_implINS0_13BUnaryFunctorIdddZZZNS0_12_GLOBAL__N_133hermite_polynomial_he_kernel_cudaERNS_18TensorIteratorBaseEENKUlvE_clEvENKUlvE_clEvEUlddE_EEEEvS6_RKT_EUlibE_EEviT1_, .Lfunc_end14-_ZN2at6native32elementwise_kernel_manual_unrollILi128ELi4EZNS0_15gpu_kernel_implINS0_13BUnaryFunctorIdddZZZNS0_12_GLOBAL__N_133hermite_polynomial_he_kernel_cudaERNS_18TensorIteratorBaseEENKUlvE_clEvENKUlvE_clEvEUlddE_EEEEvS6_RKT_EUlibE_EEviT1_
                                        ; -- End function
	.section	.AMDGPU.csdata,"",@progbits
; Kernel info:
; codeLenInByte = 35876
; NumSgprs: 56
; NumVgprs: 18
; NumAgprs: 0
; TotalNumVgprs: 18
; ScratchSize: 0
; MemoryBound: 1
; FloatMode: 240
; IeeeMode: 1
; LDSByteSize: 0 bytes/workgroup (compile time only)
; SGPRBlocks: 6
; VGPRBlocks: 2
; NumSGPRsForWavesPerEU: 56
; NumVGPRsForWavesPerEU: 18
; AccumOffset: 20
; Occupancy: 8
; WaveLimiterHint : 0
; COMPUTE_PGM_RSRC2:SCRATCH_EN: 0
; COMPUTE_PGM_RSRC2:USER_SGPR: 6
; COMPUTE_PGM_RSRC2:TRAP_HANDLER: 0
; COMPUTE_PGM_RSRC2:TGID_X_EN: 1
; COMPUTE_PGM_RSRC2:TGID_Y_EN: 0
; COMPUTE_PGM_RSRC2:TGID_Z_EN: 0
; COMPUTE_PGM_RSRC2:TIDIG_COMP_CNT: 0
; COMPUTE_PGM_RSRC3_GFX90A:ACCUM_OFFSET: 4
; COMPUTE_PGM_RSRC3_GFX90A:TG_SPLIT: 0
	.section	.text._ZN2at6native32elementwise_kernel_manual_unrollILi128ELi4EZNS0_15gpu_kernel_implINS0_13BUnaryFunctorIdddZZZNS0_12_GLOBAL__N_133hermite_polynomial_he_kernel_cudaERNS_18TensorIteratorBaseEENKUlvE_clEvENKUlvE_clEvEUlddE_EEEEvS6_RKT_EUlibE0_EEviT1_,"axG",@progbits,_ZN2at6native32elementwise_kernel_manual_unrollILi128ELi4EZNS0_15gpu_kernel_implINS0_13BUnaryFunctorIdddZZZNS0_12_GLOBAL__N_133hermite_polynomial_he_kernel_cudaERNS_18TensorIteratorBaseEENKUlvE_clEvENKUlvE_clEvEUlddE_EEEEvS6_RKT_EUlibE0_EEviT1_,comdat
	.globl	_ZN2at6native32elementwise_kernel_manual_unrollILi128ELi4EZNS0_15gpu_kernel_implINS0_13BUnaryFunctorIdddZZZNS0_12_GLOBAL__N_133hermite_polynomial_he_kernel_cudaERNS_18TensorIteratorBaseEENKUlvE_clEvENKUlvE_clEvEUlddE_EEEEvS6_RKT_EUlibE0_EEviT1_ ; -- Begin function _ZN2at6native32elementwise_kernel_manual_unrollILi128ELi4EZNS0_15gpu_kernel_implINS0_13BUnaryFunctorIdddZZZNS0_12_GLOBAL__N_133hermite_polynomial_he_kernel_cudaERNS_18TensorIteratorBaseEENKUlvE_clEvENKUlvE_clEvEUlddE_EEEEvS6_RKT_EUlibE0_EEviT1_
	.p2align	8
	.type	_ZN2at6native32elementwise_kernel_manual_unrollILi128ELi4EZNS0_15gpu_kernel_implINS0_13BUnaryFunctorIdddZZZNS0_12_GLOBAL__N_133hermite_polynomial_he_kernel_cudaERNS_18TensorIteratorBaseEENKUlvE_clEvENKUlvE_clEvEUlddE_EEEEvS6_RKT_EUlibE0_EEviT1_,@function
_ZN2at6native32elementwise_kernel_manual_unrollILi128ELi4EZNS0_15gpu_kernel_implINS0_13BUnaryFunctorIdddZZZNS0_12_GLOBAL__N_133hermite_polynomial_he_kernel_cudaERNS_18TensorIteratorBaseEENKUlvE_clEvENKUlvE_clEvEUlddE_EEEEvS6_RKT_EUlibE0_EEviT1_: ; @_ZN2at6native32elementwise_kernel_manual_unrollILi128ELi4EZNS0_15gpu_kernel_implINS0_13BUnaryFunctorIdddZZZNS0_12_GLOBAL__N_133hermite_polynomial_he_kernel_cudaERNS_18TensorIteratorBaseEENKUlvE_clEvENKUlvE_clEvEUlddE_EEEEvS6_RKT_EUlibE0_EEviT1_
; %bb.0:
	s_load_dword s78, s[4:5], 0x0
	s_load_dword s33, s[4:5], 0x8
	s_or_b32 s34, s4, 8
	v_lshl_or_b32 v9, s6, 9, v0
	v_or_b32_e32 v16, 0x180, v9
	s_mov_b32 s35, s5
	s_waitcnt lgkmcnt(0)
	s_add_i32 s80, s33, -1
	s_cmp_gt_u32 s80, 1
	v_cmp_le_i32_e32 vcc, s78, v16
	s_cselect_b64 s[44:45], -1, 0
	s_mov_b64 s[6:7], 0
	s_mov_b64 s[28:29], 0
	s_and_saveexec_b64 s[0:1], vcc
	s_xor_b64 s[46:47], exec, s[0:1]
	s_cbranch_execz .LBB15_1130
; %bb.1:
	s_load_dwordx4 s[28:31], s[34:35], 0x4
	s_load_dwordx2 s[52:53], s[34:35], 0x14
	s_load_dwordx2 s[0:1], s[34:35], 0x160
	s_load_dword s81, s[34:35], 0x168
	s_cmp_lg_u32 s33, 0
	s_load_dwordx4 s[36:39], s[34:35], 0xc4
	s_load_dwordx4 s[24:27], s[34:35], 0x148
	s_cselect_b64 s[58:59], -1, 0
	s_waitcnt lgkmcnt(0)
	v_trunc_f64_e32 v[0:1], s[0:1]
	s_movk_i32 s0, 0xffe0
	v_ldexp_f64 v[2:3], v[0:1], s0
	v_floor_f64_e32 v[2:3], v[2:3]
	v_fmac_f64_e32 v[0:1], 0xc1f00000, v[2:3]
	s_add_u32 s56, s34, 0xc4
	v_cvt_u32_f64_e32 v0, v[0:1]
	s_addc_u32 s57, s35, 0
	s_min_u32 s79, s80, 15
	v_cvt_i32_f64_e32 v4, v[2:3]
	v_readfirstlane_b32 s48, v0
	v_mov_b32_e32 v0, 0x201
	s_cmp_gt_u32 s33, 1
	v_readfirstlane_b32 s49, v4
	v_mov_b32_e32 v1, 0
	s_cselect_b64 s[54:55], -1, 0
	v_lshrrev_b16_e64 v8, 8, s81
	s_mov_b64 s[2:3], -1
	v_cmp_gt_i64_e64 s[50:51], s[48:49], -1
	v_cmp_lt_u64_e64 s[0:1], s[48:49], v[0:1]
	v_cmp_gt_i32_e32 vcc, s78, v9
	s_mov_b64 s[68:69], 0
	s_mov_b64 s[62:63], 0
	;; [unrolled: 1-line block ×3, first 2 shown]
	s_and_saveexec_b64 s[64:65], vcc
	s_cbranch_execz .LBB15_277
; %bb.2:
	s_andn2_b64 vcc, exec, s[44:45]
	s_cbranch_vccnz .LBB15_8
; %bb.3:
	s_mov_b32 s2, 0
	s_andn2_b64 vcc, exec, s[58:59]
	v_mov_b32_e32 v0, 0
	v_mov_b32_e32 v2, 0
	s_cbranch_vccnz .LBB15_14
; %bb.4:
	s_add_i32 s66, s79, 1
	s_cmp_eq_u32 s80, 2
	s_cbranch_scc1 .LBB15_9
; %bb.5:
	s_and_b32 s2, s66, 28
	s_mov_b32 s3, 0
	v_mov_b32_e32 v2, 0
	s_mov_b64 s[60:61], s[34:35]
	s_mov_b64 s[62:63], s[56:57]
	v_mov_b32_e32 v1, v9
	v_mov_b32_e32 v0, 0
.LBB15_6:                               ; =>This Inner Loop Header: Depth=1
	s_load_dwordx8 s[16:23], s[60:61], 0x4
	s_load_dwordx4 s[40:43], s[60:61], 0x24
	s_load_dwordx8 s[8:15], s[62:63], 0x0
	s_add_u32 s60, s60, 48
	s_addc_u32 s61, s61, 0
	s_waitcnt lgkmcnt(0)
	v_mul_hi_u32 v3, s17, v1
	v_add_u32_e32 v3, v1, v3
	v_lshrrev_b32_e32 v3, s18, v3
	v_mul_lo_u32 v4, v3, s16
	v_mul_hi_u32 v5, s20, v3
	v_sub_u32_e32 v1, v1, v4
	v_add_u32_e32 v4, v3, v5
	v_lshrrev_b32_e32 v4, s21, v4
	v_mul_lo_u32 v6, v4, s19
	v_mul_hi_u32 v7, s23, v4
	v_sub_u32_e32 v3, v3, v6
	v_add_u32_e32 v6, v4, v7
	v_mul_lo_u32 v5, v1, s9
	v_mul_lo_u32 v1, v1, s8
	v_mul_lo_u32 v7, v3, s11
	v_mul_lo_u32 v3, v3, s10
	v_lshrrev_b32_e32 v6, s40, v6
	v_add3_u32 v2, v1, v2, v3
	v_mul_lo_u32 v1, v6, s22
	v_mul_hi_u32 v3, s42, v6
	v_sub_u32_e32 v1, v4, v1
	v_add_u32_e32 v3, v6, v3
	v_add3_u32 v0, v5, v0, v7
	v_mul_lo_u32 v4, v1, s12
	v_mul_lo_u32 v5, v1, s13
	v_lshrrev_b32_e32 v1, s43, v3
	s_add_i32 s3, s3, 4
	v_mul_lo_u32 v3, v1, s41
	s_add_u32 s62, s62, 32
	v_sub_u32_e32 v3, v6, v3
	s_addc_u32 s63, s63, 0
	v_mul_lo_u32 v6, v3, s14
	v_mul_lo_u32 v3, v3, s15
	s_cmp_lg_u32 s2, s3
	v_add3_u32 v0, v5, v0, v3
	v_add3_u32 v2, v4, v2, v6
	s_cbranch_scc1 .LBB15_6
; %bb.7:
	v_mov_b32_e32 v3, v0
	s_branch .LBB15_10
.LBB15_8:
                                        ; implicit-def: $vgpr0
                                        ; implicit-def: $vgpr2
	s_andn2_b64 vcc, exec, s[2:3]
	s_cbranch_vccz .LBB15_15
	s_branch .LBB15_17
.LBB15_9:
	s_mov_b32 s3, s2
	v_pk_mov_b32 v[2:3], s[2:3], s[2:3] op_sel:[0,1]
                                        ; implicit-def: $vgpr0
	v_mov_b32_e32 v1, v9
.LBB15_10:
	s_and_b32 s10, s66, 3
	s_cmp_eq_u32 s10, 0
	s_cbranch_scc1 .LBB15_14
; %bb.11:
	s_lshl_b32 s3, s2, 3
	s_add_u32 s3, s3, s34
	s_addc_u32 s9, s35, 0
	s_add_u32 s8, s3, 0xc4
	s_addc_u32 s9, s9, 0
	s_mul_i32 s2, s2, 12
	s_add_u32 s2, s34, s2
	s_addc_u32 s3, s35, 0
.LBB15_12:                              ; =>This Inner Loop Header: Depth=1
	s_load_dwordx2 s[12:13], s[2:3], 0x4
	s_load_dword s11, s[2:3], 0xc
	s_load_dwordx2 s[14:15], s[8:9], 0x0
	v_mov_b32_e32 v0, v3
	s_add_u32 s2, s2, 12
	s_waitcnt lgkmcnt(0)
	v_mul_hi_u32 v3, s13, v1
	v_add_u32_e32 v3, v1, v3
	v_lshrrev_b32_e32 v3, s11, v3
	s_addc_u32 s3, s3, 0
	v_mul_lo_u32 v4, v3, s12
	s_add_u32 s8, s8, 8
	v_sub_u32_e32 v6, v1, v4
	v_mov_b32_e32 v1, v3
	s_addc_u32 s9, s9, 0
	s_add_i32 s10, s10, -1
	v_mad_u64_u32 v[4:5], s[12:13], v6, s15, v[0:1]
	v_mad_u64_u32 v[2:3], s[12:13], v6, s14, v[2:3]
	s_cmp_lg_u32 s10, 0
	v_mov_b32_e32 v3, v4
	s_cbranch_scc1 .LBB15_12
; %bb.13:
	v_mov_b32_e32 v0, v3
.LBB15_14:
	s_cbranch_execnz .LBB15_17
.LBB15_15:
	v_mul_hi_u32 v0, s29, v9
	v_add_u32_e32 v0, v9, v0
	v_lshrrev_b32_e32 v1, s30, v0
	v_mul_lo_u32 v0, v1, s28
	v_sub_u32_e32 v2, v9, v0
	v_mul_lo_u32 v0, v2, s37
	s_andn2_b64 vcc, exec, s[54:55]
	v_mul_lo_u32 v2, v2, s36
	s_cbranch_vccnz .LBB15_17
; %bb.16:
	v_mul_hi_u32 v3, s52, v1
	v_add_u32_e32 v3, v1, v3
	v_lshrrev_b32_e32 v3, s53, v3
	v_mul_lo_u32 v3, v3, s31
	v_sub_u32_e32 v1, v1, v3
	v_mad_u64_u32 v[2:3], s[2:3], v1, s38, v[2:3]
	v_mad_u64_u32 v[0:1], s[2:3], v1, s39, v[0:1]
.LBB15_17:
	v_mov_b32_e32 v1, s27
	v_add_co_u32_e32 v0, vcc, s26, v0
	v_addc_co_u32_e32 v1, vcc, 0, v1, vcc
	v_cmp_gt_i16_e32 vcc, 11, v8
	s_cbranch_vccnz .LBB15_24
; %bb.18:
	v_cmp_lt_i16_e32 vcc, 25, v8
	s_cbranch_vccz .LBB15_33
; %bb.19:
	v_cmp_lt_i16_e32 vcc, 28, v8
	s_cbranch_vccz .LBB15_34
	;; [unrolled: 3-line block ×4, first 2 shown]
; %bb.22:
	v_cmp_eq_u16_e32 vcc, 46, v8
	s_mov_b64 s[10:11], 0
	s_cbranch_vccz .LBB15_52
; %bb.23:
	global_load_dword v3, v[0:1], off
	s_mov_b64 s[2:3], -1
	s_mov_b64 s[8:9], 0
	s_waitcnt vmcnt(0)
	v_lshlrev_b32_e32 v3, 16, v3
	v_cvt_f64_f32_e32 v[4:5], v3
	s_branch .LBB15_54
.LBB15_24:
	s_mov_b64 s[8:9], 0
                                        ; implicit-def: $vgpr4_vgpr5
	s_mov_b64 s[2:3], 0
	s_cbranch_execnz .LBB15_227
.LBB15_25:
	s_andn2_b64 vcc, exec, s[2:3]
	s_cbranch_vccnz .LBB15_274
.LBB15_26:
	s_andn2_b64 vcc, exec, s[50:51]
	v_pk_mov_b32 v[0:1], 0, 0
	s_cbranch_vccnz .LBB15_39
; %bb.27:
	v_cmp_lt_i64_e64 s[2:3], s[48:49], 1
	v_mov_b32_e32 v0, 0
	s_and_b64 vcc, exec, s[2:3]
	v_mov_b32_e32 v1, 0x3ff00000
	s_cbranch_vccnz .LBB15_39
; %bb.28:
	s_cmp_lg_u64 s[48:49], 1
	s_cbranch_scc0 .LBB15_36
; %bb.29:
	v_mov_b32_e32 v0, 0
	s_andn2_b64 vcc, exec, s[0:1]
	v_mov_b32_e32 v1, 0x7ff80000
	s_cbranch_vccnz .LBB15_32
; %bb.30:
	v_mov_b32_e32 v6, 0
	s_mov_b64 s[2:3], 1
	v_mov_b32_e32 v7, 0x3ff00000
	s_waitcnt vmcnt(0)
	v_pk_mov_b32 v[0:1], v[4:5], v[4:5] op_sel:[0,1]
.LBB15_31:                              ; =>This Inner Loop Header: Depth=1
	v_cvt_f64_u32_e32 v[10:11], s3
	v_cvt_f64_u32_e32 v[12:13], s2
	v_ldexp_f64 v[10:11], v[10:11], 32
	s_add_u32 s2, s2, 1
	v_add_f64 v[10:11], v[10:11], v[12:13]
	s_addc_u32 s3, s3, 0
	v_mul_f64 v[10:11], v[6:7], v[10:11]
	s_cmp_lg_u64 s[48:49], s[2:3]
	v_pk_mov_b32 v[6:7], v[0:1], v[0:1] op_sel:[0,1]
	v_fma_f64 v[0:1], v[4:5], v[0:1], -v[10:11]
	s_cbranch_scc1 .LBB15_31
.LBB15_32:
	s_mov_b64 s[2:3], 0
	s_branch .LBB15_37
.LBB15_33:
	s_mov_b64 s[8:9], 0
	s_mov_b64 s[2:3], 0
                                        ; implicit-def: $vgpr4_vgpr5
	s_cbranch_execnz .LBB15_192
	s_branch .LBB15_226
.LBB15_34:
	s_mov_b64 s[10:11], -1
	s_mov_b64 s[8:9], 0
	s_mov_b64 s[2:3], 0
                                        ; implicit-def: $vgpr4_vgpr5
	s_branch .LBB15_173
.LBB15_35:
	s_mov_b64 s[10:11], -1
	s_mov_b64 s[8:9], 0
	s_mov_b64 s[2:3], 0
                                        ; implicit-def: $vgpr4_vgpr5
	s_branch .LBB15_168
.LBB15_36:
	s_mov_b64 s[2:3], -1
                                        ; implicit-def: $vgpr0_vgpr1
.LBB15_37:
	s_andn2_b64 vcc, exec, s[2:3]
	s_cbranch_vccnz .LBB15_39
; %bb.38:
	s_waitcnt vmcnt(0)
	v_pk_mov_b32 v[0:1], v[4:5], v[4:5] op_sel:[0,1]
.LBB15_39:
	v_mov_b32_e32 v3, s25
	s_waitcnt vmcnt(0)
	v_add_co_u32_e32 v4, vcc, s24, v2
	v_mov_b32_e32 v2, 11
	v_addc_co_u32_e32 v5, vcc, 0, v3, vcc
	v_cmp_lt_i16_sdwa s[2:3], s81, v2 src0_sel:BYTE_0 src1_sel:DWORD
	s_and_b64 vcc, exec, s[2:3]
	s_cbranch_vccnz .LBB15_46
; %bb.40:
	v_mov_b32_e32 v2, 25
	v_cmp_gt_i16_sdwa s[2:3], s81, v2 src0_sel:BYTE_0 src1_sel:DWORD
	s_and_b64 vcc, exec, s[2:3]
	s_cbranch_vccz .LBB15_48
; %bb.41:
	v_mov_b32_e32 v2, 28
	v_cmp_gt_i16_sdwa s[2:3], s81, v2 src0_sel:BYTE_0 src1_sel:DWORD
	s_and_b64 vcc, exec, s[2:3]
	s_cbranch_vccz .LBB15_49
	;; [unrolled: 5-line block ×4, first 2 shown]
; %bb.44:
	v_mov_b32_e32 v2, 46
	v_cmp_eq_u16_sdwa s[10:11], s81, v2 src0_sel:BYTE_0 src1_sel:DWORD
	s_mov_b64 s[12:13], 0
	s_mov_b64 s[2:3], -1
	s_and_b64 vcc, exec, s[10:11]
	s_mov_b64 s[10:11], 0
	s_cbranch_vccz .LBB15_58
; %bb.45:
	v_cvt_f32_f64_e32 v2, v[0:1]
	v_bfe_u32 v3, v2, 16, 1
	s_movk_i32 s2, 0x7fff
	v_add3_u32 v3, v2, v3, s2
	v_lshrrev_b32_e32 v3, 16, v3
	v_mov_b32_e32 v6, 0x7fc0
	v_cmp_o_f32_e32 vcc, v2, v2
	v_cndmask_b32_e32 v2, v6, v3, vcc
	global_store_dword v[4:5], v2, off
	s_mov_b64 s[10:11], -1
	s_mov_b64 s[2:3], 0
	s_branch .LBB15_58
.LBB15_46:
	s_mov_b64 s[2:3], 0
	s_mov_b64 s[10:11], 0
	s_cbranch_execnz .LBB15_127
.LBB15_47:
	s_andn2_b64 vcc, exec, s[10:11]
	s_cbranch_vccnz .LBB15_275
	s_branch .LBB15_165
.LBB15_48:
	s_mov_b64 s[12:13], -1
	s_mov_b64 s[2:3], 0
	s_mov_b64 s[10:11], 0
	s_branch .LBB15_85
.LBB15_49:
	s_mov_b64 s[12:13], -1
	s_mov_b64 s[2:3], 0
	s_mov_b64 s[10:11], 0
	s_branch .LBB15_68
.LBB15_50:
	s_mov_b64 s[10:11], -1
	s_mov_b64 s[8:9], 0
	s_branch .LBB15_53
.LBB15_51:
	s_mov_b64 s[12:13], -1
	s_mov_b64 s[2:3], 0
	s_mov_b64 s[10:11], 0
	s_branch .LBB15_64
.LBB15_52:
	s_mov_b64 s[8:9], -1
.LBB15_53:
	s_mov_b64 s[2:3], 0
                                        ; implicit-def: $vgpr4_vgpr5
.LBB15_54:
	s_and_b64 vcc, exec, s[10:11]
	s_cbranch_vccz .LBB15_167
; %bb.55:
	v_cmp_eq_u16_e32 vcc, 44, v8
	s_cbranch_vccz .LBB15_166
; %bb.56:
	global_load_ubyte v3, v[0:1], off
	s_movk_i32 s8, 0xff
	v_bfrev_b32_e32 v6, 4
	v_mov_b32_e32 v7, 0x7ff80000
	v_bfrev_b32_e32 v10, 28
	s_mov_b64 s[2:3], -1
	s_waitcnt vmcnt(0)
	v_lshlrev_b32_e32 v4, 23, v3
	v_cvt_f64_f32_e32 v[4:5], v4
	v_cmp_ne_u32_e32 vcc, s8, v3
	v_cndmask_b32_e32 v4, v6, v4, vcc
	v_cndmask_b32_e32 v5, v7, v5, vcc
	v_cmp_ne_u32_e32 vcc, 0, v3
	v_cndmask_b32_e32 v5, v10, v5, vcc
	v_cndmask_b32_e32 v4, 0, v4, vcc
	s_mov_b64 s[8:9], 0
	s_branch .LBB15_167
.LBB15_57:
	s_mov_b64 s[12:13], -1
	s_mov_b64 s[2:3], 0
	s_mov_b64 s[10:11], 0
.LBB15_58:
	s_and_b64 vcc, exec, s[12:13]
	s_cbranch_vccz .LBB15_63
; %bb.59:
	v_mov_b32_e32 v2, 44
	v_cmp_eq_u16_sdwa s[12:13], s81, v2 src0_sel:BYTE_0 src1_sel:DWORD
	s_mov_b64 s[2:3], -1
	s_and_b64 vcc, exec, s[12:13]
	s_cbranch_vccz .LBB15_63
; %bb.60:
	v_cvt_f32_f64_e32 v2, v[0:1]
	v_bfe_u32 v3, v2, 23, 8
	s_movk_i32 s2, 0xff
	v_cmp_ne_u32_e32 vcc, s2, v3
	v_mov_b32_e32 v6, 0xff
	s_and_saveexec_b64 s[10:11], vcc
; %bb.61:
	s_mov_b32 s2, 0x3fffff
	v_lshrrev_b32_e32 v6, 23, v2
	v_and_b32_e32 v7, 0x400000, v2
	v_and_or_b32 v2, v2, s2, v3
	v_cmp_ne_u32_e32 vcc, 0, v7
	v_cmp_ne_u32_e64 s[2:3], 0, v2
	s_and_b64 s[2:3], vcc, s[2:3]
	v_cndmask_b32_e64 v2, 0, 1, s[2:3]
	v_add_u32_e32 v6, v6, v2
; %bb.62:
	s_or_b64 exec, exec, s[10:11]
	s_mov_b64 s[10:11], -1
	s_mov_b64 s[2:3], 0
	global_store_byte v[4:5], v6, off
.LBB15_63:
	s_mov_b64 s[12:13], 0
.LBB15_64:
	s_and_b64 vcc, exec, s[12:13]
	s_cbranch_vccz .LBB15_67
; %bb.65:
	v_mov_b32_e32 v2, 29
	v_cmp_eq_u16_sdwa s[12:13], s81, v2 src0_sel:BYTE_0 src1_sel:DWORD
	s_mov_b64 s[2:3], -1
	s_and_b64 vcc, exec, s[12:13]
	s_cbranch_vccz .LBB15_67
; %bb.66:
	v_trunc_f64_e32 v[2:3], v[0:1]
	s_movk_i32 s2, 0xffe0
	v_ldexp_f64 v[6:7], v[2:3], s2
	v_floor_f64_e32 v[6:7], v[6:7]
	v_fmac_f64_e32 v[2:3], 0xc1f00000, v[6:7]
	v_cvt_u32_f64_e32 v11, v[6:7]
	v_cvt_u32_f64_e32 v10, v[2:3]
	global_store_dwordx2 v[4:5], v[10:11], off
	s_mov_b64 s[10:11], -1
	s_mov_b64 s[2:3], 0
.LBB15_67:
	s_mov_b64 s[12:13], 0
.LBB15_68:
	s_and_b64 vcc, exec, s[12:13]
	s_cbranch_vccz .LBB15_84
; %bb.69:
	v_mov_b32_e32 v2, 27
	v_cmp_lt_i16_sdwa s[12:13], s81, v2 src0_sel:BYTE_0 src1_sel:DWORD
	s_mov_b64 s[10:11], -1
	s_and_b64 vcc, exec, s[12:13]
	s_cbranch_vccnz .LBB15_75
; %bb.70:
	v_cmp_gt_i16_sdwa s[12:13], s81, v2 src0_sel:BYTE_0 src1_sel:DWORD
	s_and_b64 vcc, exec, s[12:13]
	v_cvt_u32_f64_e32 v2, v[0:1]
	s_cbranch_vccz .LBB15_72
; %bb.71:
	s_mov_b64 s[10:11], 0
	global_store_dword v[4:5], v2, off
.LBB15_72:
	s_andn2_b64 vcc, exec, s[10:11]
	s_cbranch_vccnz .LBB15_74
; %bb.73:
	global_store_short v[4:5], v2, off
.LBB15_74:
	s_mov_b64 s[10:11], 0
.LBB15_75:
	s_andn2_b64 vcc, exec, s[10:11]
	s_cbranch_vccnz .LBB15_83
; %bb.76:
	v_cvt_f32_f64_e32 v2, v[0:1]
	v_and_b32_e32 v3, 0x7fffffff, v2
	s_mov_b32 s10, 0x43800000
	v_cmp_gt_u32_e32 vcc, s10, v3
	v_mov_b32_e32 v6, 0x80
	s_and_saveexec_b64 s[10:11], vcc
	s_cbranch_execz .LBB15_82
; %bb.77:
	s_mov_b32 s12, 0x3bffffff
	v_cmp_lt_u32_e32 vcc, s12, v3
	s_mov_b64 s[12:13], 0
                                        ; implicit-def: $vgpr3
	s_and_saveexec_b64 s[14:15], vcc
	s_xor_b64 s[14:15], exec, s[14:15]
	s_cbranch_execz .LBB15_329
; %bb.78:
	v_bfe_u32 v3, v2, 20, 1
	s_mov_b32 s16, 0x487ffff
	v_add3_u32 v3, v2, v3, s16
	s_mov_b64 s[12:13], exec
	v_lshrrev_b32_e32 v3, 20, v3
	s_or_saveexec_b64 s[14:15], s[14:15]
                                        ; implicit-def: $sgpr16
	s_xor_b64 exec, exec, s[14:15]
	s_cbranch_execnz .LBB15_330
.LBB15_79:
	s_or_b64 exec, exec, s[14:15]
	v_mov_b32_e32 v6, s16
	s_and_saveexec_b64 s[14:15], s[12:13]
.LBB15_80:
	v_lshrrev_b32_e32 v2, 24, v2
	s_movk_i32 s12, 0x80
	v_and_or_b32 v6, v2, s12, v3
.LBB15_81:
	s_or_b64 exec, exec, s[14:15]
.LBB15_82:
	s_or_b64 exec, exec, s[10:11]
	global_store_byte v[4:5], v6, off
.LBB15_83:
	s_mov_b64 s[10:11], -1
.LBB15_84:
	s_mov_b64 s[12:13], 0
.LBB15_85:
	s_and_b64 vcc, exec, s[12:13]
	s_cbranch_vccz .LBB15_126
; %bb.86:
	v_mov_b32_e32 v2, 22
	v_cmp_gt_i16_sdwa s[14:15], s81, v2 src0_sel:BYTE_0 src1_sel:DWORD
	s_mov_b64 s[12:13], -1
	s_and_b64 vcc, exec, s[14:15]
	s_cbranch_vccz .LBB15_118
; %bb.87:
	v_mov_b32_e32 v2, 24
	v_cmp_lt_i16_sdwa s[12:13], s81, v2 src0_sel:BYTE_0 src1_sel:DWORD
	s_mov_b64 s[10:11], -1
	s_and_b64 vcc, exec, s[12:13]
	s_cbranch_vccnz .LBB15_107
; %bb.88:
	v_cmp_gt_i16_sdwa s[12:13], s81, v2 src0_sel:BYTE_0 src1_sel:DWORD
	s_and_b64 vcc, exec, s[12:13]
	s_cbranch_vccz .LBB15_96
; %bb.89:
	v_cvt_f32_f64_e32 v2, v[0:1]
	v_and_b32_e32 v3, 0x7fffffff, v2
	s_mov_b32 s10, 0x47800000
	v_cmp_gt_u32_e32 vcc, s10, v3
	v_mov_b32_e32 v6, 0x80
	s_and_saveexec_b64 s[10:11], vcc
	s_cbranch_execz .LBB15_95
; %bb.90:
	s_mov_b32 s12, 0x37ffffff
	v_cmp_lt_u32_e32 vcc, s12, v3
	s_mov_b64 s[12:13], 0
                                        ; implicit-def: $vgpr3
	s_and_saveexec_b64 s[14:15], vcc
	s_xor_b64 s[14:15], exec, s[14:15]
	s_cbranch_execz .LBB15_333
; %bb.91:
	v_bfe_u32 v3, v2, 21, 1
	s_mov_b32 s16, 0x88fffff
	v_add3_u32 v3, v2, v3, s16
	s_mov_b64 s[12:13], exec
	v_lshrrev_b32_e32 v3, 21, v3
	s_or_saveexec_b64 s[14:15], s[14:15]
                                        ; implicit-def: $sgpr16
	s_xor_b64 exec, exec, s[14:15]
	s_cbranch_execnz .LBB15_334
.LBB15_92:
	s_or_b64 exec, exec, s[14:15]
	v_mov_b32_e32 v6, s16
	s_and_saveexec_b64 s[14:15], s[12:13]
.LBB15_93:
	v_lshrrev_b32_e32 v2, 24, v2
	s_movk_i32 s12, 0x80
	v_and_or_b32 v6, v2, s12, v3
.LBB15_94:
	s_or_b64 exec, exec, s[14:15]
.LBB15_95:
	s_or_b64 exec, exec, s[10:11]
	s_mov_b64 s[10:11], 0
	global_store_byte v[4:5], v6, off
.LBB15_96:
	s_and_b64 vcc, exec, s[10:11]
	s_cbranch_vccz .LBB15_106
; %bb.97:
	v_cvt_f32_f64_e32 v2, v[0:1]
	v_and_b32_e32 v6, 0x7fffffff, v2
	s_mov_b32 s10, 0x43f00000
	v_cmp_gt_u32_e32 vcc, s10, v6
                                        ; implicit-def: $vgpr3
	s_and_saveexec_b64 s[10:11], vcc
	s_xor_b64 s[10:11], exec, s[10:11]
	s_cbranch_execz .LBB15_103
; %bb.98:
	s_mov_b32 s12, 0x3c7fffff
	v_cmp_lt_u32_e32 vcc, s12, v6
                                        ; implicit-def: $vgpr3
	s_and_saveexec_b64 s[12:13], vcc
	s_xor_b64 s[12:13], exec, s[12:13]
; %bb.99:
	v_bfe_u32 v3, v2, 20, 1
	s_mov_b32 s14, 0x407ffff
	v_add3_u32 v3, v2, v3, s14
	v_lshrrev_b32_e32 v6, 20, v3
	v_and_b32_e32 v3, 0xff00000, v3
	s_mov_b32 s14, 0x7f00000
	v_mov_b32_e32 v7, 0x7e
	v_cmp_ne_u32_e32 vcc, s14, v3
	v_cndmask_b32_e32 v3, v7, v6, vcc
; %bb.100:
	s_andn2_saveexec_b64 s[12:13], s[12:13]
; %bb.101:
	s_mov_b32 s14, 0x46800000
	v_add_f32_e64 v3, |v2|, s14
; %bb.102:
	s_or_b64 exec, exec, s[12:13]
                                        ; implicit-def: $vgpr6
.LBB15_103:
	s_andn2_saveexec_b64 s[10:11], s[10:11]
; %bb.104:
	s_mov_b32 s12, 0x7f800000
	v_mov_b32_e32 v3, 0x7e
	v_mov_b32_e32 v7, 0x7f
	v_cmp_lt_u32_e32 vcc, s12, v6
	v_cndmask_b32_e32 v3, v3, v7, vcc
; %bb.105:
	s_or_b64 exec, exec, s[10:11]
	v_lshrrev_b32_e32 v2, 24, v2
	s_movk_i32 s10, 0x80
	v_and_or_b32 v2, v2, s10, v3
	global_store_byte v[4:5], v2, off
.LBB15_106:
	s_mov_b64 s[10:11], 0
.LBB15_107:
	s_andn2_b64 vcc, exec, s[10:11]
	s_cbranch_vccnz .LBB15_117
; %bb.108:
	v_cvt_f32_f64_e32 v2, v[0:1]
	v_and_b32_e32 v6, 0x7fffffff, v2
	s_mov_b32 s10, 0x47800000
	v_cmp_gt_u32_e32 vcc, s10, v6
                                        ; implicit-def: $vgpr3
	s_and_saveexec_b64 s[10:11], vcc
	s_xor_b64 s[10:11], exec, s[10:11]
	s_cbranch_execz .LBB15_114
; %bb.109:
	s_mov_b32 s12, 0x387fffff
	v_cmp_lt_u32_e32 vcc, s12, v6
                                        ; implicit-def: $vgpr3
	s_and_saveexec_b64 s[12:13], vcc
	s_xor_b64 s[12:13], exec, s[12:13]
; %bb.110:
	v_bfe_u32 v3, v2, 21, 1
	s_mov_b32 s14, 0x80fffff
	v_add3_u32 v3, v2, v3, s14
	v_lshrrev_b32_e32 v3, 21, v3
; %bb.111:
	s_andn2_saveexec_b64 s[12:13], s[12:13]
; %bb.112:
	s_mov_b32 s14, 0x43000000
	v_add_f32_e64 v3, |v2|, s14
; %bb.113:
	s_or_b64 exec, exec, s[12:13]
                                        ; implicit-def: $vgpr6
.LBB15_114:
	s_andn2_saveexec_b64 s[10:11], s[10:11]
; %bb.115:
	s_mov_b32 s12, 0x7f800000
	v_mov_b32_e32 v3, 0x7c
	v_mov_b32_e32 v7, 0x7f
	v_cmp_lt_u32_e32 vcc, s12, v6
	v_cndmask_b32_e32 v3, v3, v7, vcc
; %bb.116:
	s_or_b64 exec, exec, s[10:11]
	v_lshrrev_b32_e32 v2, 24, v2
	s_movk_i32 s10, 0x80
	v_and_or_b32 v2, v2, s10, v3
	global_store_byte v[4:5], v2, off
.LBB15_117:
	s_mov_b64 s[12:13], 0
	s_mov_b64 s[10:11], -1
.LBB15_118:
	s_andn2_b64 vcc, exec, s[12:13]
	s_cbranch_vccnz .LBB15_126
; %bb.119:
	v_mov_b32_e32 v2, 14
	v_cmp_gt_i16_sdwa s[14:15], s81, v2 src0_sel:BYTE_0 src1_sel:DWORD
	s_mov_b64 s[12:13], -1
	s_and_b64 vcc, exec, s[14:15]
	s_cbranch_vccz .LBB15_123
; %bb.120:
	v_mov_b32_e32 v2, 15
	v_cmp_eq_u16_sdwa s[12:13], s81, v2 src0_sel:BYTE_0 src1_sel:DWORD
	s_mov_b64 s[2:3], -1
	s_and_b64 vcc, exec, s[12:13]
	s_cbranch_vccz .LBB15_122
; %bb.121:
	v_cvt_f32_f64_e32 v2, v[0:1]
	v_bfe_u32 v3, v2, 16, 1
	s_movk_i32 s2, 0x7fff
	v_add3_u32 v3, v2, v3, s2
	v_lshrrev_b32_e32 v3, 16, v3
	v_mov_b32_e32 v6, 0x7fc0
	v_cmp_o_f32_e32 vcc, v2, v2
	v_cndmask_b32_e32 v2, v6, v3, vcc
	global_store_short v[4:5], v2, off
	s_mov_b64 s[10:11], -1
	s_mov_b64 s[2:3], 0
.LBB15_122:
	s_mov_b64 s[12:13], 0
.LBB15_123:
	s_and_b64 vcc, exec, s[12:13]
	s_cbranch_vccz .LBB15_126
; %bb.124:
	v_mov_b32_e32 v2, 11
	v_cmp_eq_u16_sdwa s[12:13], s81, v2 src0_sel:BYTE_0 src1_sel:DWORD
	s_mov_b64 s[2:3], -1
	s_and_b64 vcc, exec, s[12:13]
	s_cbranch_vccz .LBB15_126
; %bb.125:
	v_cmp_neq_f64_e32 vcc, 0, v[0:1]
	s_mov_b64 s[2:3], 0
	v_cndmask_b32_e64 v2, 0, 1, vcc
	s_mov_b64 s[10:11], -1
	global_store_byte v[4:5], v2, off
.LBB15_126:
	s_branch .LBB15_47
.LBB15_127:
	v_mov_b32_e32 v2, 5
	v_cmp_lt_i16_sdwa s[12:13], s81, v2 src0_sel:BYTE_0 src1_sel:DWORD
	s_mov_b64 s[10:11], -1
	s_and_b64 vcc, exec, s[12:13]
	s_cbranch_vccnz .LBB15_148
; %bb.128:
	v_mov_b32_e32 v2, 8
	v_cmp_lt_i16_sdwa s[12:13], s81, v2 src0_sel:BYTE_0 src1_sel:DWORD
	s_and_b64 vcc, exec, s[12:13]
	s_cbranch_vccnz .LBB15_138
; %bb.129:
	v_mov_b32_e32 v2, 9
	v_cmp_lt_i16_sdwa s[12:13], s81, v2 src0_sel:BYTE_0 src1_sel:DWORD
	s_and_b64 vcc, exec, s[12:13]
	s_cbranch_vccnz .LBB15_135
; %bb.130:
	v_cmp_gt_i16_sdwa s[12:13], s81, v2 src0_sel:BYTE_0 src1_sel:DWORD
	s_and_b64 vcc, exec, s[12:13]
	s_cbranch_vccz .LBB15_132
; %bb.131:
	v_mov_b32_e32 v2, 0
	v_mov_b32_e32 v3, v2
	global_store_dwordx4 v[4:5], v[0:3], off
	s_mov_b64 s[10:11], 0
.LBB15_132:
	s_andn2_b64 vcc, exec, s[10:11]
	s_cbranch_vccnz .LBB15_134
; %bb.133:
	v_cvt_f32_f64_e32 v2, v[0:1]
	v_mov_b32_e32 v3, 0
	global_store_dwordx2 v[4:5], v[2:3], off
.LBB15_134:
	s_mov_b64 s[10:11], 0
.LBB15_135:
	s_andn2_b64 vcc, exec, s[10:11]
	s_cbranch_vccnz .LBB15_137
; %bb.136:
	v_cvt_f32_f64_e32 v2, v[0:1]
	v_cvt_f16_f32_e32 v2, v2
	global_store_dword v[4:5], v2, off
.LBB15_137:
	s_mov_b64 s[10:11], 0
.LBB15_138:
	s_andn2_b64 vcc, exec, s[10:11]
	s_cbranch_vccnz .LBB15_147
; %bb.139:
	v_mov_b32_e32 v2, 6
	v_cmp_lt_i16_sdwa s[12:13], s81, v2 src0_sel:BYTE_0 src1_sel:DWORD
	s_mov_b64 s[10:11], -1
	s_and_b64 vcc, exec, s[12:13]
	s_cbranch_vccnz .LBB15_145
; %bb.140:
	v_cmp_gt_i16_sdwa s[12:13], s81, v2 src0_sel:BYTE_0 src1_sel:DWORD
	s_and_b64 vcc, exec, s[12:13]
	s_cbranch_vccz .LBB15_142
; %bb.141:
	global_store_dwordx2 v[4:5], v[0:1], off
	s_mov_b64 s[10:11], 0
.LBB15_142:
	s_andn2_b64 vcc, exec, s[10:11]
	s_cbranch_vccnz .LBB15_144
; %bb.143:
	v_cvt_f32_f64_e32 v2, v[0:1]
	global_store_dword v[4:5], v2, off
.LBB15_144:
	s_mov_b64 s[10:11], 0
.LBB15_145:
	s_andn2_b64 vcc, exec, s[10:11]
	s_cbranch_vccnz .LBB15_147
; %bb.146:
	v_cvt_f32_f64_e32 v2, v[0:1]
	v_cvt_f16_f32_e32 v2, v2
	global_store_short v[4:5], v2, off
.LBB15_147:
	s_mov_b64 s[10:11], 0
.LBB15_148:
	s_andn2_b64 vcc, exec, s[10:11]
	s_cbranch_vccnz .LBB15_164
; %bb.149:
	v_mov_b32_e32 v2, 2
	v_cmp_lt_i16_sdwa s[12:13], s81, v2 src0_sel:BYTE_0 src1_sel:DWORD
	s_mov_b64 s[10:11], -1
	s_and_b64 vcc, exec, s[12:13]
	s_cbranch_vccnz .LBB15_159
; %bb.150:
	v_mov_b32_e32 v2, 3
	v_cmp_lt_i16_sdwa s[12:13], s81, v2 src0_sel:BYTE_0 src1_sel:DWORD
	s_and_b64 vcc, exec, s[12:13]
	s_cbranch_vccnz .LBB15_156
; %bb.151:
	v_cmp_gt_i16_sdwa s[12:13], s81, v2 src0_sel:BYTE_0 src1_sel:DWORD
	s_and_b64 vcc, exec, s[12:13]
	s_cbranch_vccz .LBB15_153
; %bb.152:
	v_trunc_f64_e32 v[2:3], v[0:1]
	s_movk_i32 s10, 0xffe0
	v_ldexp_f64 v[6:7], v[2:3], s10
	v_floor_f64_e32 v[6:7], v[6:7]
	v_fmac_f64_e32 v[2:3], 0xc1f00000, v[6:7]
	v_cvt_i32_f64_e32 v11, v[6:7]
	v_cvt_u32_f64_e32 v10, v[2:3]
	global_store_dwordx2 v[4:5], v[10:11], off
	s_mov_b64 s[10:11], 0
.LBB15_153:
	s_andn2_b64 vcc, exec, s[10:11]
	s_cbranch_vccnz .LBB15_155
; %bb.154:
	v_cvt_i32_f64_e32 v2, v[0:1]
	global_store_dword v[4:5], v2, off
.LBB15_155:
	s_mov_b64 s[10:11], 0
.LBB15_156:
	s_andn2_b64 vcc, exec, s[10:11]
	s_cbranch_vccnz .LBB15_158
; %bb.157:
	v_cvt_i32_f64_e32 v2, v[0:1]
	global_store_short v[4:5], v2, off
.LBB15_158:
	s_mov_b64 s[10:11], 0
.LBB15_159:
	s_andn2_b64 vcc, exec, s[10:11]
	s_cbranch_vccnz .LBB15_164
; %bb.160:
	v_mov_b32_e32 v2, 0
	v_cmp_gt_i16_sdwa s[12:13], s81, v2 src0_sel:BYTE_0 src1_sel:DWORD
	s_mov_b64 s[10:11], -1
	s_and_b64 vcc, exec, s[12:13]
	s_cbranch_vccz .LBB15_162
; %bb.161:
	v_cvt_i32_f64_e32 v2, v[0:1]
	global_store_byte v[4:5], v2, off
	s_mov_b64 s[10:11], 0
.LBB15_162:
	s_andn2_b64 vcc, exec, s[10:11]
	s_cbranch_vccnz .LBB15_164
; %bb.163:
	v_trunc_f64_e32 v[0:1], v[0:1]
	s_movk_i32 s10, 0xffe0
	v_ldexp_f64 v[2:3], v[0:1], s10
	v_floor_f64_e32 v[2:3], v[2:3]
	v_fmac_f64_e32 v[0:1], 0xc1f00000, v[2:3]
	v_cvt_u32_f64_e32 v0, v[0:1]
	global_store_byte v[4:5], v0, off
.LBB15_164:
.LBB15_165:
	v_add_u32_e32 v9, 0x80, v9
	s_mov_b64 s[10:11], -1
	s_branch .LBB15_276
.LBB15_166:
	s_mov_b64 s[8:9], -1
                                        ; implicit-def: $vgpr4_vgpr5
.LBB15_167:
	s_mov_b64 s[10:11], 0
.LBB15_168:
	s_and_b64 vcc, exec, s[10:11]
	s_cbranch_vccz .LBB15_172
; %bb.169:
	v_cmp_eq_u16_e32 vcc, 29, v8
	s_cbranch_vccz .LBB15_171
; %bb.170:
	global_load_dwordx2 v[4:5], v[0:1], off
	s_mov_b64 s[2:3], -1
	s_mov_b64 s[8:9], 0
	s_mov_b64 s[10:11], 0
	s_waitcnt vmcnt(0)
	v_cvt_f64_u32_e32 v[6:7], v5
	v_cvt_f64_u32_e32 v[4:5], v4
	v_ldexp_f64 v[6:7], v[6:7], 32
	v_add_f64 v[4:5], v[6:7], v[4:5]
	s_branch .LBB15_173
.LBB15_171:
	s_mov_b64 s[8:9], -1
                                        ; implicit-def: $vgpr4_vgpr5
.LBB15_172:
	s_mov_b64 s[10:11], 0
.LBB15_173:
	s_and_b64 vcc, exec, s[10:11]
	s_cbranch_vccz .LBB15_191
; %bb.174:
	v_cmp_gt_i16_e32 vcc, 27, v8
	s_cbranch_vccnz .LBB15_177
; %bb.175:
	v_cmp_lt_i16_e32 vcc, 27, v8
	s_cbranch_vccz .LBB15_178
; %bb.176:
	global_load_dword v3, v[0:1], off
	s_mov_b64 s[2:3], 0
	s_waitcnt vmcnt(0)
	v_cvt_f64_u32_e32 v[4:5], v3
	s_branch .LBB15_179
.LBB15_177:
	s_mov_b64 s[2:3], -1
                                        ; implicit-def: $vgpr4_vgpr5
	s_branch .LBB15_182
.LBB15_178:
	s_mov_b64 s[2:3], -1
                                        ; implicit-def: $vgpr4_vgpr5
.LBB15_179:
	s_andn2_b64 vcc, exec, s[2:3]
	s_cbranch_vccnz .LBB15_181
; %bb.180:
	global_load_ushort v3, v[0:1], off
	s_waitcnt vmcnt(0)
	v_cvt_f64_u32_e32 v[4:5], v3
.LBB15_181:
	s_mov_b64 s[2:3], 0
.LBB15_182:
	s_andn2_b64 vcc, exec, s[2:3]
	s_cbranch_vccnz .LBB15_190
; %bb.183:
	global_load_ubyte v3, v[0:1], off
	s_movk_i32 s2, 0x7f
                                        ; implicit-def: $sgpr10_sgpr11
	s_waitcnt vmcnt(0)
	v_cmp_lt_i16_e32 vcc, s2, v3
	s_mov_b64 s[2:3], 0
	s_and_saveexec_b64 s[12:13], vcc
	s_xor_b64 s[12:13], exec, s[12:13]
	s_cbranch_execz .LBB15_203
; %bb.184:
	s_movk_i32 s2, 0x80
	v_cmp_eq_u16_e32 vcc, s2, v3
	s_mov_b64 s[14:15], -1
                                        ; implicit-def: $sgpr10_sgpr11
	s_and_saveexec_b64 s[2:3], vcc
; %bb.185:
	s_mov_b32 s11, 0x7ff80000
	s_brev_b32 s10, 4
	s_xor_b64 s[14:15], exec, -1
; %bb.186:
	s_or_b64 exec, exec, s[2:3]
	s_and_b64 s[2:3], s[14:15], exec
	s_or_saveexec_b64 s[12:13], s[12:13]
	v_pk_mov_b32 v[4:5], s[10:11], s[10:11] op_sel:[0,1]
	s_xor_b64 exec, exec, s[12:13]
	s_cbranch_execnz .LBB15_204
.LBB15_187:
	s_or_b64 exec, exec, s[12:13]
	s_and_saveexec_b64 s[10:11], s[2:3]
	s_cbranch_execz .LBB15_189
.LBB15_188:
	v_lshlrev_b32_e32 v4, 24, v3
	v_and_b32_e32 v3, 0xffff, v3
	v_and_b32_e32 v5, 7, v3
	v_ffbh_u32_e32 v7, v5
	v_min_u32_e32 v7, 32, v7
	v_subrev_u32_e32 v10, 28, v7
	v_bfe_u32 v6, v3, 3, 4
	v_lshlrev_b32_e32 v3, v10, v3
	v_sub_u32_e32 v7, 29, v7
	v_and_b32_e32 v3, 7, v3
	v_cmp_eq_u32_e32 vcc, 0, v6
	v_cndmask_b32_e32 v6, v6, v7, vcc
	v_cndmask_b32_e32 v3, v5, v3, vcc
	v_mov_b32_e32 v5, 0x3b800000
	v_lshlrev_b32_e32 v3, 20, v3
	v_and_b32_e32 v4, 0x80000000, v4
	v_lshl_add_u32 v5, v6, 23, v5
	v_or3_b32 v3, v4, v5, v3
	v_cvt_f64_f32_e32 v[4:5], v3
.LBB15_189:
	s_or_b64 exec, exec, s[10:11]
.LBB15_190:
	s_mov_b64 s[2:3], -1
.LBB15_191:
	s_branch .LBB15_226
.LBB15_192:
	v_cmp_lt_i16_e32 vcc, 22, v8
	s_cbranch_vccz .LBB15_202
; %bb.193:
	v_cmp_gt_i16_e32 vcc, 24, v8
	s_cbranch_vccnz .LBB15_205
; %bb.194:
	v_cmp_lt_i16_e32 vcc, 24, v8
	s_cbranch_vccz .LBB15_206
; %bb.195:
	global_load_ubyte v3, v[0:1], off
	s_movk_i32 s2, 0x7f
                                        ; implicit-def: $sgpr10_sgpr11
	s_waitcnt vmcnt(0)
	v_cmp_lt_i16_e32 vcc, s2, v3
	s_mov_b64 s[2:3], 0
	s_and_saveexec_b64 s[12:13], vcc
	s_xor_b64 s[12:13], exec, s[12:13]
	s_cbranch_execz .LBB15_218
; %bb.196:
	s_movk_i32 s2, 0x80
	v_cmp_eq_u16_e32 vcc, s2, v3
	s_mov_b64 s[14:15], -1
                                        ; implicit-def: $sgpr10_sgpr11
	s_and_saveexec_b64 s[2:3], vcc
; %bb.197:
	s_mov_b32 s11, 0x7ff80000
	s_brev_b32 s10, 4
	s_xor_b64 s[14:15], exec, -1
; %bb.198:
	s_or_b64 exec, exec, s[2:3]
	s_and_b64 s[2:3], s[14:15], exec
	s_or_saveexec_b64 s[12:13], s[12:13]
	v_pk_mov_b32 v[4:5], s[10:11], s[10:11] op_sel:[0,1]
	s_xor_b64 exec, exec, s[12:13]
	s_cbranch_execnz .LBB15_219
.LBB15_199:
	s_or_b64 exec, exec, s[12:13]
	s_and_saveexec_b64 s[10:11], s[2:3]
	s_cbranch_execz .LBB15_201
.LBB15_200:
	v_lshlrev_b32_e32 v4, 24, v3
	v_and_b32_e32 v3, 0xffff, v3
	v_and_b32_e32 v5, 3, v3
	v_ffbh_u32_e32 v7, v5
	v_min_u32_e32 v7, 32, v7
	v_subrev_u32_e32 v10, 29, v7
	v_bfe_u32 v6, v3, 2, 5
	v_lshlrev_b32_e32 v3, v10, v3
	v_sub_u32_e32 v7, 30, v7
	v_and_b32_e32 v3, 3, v3
	v_cmp_eq_u32_e32 vcc, 0, v6
	v_cndmask_b32_e32 v6, v6, v7, vcc
	v_cndmask_b32_e32 v3, v5, v3, vcc
	v_mov_b32_e32 v5, 0x37800000
	v_lshlrev_b32_e32 v3, 21, v3
	v_and_b32_e32 v4, 0x80000000, v4
	v_lshl_add_u32 v5, v6, 23, v5
	v_or3_b32 v3, v4, v5, v3
	v_cvt_f64_f32_e32 v[4:5], v3
.LBB15_201:
	s_or_b64 exec, exec, s[10:11]
	s_mov_b64 s[2:3], 0
	s_branch .LBB15_207
.LBB15_202:
	s_mov_b64 s[10:11], -1
                                        ; implicit-def: $vgpr4_vgpr5
	s_branch .LBB15_213
.LBB15_203:
	s_or_saveexec_b64 s[12:13], s[12:13]
	v_pk_mov_b32 v[4:5], s[10:11], s[10:11] op_sel:[0,1]
	s_xor_b64 exec, exec, s[12:13]
	s_cbranch_execz .LBB15_187
.LBB15_204:
	v_cmp_ne_u16_e32 vcc, 0, v3
	s_andn2_b64 s[2:3], s[2:3], exec
	s_and_b64 s[10:11], vcc, exec
	v_pk_mov_b32 v[4:5], 0, 0
	s_or_b64 s[2:3], s[2:3], s[10:11]
	s_or_b64 exec, exec, s[12:13]
	s_and_saveexec_b64 s[10:11], s[2:3]
	s_cbranch_execnz .LBB15_188
	s_branch .LBB15_189
.LBB15_205:
	s_mov_b64 s[2:3], -1
                                        ; implicit-def: $vgpr4_vgpr5
	s_branch .LBB15_210
.LBB15_206:
	s_mov_b64 s[2:3], -1
                                        ; implicit-def: $vgpr4_vgpr5
.LBB15_207:
	s_and_b64 vcc, exec, s[2:3]
	s_cbranch_vccz .LBB15_209
; %bb.208:
	global_load_ubyte v3, v[0:1], off
	s_mov_b32 s2, 0x7f800000
	s_waitcnt vmcnt(0)
	v_lshlrev_b32_e32 v3, 24, v3
	v_and_b32_e32 v4, 0x7f000000, v3
	v_ffbh_u32_e32 v5, v4
	v_min_u32_e32 v5, 32, v5
	v_sub_u32_e64 v5, v5, 4 clamp
	v_lshlrev_b32_e32 v7, v5, v4
	v_lshlrev_b32_e32 v5, 23, v5
	v_lshrrev_b32_e32 v7, 4, v7
	v_add_u32_e32 v6, 0x1000000, v4
	v_sub_u32_e32 v5, v7, v5
	v_ashrrev_i32_e32 v6, 8, v6
	v_add_u32_e32 v5, 0x3c000000, v5
	v_and_or_b32 v5, v6, s2, v5
	v_cmp_ne_u32_e32 vcc, 0, v4
	v_cndmask_b32_e32 v4, 0, v5, vcc
	s_brev_b32 s2, 1
	v_and_or_b32 v3, v3, s2, v4
	v_cvt_f64_f32_e32 v[4:5], v3
.LBB15_209:
	s_mov_b64 s[2:3], 0
.LBB15_210:
	s_andn2_b64 vcc, exec, s[2:3]
	s_cbranch_vccnz .LBB15_212
; %bb.211:
	global_load_ubyte v3, v[0:1], off
	s_movk_i32 s2, 0x7f00
	s_brev_b32 s3, 16
	s_waitcnt vmcnt(0)
	v_lshlrev_b16_e32 v4, 8, v3
	v_lshlrev_b32_e32 v3, 25, v3
	v_lshrrev_b32_e32 v5, 4, v3
	v_and_or_b32 v6, v4, s2, 0.5
	v_or_b32_e32 v5, 0x70000000, v5
	v_add_f32_e32 v6, -0.5, v6
	v_mul_f32_e32 v5, 0x7800000, v5
	v_cmp_gt_u32_e32 vcc, s3, v3
	v_bfe_i32 v4, v4, 0, 16
	v_cndmask_b32_e32 v3, v5, v6, vcc
	s_brev_b32 s2, 1
	v_and_or_b32 v3, v4, s2, v3
	v_cvt_f64_f32_e32 v[4:5], v3
.LBB15_212:
	s_mov_b64 s[10:11], 0
	s_mov_b64 s[2:3], -1
.LBB15_213:
	s_andn2_b64 vcc, exec, s[10:11]
	s_cbranch_vccnz .LBB15_226
; %bb.214:
	v_cmp_lt_i16_e32 vcc, 14, v8
	s_cbranch_vccz .LBB15_217
; %bb.215:
	v_cmp_eq_u16_e32 vcc, 15, v8
	s_cbranch_vccz .LBB15_220
; %bb.216:
	global_load_ushort v3, v[0:1], off
	s_mov_b64 s[2:3], -1
	s_mov_b64 s[8:9], 0
	s_waitcnt vmcnt(0)
	v_lshlrev_b32_e32 v3, 16, v3
	v_cvt_f64_f32_e32 v[4:5], v3
	s_branch .LBB15_221
.LBB15_217:
	s_mov_b64 s[10:11], -1
                                        ; implicit-def: $vgpr4_vgpr5
	s_branch .LBB15_222
.LBB15_218:
	s_or_saveexec_b64 s[12:13], s[12:13]
	v_pk_mov_b32 v[4:5], s[10:11], s[10:11] op_sel:[0,1]
	s_xor_b64 exec, exec, s[12:13]
	s_cbranch_execz .LBB15_199
.LBB15_219:
	v_cmp_ne_u16_e32 vcc, 0, v3
	s_andn2_b64 s[2:3], s[2:3], exec
	s_and_b64 s[10:11], vcc, exec
	v_pk_mov_b32 v[4:5], 0, 0
	s_or_b64 s[2:3], s[2:3], s[10:11]
	s_or_b64 exec, exec, s[12:13]
	s_and_saveexec_b64 s[10:11], s[2:3]
	s_cbranch_execnz .LBB15_200
	s_branch .LBB15_201
.LBB15_220:
	s_mov_b64 s[8:9], -1
                                        ; implicit-def: $vgpr4_vgpr5
.LBB15_221:
	s_mov_b64 s[10:11], 0
.LBB15_222:
	s_and_b64 vcc, exec, s[10:11]
	s_cbranch_vccz .LBB15_226
; %bb.223:
	v_cmp_eq_u16_e32 vcc, 11, v8
	s_cbranch_vccz .LBB15_225
; %bb.224:
	global_load_ubyte v3, v[0:1], off
	v_mov_b32_e32 v5, 0x3ff00000
	v_mov_b32_e32 v4, 0
	s_mov_b64 s[2:3], -1
	s_mov_b64 s[8:9], 0
	s_waitcnt vmcnt(0)
	v_cmp_ne_u16_e32 vcc, 0, v3
	v_cndmask_b32_e32 v5, 0, v5, vcc
	s_branch .LBB15_226
.LBB15_225:
	s_mov_b64 s[8:9], -1
                                        ; implicit-def: $vgpr4_vgpr5
.LBB15_226:
	s_branch .LBB15_25
.LBB15_227:
	v_cmp_gt_i16_e32 vcc, 5, v8
	s_cbranch_vccnz .LBB15_232
; %bb.228:
	v_cmp_gt_i16_e32 vcc, 8, v8
	s_cbranch_vccnz .LBB15_233
; %bb.229:
	;; [unrolled: 3-line block ×3, first 2 shown]
	v_cmp_lt_i16_e32 vcc, 9, v8
	s_cbranch_vccz .LBB15_235
; %bb.231:
	global_load_dwordx2 v[4:5], v[0:1], off
	s_mov_b64 s[2:3], 0
	s_branch .LBB15_236
.LBB15_232:
                                        ; implicit-def: $vgpr4_vgpr5
	s_branch .LBB15_254
.LBB15_233:
	s_mov_b64 s[2:3], -1
                                        ; implicit-def: $vgpr4_vgpr5
	s_branch .LBB15_242
.LBB15_234:
	s_mov_b64 s[2:3], -1
                                        ; implicit-def: $vgpr4_vgpr5
	s_branch .LBB15_239
.LBB15_235:
	s_mov_b64 s[2:3], -1
                                        ; implicit-def: $vgpr4_vgpr5
.LBB15_236:
	s_andn2_b64 vcc, exec, s[2:3]
	s_cbranch_vccnz .LBB15_238
; %bb.237:
	global_load_dword v3, v[0:1], off
	s_waitcnt vmcnt(0)
	v_cvt_f64_f32_e32 v[4:5], v3
.LBB15_238:
	s_mov_b64 s[2:3], 0
.LBB15_239:
	s_andn2_b64 vcc, exec, s[2:3]
	s_cbranch_vccnz .LBB15_241
; %bb.240:
	global_load_dword v3, v[0:1], off
	s_waitcnt vmcnt(0)
	v_cvt_f32_f16_e32 v3, v3
	v_cvt_f64_f32_e32 v[4:5], v3
.LBB15_241:
	s_mov_b64 s[2:3], 0
.LBB15_242:
	s_andn2_b64 vcc, exec, s[2:3]
	s_cbranch_vccnz .LBB15_253
; %bb.243:
	v_cmp_gt_i16_e32 vcc, 6, v8
	s_cbranch_vccnz .LBB15_246
; %bb.244:
	v_cmp_lt_i16_e32 vcc, 6, v8
	s_cbranch_vccz .LBB15_247
; %bb.245:
	global_load_dwordx2 v[4:5], v[0:1], off
	s_mov_b64 s[2:3], 0
	s_branch .LBB15_248
.LBB15_246:
	s_mov_b64 s[2:3], -1
                                        ; implicit-def: $vgpr4_vgpr5
	s_branch .LBB15_251
.LBB15_247:
	s_mov_b64 s[2:3], -1
                                        ; implicit-def: $vgpr4_vgpr5
.LBB15_248:
	s_andn2_b64 vcc, exec, s[2:3]
	s_cbranch_vccnz .LBB15_250
; %bb.249:
	global_load_dword v3, v[0:1], off
	s_waitcnt vmcnt(0)
	v_cvt_f64_f32_e32 v[4:5], v3
.LBB15_250:
	s_mov_b64 s[2:3], 0
.LBB15_251:
	s_andn2_b64 vcc, exec, s[2:3]
	s_cbranch_vccnz .LBB15_253
; %bb.252:
	global_load_ushort v3, v[0:1], off
	s_waitcnt vmcnt(0)
	v_cvt_f32_f16_e32 v3, v3
	v_cvt_f64_f32_e32 v[4:5], v3
.LBB15_253:
	s_cbranch_execnz .LBB15_273
.LBB15_254:
	v_cmp_gt_i16_e32 vcc, 2, v8
	s_cbranch_vccnz .LBB15_258
; %bb.255:
	v_cmp_gt_i16_e32 vcc, 3, v8
	s_cbranch_vccnz .LBB15_259
; %bb.256:
	v_cmp_lt_i16_e32 vcc, 3, v8
	s_cbranch_vccz .LBB15_260
; %bb.257:
	global_load_dwordx2 v[4:5], v[0:1], off
	s_mov_b64 s[2:3], 0
	s_waitcnt vmcnt(0)
	v_cvt_f64_i32_e32 v[6:7], v5
	v_cvt_f64_u32_e32 v[4:5], v4
	v_ldexp_f64 v[6:7], v[6:7], 32
	v_add_f64 v[4:5], v[6:7], v[4:5]
	s_branch .LBB15_261
.LBB15_258:
	s_mov_b64 s[2:3], -1
                                        ; implicit-def: $vgpr4_vgpr5
	s_branch .LBB15_267
.LBB15_259:
	s_mov_b64 s[2:3], -1
                                        ; implicit-def: $vgpr4_vgpr5
	s_branch .LBB15_264
.LBB15_260:
	s_mov_b64 s[2:3], -1
                                        ; implicit-def: $vgpr4_vgpr5
.LBB15_261:
	s_andn2_b64 vcc, exec, s[2:3]
	s_cbranch_vccnz .LBB15_263
; %bb.262:
	global_load_dword v3, v[0:1], off
	s_waitcnt vmcnt(0)
	v_cvt_f64_i32_e32 v[4:5], v3
.LBB15_263:
	s_mov_b64 s[2:3], 0
.LBB15_264:
	s_andn2_b64 vcc, exec, s[2:3]
	s_cbranch_vccnz .LBB15_266
; %bb.265:
	global_load_sshort v3, v[0:1], off
	s_waitcnt vmcnt(0)
	v_cvt_f64_i32_e32 v[4:5], v3
.LBB15_266:
	s_mov_b64 s[2:3], 0
.LBB15_267:
	s_andn2_b64 vcc, exec, s[2:3]
	s_cbranch_vccnz .LBB15_273
; %bb.268:
	v_cmp_lt_i16_e32 vcc, 0, v8
	s_cbranch_vccz .LBB15_270
; %bb.269:
	global_load_sbyte v3, v[0:1], off
	s_mov_b64 s[2:3], 0
	s_waitcnt vmcnt(0)
	v_cvt_f64_i32_e32 v[4:5], v3
	s_branch .LBB15_271
.LBB15_270:
	s_mov_b64 s[2:3], -1
                                        ; implicit-def: $vgpr4_vgpr5
.LBB15_271:
	s_andn2_b64 vcc, exec, s[2:3]
	s_cbranch_vccnz .LBB15_273
; %bb.272:
	global_load_ubyte v0, v[0:1], off
	s_waitcnt vmcnt(0)
	v_cvt_f64_u32_e32 v[4:5], v0
.LBB15_273:
	s_branch .LBB15_26
.LBB15_274:
	s_mov_b64 s[2:3], 0
.LBB15_275:
	s_mov_b64 s[10:11], 0
                                        ; implicit-def: $vgpr9
.LBB15_276:
	s_and_b64 s[60:61], s[2:3], exec
	s_and_b64 s[62:63], s[8:9], exec
	s_orn2_b64 s[2:3], s[10:11], exec
.LBB15_277:
	s_or_b64 exec, exec, s[64:65]
	s_mov_b64 s[12:13], 0
	s_mov_b64 s[10:11], 0
                                        ; implicit-def: $vgpr0_vgpr1
                                        ; implicit-def: $vgpr2
                                        ; implicit-def: $vgpr6_vgpr7
	s_and_saveexec_b64 s[64:65], s[2:3]
	s_cbranch_execz .LBB15_285
; %bb.278:
	v_cmp_gt_i32_e32 vcc, s78, v9
	s_mov_b64 s[2:3], -1
	s_mov_b64 s[66:67], s[62:63]
	s_mov_b64 s[68:69], s[60:61]
	s_and_saveexec_b64 s[70:71], vcc
	s_cbranch_execz .LBB15_564
; %bb.279:
	s_andn2_b64 vcc, exec, s[44:45]
	s_cbranch_vccnz .LBB15_288
; %bb.280:
	s_mov_b32 s2, 0
	s_andn2_b64 vcc, exec, s[58:59]
	v_mov_b32_e32 v0, 0
	v_mov_b32_e32 v2, 0
	s_cbranch_vccnz .LBB15_294
; %bb.281:
	s_add_i32 s72, s79, 1
	s_cmp_eq_u32 s80, 2
	s_cbranch_scc1 .LBB15_289
; %bb.282:
	s_and_b32 s2, s72, 28
	s_mov_b32 s3, 0
	v_mov_b32_e32 v2, 0
	s_mov_b64 s[66:67], s[34:35]
	s_mov_b64 s[68:69], s[56:57]
	v_mov_b32_e32 v1, v9
	v_mov_b32_e32 v0, 0
.LBB15_283:                             ; =>This Inner Loop Header: Depth=1
	s_load_dwordx8 s[16:23], s[66:67], 0x4
	s_load_dwordx4 s[40:43], s[66:67], 0x24
	s_load_dwordx8 s[8:15], s[68:69], 0x0
	s_add_u32 s66, s66, 48
	s_addc_u32 s67, s67, 0
	s_waitcnt lgkmcnt(0)
	v_mul_hi_u32 v3, s17, v1
	v_add_u32_e32 v3, v1, v3
	v_lshrrev_b32_e32 v3, s18, v3
	s_waitcnt vmcnt(0)
	v_mul_lo_u32 v4, v3, s16
	v_mul_hi_u32 v5, s20, v3
	v_sub_u32_e32 v1, v1, v4
	v_add_u32_e32 v4, v3, v5
	v_lshrrev_b32_e32 v4, s21, v4
	v_mul_lo_u32 v6, v4, s19
	v_mul_hi_u32 v7, s23, v4
	v_sub_u32_e32 v3, v3, v6
	v_add_u32_e32 v6, v4, v7
	v_mul_lo_u32 v5, v1, s9
	v_mul_lo_u32 v1, v1, s8
	;; [unrolled: 1-line block ×4, first 2 shown]
	v_lshrrev_b32_e32 v6, s40, v6
	v_add3_u32 v2, v1, v2, v3
	v_mul_lo_u32 v1, v6, s22
	v_mul_hi_u32 v3, s42, v6
	v_sub_u32_e32 v1, v4, v1
	v_add_u32_e32 v3, v6, v3
	v_add3_u32 v0, v5, v0, v7
	v_mul_lo_u32 v4, v1, s12
	v_mul_lo_u32 v5, v1, s13
	v_lshrrev_b32_e32 v1, s43, v3
	s_add_i32 s3, s3, 4
	v_mul_lo_u32 v3, v1, s41
	s_add_u32 s68, s68, 32
	v_sub_u32_e32 v3, v6, v3
	s_addc_u32 s69, s69, 0
	v_mul_lo_u32 v6, v3, s14
	v_mul_lo_u32 v3, v3, s15
	s_cmp_eq_u32 s2, s3
	v_add3_u32 v0, v5, v0, v3
	v_add3_u32 v2, v4, v2, v6
	s_cbranch_scc0 .LBB15_283
; %bb.284:
	v_mov_b32_e32 v3, v0
	s_branch .LBB15_290
.LBB15_285:
	s_or_b64 exec, exec, s[64:65]
	s_mov_b64 s[2:3], 0
	s_and_saveexec_b64 s[8:9], s[62:63]
	s_cbranch_execnz .LBB15_952
.LBB15_286:
	s_or_b64 exec, exec, s[8:9]
	s_and_saveexec_b64 s[8:9], s[68:69]
	s_xor_b64 s[8:9], exec, s[8:9]
	s_cbranch_execz .LBB15_953
.LBB15_287:
	global_load_ubyte v3, v[0:1], off
	s_waitcnt vmcnt(1)
	v_mov_b32_e32 v4, 0x3ff00000
	v_mov_b32_e32 v6, 0
	s_or_b64 s[10:11], s[10:11], exec
	s_waitcnt vmcnt(0)
	v_cmp_ne_u16_e32 vcc, 0, v3
	v_cndmask_b32_e32 v7, 0, v4, vcc
	s_or_b64 exec, exec, s[8:9]
	s_and_saveexec_b64 s[8:9], s[12:13]
	s_cbranch_execz .LBB15_999
	s_branch .LBB15_954
.LBB15_288:
                                        ; implicit-def: $vgpr0
                                        ; implicit-def: $vgpr2
	s_andn2_b64 vcc, exec, s[2:3]
	s_cbranch_vccz .LBB15_295
	s_branch .LBB15_297
.LBB15_289:
	s_mov_b32 s3, s2
	v_pk_mov_b32 v[2:3], s[2:3], s[2:3] op_sel:[0,1]
                                        ; implicit-def: $vgpr0
	v_mov_b32_e32 v1, v9
.LBB15_290:
	s_and_b32 s10, s72, 3
	s_cmp_eq_u32 s10, 0
	s_cbranch_scc1 .LBB15_294
; %bb.291:
	s_lshl_b32 s3, s2, 3
	s_add_u32 s3, s3, s34
	s_addc_u32 s9, s35, 0
	s_add_u32 s8, s3, 0xc4
	s_addc_u32 s9, s9, 0
	s_mul_i32 s2, s2, 12
	s_add_u32 s2, s34, s2
	s_addc_u32 s3, s35, 0
.LBB15_292:                             ; =>This Inner Loop Header: Depth=1
	s_load_dwordx2 s[12:13], s[2:3], 0x4
	s_load_dword s11, s[2:3], 0xc
	s_load_dwordx2 s[14:15], s[8:9], 0x0
	v_mov_b32_e32 v0, v3
	s_add_u32 s2, s2, 12
	s_waitcnt lgkmcnt(0)
	v_mul_hi_u32 v3, s13, v1
	v_add_u32_e32 v3, v1, v3
	v_lshrrev_b32_e32 v3, s11, v3
	s_addc_u32 s3, s3, 0
	s_waitcnt vmcnt(0)
	v_mul_lo_u32 v4, v3, s12
	s_add_u32 s8, s8, 8
	v_sub_u32_e32 v6, v1, v4
	v_mov_b32_e32 v1, v3
	s_addc_u32 s9, s9, 0
	s_add_i32 s10, s10, -1
	v_mad_u64_u32 v[4:5], s[12:13], v6, s15, v[0:1]
	v_mad_u64_u32 v[2:3], s[12:13], v6, s14, v[2:3]
	s_cmp_lg_u32 s10, 0
	v_mov_b32_e32 v3, v4
	s_cbranch_scc1 .LBB15_292
; %bb.293:
	v_mov_b32_e32 v0, v3
.LBB15_294:
	s_cbranch_execnz .LBB15_297
.LBB15_295:
	v_mul_hi_u32 v0, s29, v9
	v_add_u32_e32 v0, v9, v0
	v_lshrrev_b32_e32 v1, s30, v0
	v_mul_lo_u32 v0, v1, s28
	v_sub_u32_e32 v2, v9, v0
	v_mul_lo_u32 v0, v2, s37
	s_andn2_b64 vcc, exec, s[54:55]
	v_mul_lo_u32 v2, v2, s36
	s_cbranch_vccnz .LBB15_297
; %bb.296:
	v_mul_hi_u32 v3, s52, v1
	v_add_u32_e32 v3, v1, v3
	v_lshrrev_b32_e32 v3, s53, v3
	v_mul_lo_u32 v3, v3, s31
	v_sub_u32_e32 v1, v1, v3
	v_mad_u64_u32 v[2:3], s[2:3], v1, s38, v[2:3]
	v_mad_u64_u32 v[0:1], s[2:3], v1, s39, v[0:1]
.LBB15_297:
	v_mov_b32_e32 v1, s27
	v_add_co_u32_e32 v0, vcc, s26, v0
	v_addc_co_u32_e32 v1, vcc, 0, v1, vcc
	v_cmp_gt_i16_e32 vcc, 11, v8
	s_cbranch_vccnz .LBB15_304
; %bb.298:
	v_cmp_lt_i16_e32 vcc, 25, v8
	s_cbranch_vccz .LBB15_313
; %bb.299:
	v_cmp_lt_i16_e32 vcc, 28, v8
	s_cbranch_vccz .LBB15_314
; %bb.300:
	v_cmp_lt_i16_e32 vcc, 43, v8
	s_cbranch_vccz .LBB15_315
; %bb.301:
	v_cmp_lt_i16_e32 vcc, 45, v8
	s_cbranch_vccz .LBB15_331
; %bb.302:
	v_cmp_eq_u16_e32 vcc, 46, v8
	s_mov_b64 s[10:11], 0
	s_cbranch_vccz .LBB15_335
; %bb.303:
	global_load_dword v3, v[0:1], off
	s_mov_b64 s[2:3], -1
	s_mov_b64 s[8:9], 0
	s_waitcnt vmcnt(0)
	v_lshlrev_b32_e32 v3, 16, v3
	v_cvt_f64_f32_e32 v[4:5], v3
	s_branch .LBB15_336
.LBB15_304:
	s_mov_b64 s[2:3], 0
                                        ; implicit-def: $vgpr4_vgpr5
	s_mov_b64 s[8:9], s[62:63]
	s_cbranch_execnz .LBB15_513
.LBB15_305:
	s_andn2_b64 vcc, exec, s[2:3]
	s_cbranch_vccnz .LBB15_561
.LBB15_306:
	s_andn2_b64 vcc, exec, s[50:51]
	v_pk_mov_b32 v[0:1], 0, 0
	s_cbranch_vccnz .LBB15_319
; %bb.307:
	v_cmp_lt_i64_e64 s[2:3], s[48:49], 1
	v_mov_b32_e32 v0, 0
	s_and_b64 vcc, exec, s[2:3]
	v_mov_b32_e32 v1, 0x3ff00000
	s_cbranch_vccnz .LBB15_319
; %bb.308:
	s_cmp_lg_u64 s[48:49], 1
	s_cbranch_scc0 .LBB15_316
; %bb.309:
	v_mov_b32_e32 v0, 0
	s_andn2_b64 vcc, exec, s[0:1]
	v_mov_b32_e32 v1, 0x7ff80000
	s_cbranch_vccnz .LBB15_312
; %bb.310:
	v_mov_b32_e32 v6, 0
	s_mov_b64 s[2:3], 1
	v_mov_b32_e32 v7, 0x3ff00000
	s_waitcnt vmcnt(0)
	v_pk_mov_b32 v[0:1], v[4:5], v[4:5] op_sel:[0,1]
.LBB15_311:                             ; =>This Inner Loop Header: Depth=1
	v_cvt_f64_u32_e32 v[10:11], s3
	v_cvt_f64_u32_e32 v[12:13], s2
	v_ldexp_f64 v[10:11], v[10:11], 32
	s_add_u32 s2, s2, 1
	v_add_f64 v[10:11], v[10:11], v[12:13]
	s_addc_u32 s3, s3, 0
	v_mul_f64 v[10:11], v[6:7], v[10:11]
	s_cmp_lg_u64 s[48:49], s[2:3]
	v_pk_mov_b32 v[6:7], v[0:1], v[0:1] op_sel:[0,1]
	v_fma_f64 v[0:1], v[4:5], v[0:1], -v[10:11]
	s_cbranch_scc1 .LBB15_311
.LBB15_312:
	s_mov_b64 s[2:3], 0
	s_branch .LBB15_317
.LBB15_313:
	s_mov_b64 s[10:11], -1
	s_mov_b64 s[2:3], 0
	s_mov_b64 s[8:9], s[62:63]
                                        ; implicit-def: $vgpr4_vgpr5
	s_branch .LBB15_477
.LBB15_314:
	s_mov_b64 s[10:11], -1
	s_mov_b64 s[2:3], 0
	s_mov_b64 s[8:9], s[62:63]
                                        ; implicit-def: $vgpr4_vgpr5
	s_branch .LBB15_458
.LBB15_315:
	s_mov_b64 s[10:11], -1
	s_mov_b64 s[2:3], 0
	s_mov_b64 s[8:9], s[62:63]
                                        ; implicit-def: $vgpr4_vgpr5
	s_branch .LBB15_453
.LBB15_316:
	s_mov_b64 s[2:3], -1
                                        ; implicit-def: $vgpr0_vgpr1
.LBB15_317:
	s_andn2_b64 vcc, exec, s[2:3]
	s_cbranch_vccnz .LBB15_319
; %bb.318:
	s_waitcnt vmcnt(0)
	v_pk_mov_b32 v[0:1], v[4:5], v[4:5] op_sel:[0,1]
.LBB15_319:
	v_mov_b32_e32 v3, s25
	s_waitcnt vmcnt(0)
	v_add_co_u32_e32 v4, vcc, s24, v2
	v_mov_b32_e32 v2, 11
	v_addc_co_u32_e32 v5, vcc, 0, v3, vcc
	v_cmp_lt_i16_sdwa s[2:3], s81, v2 src0_sel:BYTE_0 src1_sel:DWORD
	s_and_b64 vcc, exec, s[2:3]
	s_cbranch_vccnz .LBB15_326
; %bb.320:
	v_mov_b32_e32 v2, 25
	v_cmp_gt_i16_sdwa s[2:3], s81, v2 src0_sel:BYTE_0 src1_sel:DWORD
	s_and_b64 vcc, exec, s[2:3]
	s_cbranch_vccz .LBB15_327
; %bb.321:
	v_mov_b32_e32 v2, 28
	v_cmp_gt_i16_sdwa s[2:3], s81, v2 src0_sel:BYTE_0 src1_sel:DWORD
	s_and_b64 vcc, exec, s[2:3]
	s_cbranch_vccz .LBB15_328
	;; [unrolled: 5-line block ×4, first 2 shown]
; %bb.324:
	v_mov_b32_e32 v2, 46
	v_cmp_eq_u16_sdwa s[10:11], s81, v2 src0_sel:BYTE_0 src1_sel:DWORD
	s_mov_b64 s[12:13], 0
	s_mov_b64 s[2:3], -1
	s_and_b64 vcc, exec, s[10:11]
	s_mov_b64 s[10:11], 0
	s_cbranch_vccz .LBB15_340
; %bb.325:
	v_cvt_f32_f64_e32 v2, v[0:1]
	v_bfe_u32 v3, v2, 16, 1
	s_movk_i32 s2, 0x7fff
	v_add3_u32 v3, v2, v3, s2
	v_lshrrev_b32_e32 v3, 16, v3
	v_mov_b32_e32 v6, 0x7fc0
	v_cmp_o_f32_e32 vcc, v2, v2
	v_cndmask_b32_e32 v2, v6, v3, vcc
	global_store_dword v[4:5], v2, off
	s_mov_b64 s[10:11], -1
	s_mov_b64 s[2:3], 0
	s_branch .LBB15_340
.LBB15_326:
	s_mov_b64 s[12:13], -1
	s_mov_b64 s[10:11], 0
	s_mov_b64 s[2:3], s[60:61]
	s_branch .LBB15_409
.LBB15_327:
	s_mov_b64 s[12:13], -1
	s_mov_b64 s[10:11], 0
	s_mov_b64 s[2:3], s[60:61]
	s_branch .LBB15_367
.LBB15_328:
	s_mov_b64 s[12:13], -1
	s_mov_b64 s[10:11], 0
	s_mov_b64 s[2:3], s[60:61]
	s_branch .LBB15_350
.LBB15_329:
	s_or_saveexec_b64 s[14:15], s[14:15]
                                        ; implicit-def: $sgpr16
	s_xor_b64 exec, exec, s[14:15]
	s_cbranch_execz .LBB15_79
.LBB15_330:
	s_mov_b32 s16, 0x46000000
	v_add_f32_e64 v3, |v2|, s16
	v_and_b32_e32 v3, 0xff, v3
	v_cmp_ne_u32_e32 vcc, 0, v3
	s_andn2_b64 s[12:13], s[12:13], exec
	s_and_b64 s[18:19], vcc, exec
	s_mov_b32 s16, 0
	s_or_b64 s[12:13], s[12:13], s[18:19]
	s_or_b64 exec, exec, s[14:15]
	v_mov_b32_e32 v6, s16
	s_and_saveexec_b64 s[14:15], s[12:13]
	s_cbranch_execnz .LBB15_80
	s_branch .LBB15_81
.LBB15_331:
	s_mov_b64 s[10:11], -1
	s_mov_b64 s[2:3], 0
	s_mov_b64 s[8:9], s[62:63]
                                        ; implicit-def: $vgpr4_vgpr5
	s_branch .LBB15_336
.LBB15_332:
	s_mov_b64 s[12:13], -1
	s_mov_b64 s[10:11], 0
	s_mov_b64 s[2:3], s[60:61]
	s_branch .LBB15_346
.LBB15_333:
	s_or_saveexec_b64 s[14:15], s[14:15]
                                        ; implicit-def: $sgpr16
	s_xor_b64 exec, exec, s[14:15]
	s_cbranch_execz .LBB15_92
.LBB15_334:
	s_mov_b32 s16, 0x42800000
	v_add_f32_e64 v3, |v2|, s16
	v_and_b32_e32 v3, 0xff, v3
	v_cmp_ne_u32_e32 vcc, 0, v3
	s_andn2_b64 s[12:13], s[12:13], exec
	s_and_b64 s[18:19], vcc, exec
	s_mov_b32 s16, 0
	s_or_b64 s[12:13], s[12:13], s[18:19]
	s_or_b64 exec, exec, s[14:15]
	v_mov_b32_e32 v6, s16
	s_and_saveexec_b64 s[14:15], s[12:13]
	s_cbranch_execnz .LBB15_93
	s_branch .LBB15_94
.LBB15_335:
	s_mov_b64 s[8:9], -1
                                        ; implicit-def: $vgpr4_vgpr5
	s_mov_b64 s[2:3], 0
.LBB15_336:
	s_and_b64 vcc, exec, s[10:11]
	s_cbranch_vccz .LBB15_452
; %bb.337:
	v_cmp_eq_u16_e32 vcc, 44, v8
	s_cbranch_vccz .LBB15_451
; %bb.338:
	global_load_ubyte v3, v[0:1], off
	s_movk_i32 s8, 0xff
	v_bfrev_b32_e32 v6, 4
	v_mov_b32_e32 v7, 0x7ff80000
	v_bfrev_b32_e32 v10, 28
	s_mov_b64 s[2:3], -1
	s_waitcnt vmcnt(0)
	v_lshlrev_b32_e32 v4, 23, v3
	v_cvt_f64_f32_e32 v[4:5], v4
	v_cmp_ne_u32_e32 vcc, s8, v3
	v_cndmask_b32_e32 v4, v6, v4, vcc
	v_cndmask_b32_e32 v5, v7, v5, vcc
	v_cmp_ne_u32_e32 vcc, 0, v3
	v_cndmask_b32_e32 v5, v10, v5, vcc
	v_cndmask_b32_e32 v4, 0, v4, vcc
	s_mov_b64 s[8:9], 0
	s_branch .LBB15_452
.LBB15_339:
	s_mov_b64 s[12:13], -1
	s_mov_b64 s[10:11], 0
	s_mov_b64 s[2:3], s[60:61]
.LBB15_340:
	s_and_b64 vcc, exec, s[12:13]
	s_cbranch_vccz .LBB15_345
; %bb.341:
	v_mov_b32_e32 v2, 44
	v_cmp_eq_u16_sdwa s[12:13], s81, v2 src0_sel:BYTE_0 src1_sel:DWORD
	s_mov_b64 s[2:3], -1
	s_and_b64 vcc, exec, s[12:13]
	s_cbranch_vccz .LBB15_345
; %bb.342:
	v_cvt_f32_f64_e32 v2, v[0:1]
	v_bfe_u32 v3, v2, 23, 8
	s_movk_i32 s2, 0xff
	v_cmp_ne_u32_e32 vcc, s2, v3
	v_mov_b32_e32 v6, 0xff
	s_and_saveexec_b64 s[10:11], vcc
; %bb.343:
	s_mov_b32 s2, 0x3fffff
	v_lshrrev_b32_e32 v6, 23, v2
	v_and_b32_e32 v7, 0x400000, v2
	v_and_or_b32 v2, v2, s2, v3
	v_cmp_ne_u32_e32 vcc, 0, v7
	v_cmp_ne_u32_e64 s[2:3], 0, v2
	s_and_b64 s[2:3], vcc, s[2:3]
	v_cndmask_b32_e64 v2, 0, 1, s[2:3]
	v_add_u32_e32 v6, v6, v2
; %bb.344:
	s_or_b64 exec, exec, s[10:11]
	s_mov_b64 s[10:11], -1
	s_mov_b64 s[2:3], 0
	global_store_byte v[4:5], v6, off
.LBB15_345:
	s_mov_b64 s[12:13], 0
.LBB15_346:
	s_and_b64 vcc, exec, s[12:13]
	s_cbranch_vccz .LBB15_349
; %bb.347:
	v_mov_b32_e32 v2, 29
	v_cmp_eq_u16_sdwa s[12:13], s81, v2 src0_sel:BYTE_0 src1_sel:DWORD
	s_mov_b64 s[2:3], -1
	s_and_b64 vcc, exec, s[12:13]
	s_cbranch_vccz .LBB15_349
; %bb.348:
	v_trunc_f64_e32 v[2:3], v[0:1]
	s_movk_i32 s2, 0xffe0
	v_ldexp_f64 v[6:7], v[2:3], s2
	v_floor_f64_e32 v[6:7], v[6:7]
	v_fmac_f64_e32 v[2:3], 0xc1f00000, v[6:7]
	v_cvt_u32_f64_e32 v11, v[6:7]
	v_cvt_u32_f64_e32 v10, v[2:3]
	global_store_dwordx2 v[4:5], v[10:11], off
	s_mov_b64 s[10:11], -1
	s_mov_b64 s[2:3], 0
.LBB15_349:
	s_mov_b64 s[12:13], 0
.LBB15_350:
	s_and_b64 vcc, exec, s[12:13]
	s_cbranch_vccz .LBB15_366
; %bb.351:
	v_mov_b32_e32 v2, 27
	v_cmp_lt_i16_sdwa s[12:13], s81, v2 src0_sel:BYTE_0 src1_sel:DWORD
	s_mov_b64 s[10:11], -1
	s_and_b64 vcc, exec, s[12:13]
	s_cbranch_vccnz .LBB15_357
; %bb.352:
	v_cmp_gt_i16_sdwa s[12:13], s81, v2 src0_sel:BYTE_0 src1_sel:DWORD
	s_and_b64 vcc, exec, s[12:13]
	v_cvt_u32_f64_e32 v2, v[0:1]
	s_cbranch_vccz .LBB15_354
; %bb.353:
	s_mov_b64 s[10:11], 0
	global_store_dword v[4:5], v2, off
.LBB15_354:
	s_andn2_b64 vcc, exec, s[10:11]
	s_cbranch_vccnz .LBB15_356
; %bb.355:
	global_store_short v[4:5], v2, off
.LBB15_356:
	s_mov_b64 s[10:11], 0
.LBB15_357:
	s_andn2_b64 vcc, exec, s[10:11]
	s_cbranch_vccnz .LBB15_365
; %bb.358:
	v_cvt_f32_f64_e32 v2, v[0:1]
	v_and_b32_e32 v3, 0x7fffffff, v2
	s_mov_b32 s10, 0x43800000
	v_cmp_gt_u32_e32 vcc, s10, v3
	v_mov_b32_e32 v6, 0x80
	s_and_saveexec_b64 s[10:11], vcc
	s_cbranch_execz .LBB15_364
; %bb.359:
	s_mov_b32 s12, 0x3bffffff
	v_cmp_lt_u32_e32 vcc, s12, v3
	s_mov_b64 s[12:13], 0
                                        ; implicit-def: $vgpr3
	s_and_saveexec_b64 s[14:15], vcc
	s_xor_b64 s[14:15], exec, s[14:15]
	s_cbranch_execz .LBB15_593
; %bb.360:
	v_bfe_u32 v3, v2, 20, 1
	s_mov_b32 s16, 0x487ffff
	v_add3_u32 v3, v2, v3, s16
	s_mov_b64 s[12:13], exec
	v_lshrrev_b32_e32 v3, 20, v3
	s_or_saveexec_b64 s[14:15], s[14:15]
                                        ; implicit-def: $sgpr16
	s_xor_b64 exec, exec, s[14:15]
	s_cbranch_execnz .LBB15_594
.LBB15_361:
	s_or_b64 exec, exec, s[14:15]
	v_mov_b32_e32 v6, s16
	s_and_saveexec_b64 s[14:15], s[12:13]
.LBB15_362:
	v_lshrrev_b32_e32 v2, 24, v2
	s_movk_i32 s12, 0x80
	v_and_or_b32 v6, v2, s12, v3
.LBB15_363:
	s_or_b64 exec, exec, s[14:15]
.LBB15_364:
	s_or_b64 exec, exec, s[10:11]
	global_store_byte v[4:5], v6, off
.LBB15_365:
	s_mov_b64 s[10:11], -1
.LBB15_366:
	s_mov_b64 s[12:13], 0
.LBB15_367:
	s_and_b64 vcc, exec, s[12:13]
	s_cbranch_vccz .LBB15_408
; %bb.368:
	v_mov_b32_e32 v2, 22
	v_cmp_gt_i16_sdwa s[14:15], s81, v2 src0_sel:BYTE_0 src1_sel:DWORD
	s_mov_b64 s[12:13], -1
	s_and_b64 vcc, exec, s[14:15]
	s_cbranch_vccz .LBB15_400
; %bb.369:
	v_mov_b32_e32 v2, 24
	v_cmp_lt_i16_sdwa s[12:13], s81, v2 src0_sel:BYTE_0 src1_sel:DWORD
	s_mov_b64 s[10:11], -1
	s_and_b64 vcc, exec, s[12:13]
	s_cbranch_vccnz .LBB15_389
; %bb.370:
	v_cmp_gt_i16_sdwa s[12:13], s81, v2 src0_sel:BYTE_0 src1_sel:DWORD
	s_and_b64 vcc, exec, s[12:13]
	s_cbranch_vccz .LBB15_378
; %bb.371:
	v_cvt_f32_f64_e32 v2, v[0:1]
	v_and_b32_e32 v3, 0x7fffffff, v2
	s_mov_b32 s10, 0x47800000
	v_cmp_gt_u32_e32 vcc, s10, v3
	v_mov_b32_e32 v6, 0x80
	s_and_saveexec_b64 s[10:11], vcc
	s_cbranch_execz .LBB15_377
; %bb.372:
	s_mov_b32 s12, 0x37ffffff
	v_cmp_lt_u32_e32 vcc, s12, v3
	s_mov_b64 s[12:13], 0
                                        ; implicit-def: $vgpr3
	s_and_saveexec_b64 s[14:15], vcc
	s_xor_b64 s[14:15], exec, s[14:15]
	s_cbranch_execz .LBB15_596
; %bb.373:
	v_bfe_u32 v3, v2, 21, 1
	s_mov_b32 s16, 0x88fffff
	v_add3_u32 v3, v2, v3, s16
	s_mov_b64 s[12:13], exec
	v_lshrrev_b32_e32 v3, 21, v3
	s_or_saveexec_b64 s[14:15], s[14:15]
                                        ; implicit-def: $sgpr16
	s_xor_b64 exec, exec, s[14:15]
	s_cbranch_execnz .LBB15_597
.LBB15_374:
	s_or_b64 exec, exec, s[14:15]
	v_mov_b32_e32 v6, s16
	s_and_saveexec_b64 s[14:15], s[12:13]
.LBB15_375:
	v_lshrrev_b32_e32 v2, 24, v2
	s_movk_i32 s12, 0x80
	v_and_or_b32 v6, v2, s12, v3
.LBB15_376:
	s_or_b64 exec, exec, s[14:15]
.LBB15_377:
	s_or_b64 exec, exec, s[10:11]
	s_mov_b64 s[10:11], 0
	global_store_byte v[4:5], v6, off
.LBB15_378:
	s_and_b64 vcc, exec, s[10:11]
	s_cbranch_vccz .LBB15_388
; %bb.379:
	v_cvt_f32_f64_e32 v2, v[0:1]
	v_and_b32_e32 v6, 0x7fffffff, v2
	s_mov_b32 s10, 0x43f00000
	v_cmp_gt_u32_e32 vcc, s10, v6
                                        ; implicit-def: $vgpr3
	s_and_saveexec_b64 s[10:11], vcc
	s_xor_b64 s[10:11], exec, s[10:11]
	s_cbranch_execz .LBB15_385
; %bb.380:
	s_mov_b32 s12, 0x3c7fffff
	v_cmp_lt_u32_e32 vcc, s12, v6
                                        ; implicit-def: $vgpr3
	s_and_saveexec_b64 s[12:13], vcc
	s_xor_b64 s[12:13], exec, s[12:13]
; %bb.381:
	v_bfe_u32 v3, v2, 20, 1
	s_mov_b32 s14, 0x407ffff
	v_add3_u32 v3, v2, v3, s14
	v_lshrrev_b32_e32 v6, 20, v3
	v_and_b32_e32 v3, 0xff00000, v3
	s_mov_b32 s14, 0x7f00000
	v_mov_b32_e32 v7, 0x7e
	v_cmp_ne_u32_e32 vcc, s14, v3
	v_cndmask_b32_e32 v3, v7, v6, vcc
; %bb.382:
	s_andn2_saveexec_b64 s[12:13], s[12:13]
; %bb.383:
	s_mov_b32 s14, 0x46800000
	v_add_f32_e64 v3, |v2|, s14
; %bb.384:
	s_or_b64 exec, exec, s[12:13]
                                        ; implicit-def: $vgpr6
.LBB15_385:
	s_andn2_saveexec_b64 s[10:11], s[10:11]
; %bb.386:
	s_mov_b32 s12, 0x7f800000
	v_mov_b32_e32 v3, 0x7e
	v_mov_b32_e32 v7, 0x7f
	v_cmp_lt_u32_e32 vcc, s12, v6
	v_cndmask_b32_e32 v3, v3, v7, vcc
; %bb.387:
	s_or_b64 exec, exec, s[10:11]
	v_lshrrev_b32_e32 v2, 24, v2
	s_movk_i32 s10, 0x80
	v_and_or_b32 v2, v2, s10, v3
	global_store_byte v[4:5], v2, off
.LBB15_388:
	s_mov_b64 s[10:11], 0
.LBB15_389:
	s_andn2_b64 vcc, exec, s[10:11]
	s_cbranch_vccnz .LBB15_399
; %bb.390:
	v_cvt_f32_f64_e32 v2, v[0:1]
	v_and_b32_e32 v6, 0x7fffffff, v2
	s_mov_b32 s10, 0x47800000
	v_cmp_gt_u32_e32 vcc, s10, v6
                                        ; implicit-def: $vgpr3
	s_and_saveexec_b64 s[10:11], vcc
	s_xor_b64 s[10:11], exec, s[10:11]
	s_cbranch_execz .LBB15_396
; %bb.391:
	s_mov_b32 s12, 0x387fffff
	v_cmp_lt_u32_e32 vcc, s12, v6
                                        ; implicit-def: $vgpr3
	s_and_saveexec_b64 s[12:13], vcc
	s_xor_b64 s[12:13], exec, s[12:13]
; %bb.392:
	v_bfe_u32 v3, v2, 21, 1
	s_mov_b32 s14, 0x80fffff
	v_add3_u32 v3, v2, v3, s14
	v_lshrrev_b32_e32 v3, 21, v3
; %bb.393:
	s_andn2_saveexec_b64 s[12:13], s[12:13]
; %bb.394:
	s_mov_b32 s14, 0x43000000
	v_add_f32_e64 v3, |v2|, s14
; %bb.395:
	s_or_b64 exec, exec, s[12:13]
                                        ; implicit-def: $vgpr6
.LBB15_396:
	s_andn2_saveexec_b64 s[10:11], s[10:11]
; %bb.397:
	s_mov_b32 s12, 0x7f800000
	v_mov_b32_e32 v3, 0x7c
	v_mov_b32_e32 v7, 0x7f
	v_cmp_lt_u32_e32 vcc, s12, v6
	v_cndmask_b32_e32 v3, v3, v7, vcc
; %bb.398:
	s_or_b64 exec, exec, s[10:11]
	v_lshrrev_b32_e32 v2, 24, v2
	s_movk_i32 s10, 0x80
	v_and_or_b32 v2, v2, s10, v3
	global_store_byte v[4:5], v2, off
.LBB15_399:
	s_mov_b64 s[12:13], 0
	s_mov_b64 s[10:11], -1
.LBB15_400:
	s_andn2_b64 vcc, exec, s[12:13]
	s_cbranch_vccnz .LBB15_408
; %bb.401:
	v_mov_b32_e32 v2, 14
	v_cmp_gt_i16_sdwa s[14:15], s81, v2 src0_sel:BYTE_0 src1_sel:DWORD
	s_mov_b64 s[12:13], -1
	s_and_b64 vcc, exec, s[14:15]
	s_cbranch_vccz .LBB15_405
; %bb.402:
	v_mov_b32_e32 v2, 15
	v_cmp_eq_u16_sdwa s[12:13], s81, v2 src0_sel:BYTE_0 src1_sel:DWORD
	s_mov_b64 s[2:3], -1
	s_and_b64 vcc, exec, s[12:13]
	s_cbranch_vccz .LBB15_404
; %bb.403:
	v_cvt_f32_f64_e32 v2, v[0:1]
	v_bfe_u32 v3, v2, 16, 1
	s_movk_i32 s2, 0x7fff
	v_add3_u32 v3, v2, v3, s2
	v_lshrrev_b32_e32 v3, 16, v3
	v_mov_b32_e32 v6, 0x7fc0
	v_cmp_o_f32_e32 vcc, v2, v2
	v_cndmask_b32_e32 v2, v6, v3, vcc
	global_store_short v[4:5], v2, off
	s_mov_b64 s[10:11], -1
	s_mov_b64 s[2:3], 0
.LBB15_404:
	s_mov_b64 s[12:13], 0
.LBB15_405:
	s_and_b64 vcc, exec, s[12:13]
	s_cbranch_vccz .LBB15_408
; %bb.406:
	v_mov_b32_e32 v2, 11
	v_cmp_eq_u16_sdwa s[12:13], s81, v2 src0_sel:BYTE_0 src1_sel:DWORD
	s_mov_b64 s[2:3], -1
	s_and_b64 vcc, exec, s[12:13]
	s_cbranch_vccz .LBB15_408
; %bb.407:
	v_cmp_neq_f64_e32 vcc, 0, v[0:1]
	s_mov_b64 s[2:3], 0
	v_cndmask_b32_e64 v2, 0, 1, vcc
	s_mov_b64 s[10:11], -1
	global_store_byte v[4:5], v2, off
.LBB15_408:
	s_mov_b64 s[12:13], 0
.LBB15_409:
	s_and_b64 vcc, exec, s[12:13]
	s_cbranch_vccz .LBB15_448
; %bb.410:
	v_mov_b32_e32 v2, 5
	v_cmp_lt_i16_sdwa s[12:13], s81, v2 src0_sel:BYTE_0 src1_sel:DWORD
	s_mov_b64 s[10:11], -1
	s_and_b64 vcc, exec, s[12:13]
	s_cbranch_vccnz .LBB15_431
; %bb.411:
	v_mov_b32_e32 v2, 8
	v_cmp_lt_i16_sdwa s[12:13], s81, v2 src0_sel:BYTE_0 src1_sel:DWORD
	s_and_b64 vcc, exec, s[12:13]
	s_cbranch_vccnz .LBB15_421
; %bb.412:
	v_mov_b32_e32 v2, 9
	v_cmp_lt_i16_sdwa s[12:13], s81, v2 src0_sel:BYTE_0 src1_sel:DWORD
	s_and_b64 vcc, exec, s[12:13]
	s_cbranch_vccnz .LBB15_418
; %bb.413:
	v_cmp_gt_i16_sdwa s[12:13], s81, v2 src0_sel:BYTE_0 src1_sel:DWORD
	s_and_b64 vcc, exec, s[12:13]
	s_cbranch_vccz .LBB15_415
; %bb.414:
	v_mov_b32_e32 v2, 0
	v_mov_b32_e32 v3, v2
	s_mov_b64 s[10:11], 0
	global_store_dwordx4 v[4:5], v[0:3], off
.LBB15_415:
	s_andn2_b64 vcc, exec, s[10:11]
	s_cbranch_vccnz .LBB15_417
; %bb.416:
	v_cvt_f32_f64_e32 v2, v[0:1]
	v_mov_b32_e32 v3, 0
	global_store_dwordx2 v[4:5], v[2:3], off
.LBB15_417:
	s_mov_b64 s[10:11], 0
.LBB15_418:
	s_andn2_b64 vcc, exec, s[10:11]
	s_cbranch_vccnz .LBB15_420
; %bb.419:
	v_cvt_f32_f64_e32 v2, v[0:1]
	v_cvt_f16_f32_e32 v2, v2
	global_store_dword v[4:5], v2, off
.LBB15_420:
	s_mov_b64 s[10:11], 0
.LBB15_421:
	s_andn2_b64 vcc, exec, s[10:11]
	s_cbranch_vccnz .LBB15_430
; %bb.422:
	v_mov_b32_e32 v2, 6
	v_cmp_lt_i16_sdwa s[12:13], s81, v2 src0_sel:BYTE_0 src1_sel:DWORD
	s_mov_b64 s[10:11], -1
	s_and_b64 vcc, exec, s[12:13]
	s_cbranch_vccnz .LBB15_428
; %bb.423:
	v_cmp_gt_i16_sdwa s[12:13], s81, v2 src0_sel:BYTE_0 src1_sel:DWORD
	s_and_b64 vcc, exec, s[12:13]
	s_cbranch_vccz .LBB15_425
; %bb.424:
	s_mov_b64 s[10:11], 0
	global_store_dwordx2 v[4:5], v[0:1], off
.LBB15_425:
	s_andn2_b64 vcc, exec, s[10:11]
	s_cbranch_vccnz .LBB15_427
; %bb.426:
	v_cvt_f32_f64_e32 v2, v[0:1]
	global_store_dword v[4:5], v2, off
.LBB15_427:
	s_mov_b64 s[10:11], 0
.LBB15_428:
	s_andn2_b64 vcc, exec, s[10:11]
	s_cbranch_vccnz .LBB15_430
; %bb.429:
	v_cvt_f32_f64_e32 v2, v[0:1]
	v_cvt_f16_f32_e32 v2, v2
	global_store_short v[4:5], v2, off
.LBB15_430:
	s_mov_b64 s[10:11], 0
.LBB15_431:
	s_andn2_b64 vcc, exec, s[10:11]
	s_cbranch_vccnz .LBB15_447
; %bb.432:
	v_mov_b32_e32 v2, 2
	v_cmp_lt_i16_sdwa s[12:13], s81, v2 src0_sel:BYTE_0 src1_sel:DWORD
	s_mov_b64 s[10:11], -1
	s_and_b64 vcc, exec, s[12:13]
	s_cbranch_vccnz .LBB15_442
; %bb.433:
	v_mov_b32_e32 v2, 3
	v_cmp_lt_i16_sdwa s[12:13], s81, v2 src0_sel:BYTE_0 src1_sel:DWORD
	s_and_b64 vcc, exec, s[12:13]
	s_cbranch_vccnz .LBB15_439
; %bb.434:
	v_cmp_gt_i16_sdwa s[12:13], s81, v2 src0_sel:BYTE_0 src1_sel:DWORD
	s_and_b64 vcc, exec, s[12:13]
	s_cbranch_vccz .LBB15_436
; %bb.435:
	v_trunc_f64_e32 v[2:3], v[0:1]
	s_movk_i32 s10, 0xffe0
	v_ldexp_f64 v[6:7], v[2:3], s10
	v_floor_f64_e32 v[6:7], v[6:7]
	v_fmac_f64_e32 v[2:3], 0xc1f00000, v[6:7]
	v_cvt_i32_f64_e32 v11, v[6:7]
	v_cvt_u32_f64_e32 v10, v[2:3]
	s_mov_b64 s[10:11], 0
	global_store_dwordx2 v[4:5], v[10:11], off
.LBB15_436:
	s_andn2_b64 vcc, exec, s[10:11]
	s_cbranch_vccnz .LBB15_438
; %bb.437:
	v_cvt_i32_f64_e32 v2, v[0:1]
	global_store_dword v[4:5], v2, off
.LBB15_438:
	s_mov_b64 s[10:11], 0
.LBB15_439:
	s_andn2_b64 vcc, exec, s[10:11]
	s_cbranch_vccnz .LBB15_441
; %bb.440:
	v_cvt_i32_f64_e32 v2, v[0:1]
	global_store_short v[4:5], v2, off
.LBB15_441:
	s_mov_b64 s[10:11], 0
.LBB15_442:
	s_andn2_b64 vcc, exec, s[10:11]
	s_cbranch_vccnz .LBB15_447
; %bb.443:
	v_mov_b32_e32 v2, 0
	v_cmp_gt_i16_sdwa s[12:13], s81, v2 src0_sel:BYTE_0 src1_sel:DWORD
	s_mov_b64 s[10:11], -1
	s_and_b64 vcc, exec, s[12:13]
	s_cbranch_vccz .LBB15_445
; %bb.444:
	v_cvt_i32_f64_e32 v2, v[0:1]
	s_mov_b64 s[10:11], 0
	global_store_byte v[4:5], v2, off
.LBB15_445:
	s_andn2_b64 vcc, exec, s[10:11]
	s_cbranch_vccnz .LBB15_447
; %bb.446:
	v_trunc_f64_e32 v[0:1], v[0:1]
	s_movk_i32 s10, 0xffe0
	v_ldexp_f64 v[2:3], v[0:1], s10
	v_floor_f64_e32 v[2:3], v[2:3]
	v_fmac_f64_e32 v[0:1], 0xc1f00000, v[2:3]
	v_cvt_u32_f64_e32 v0, v[0:1]
	global_store_byte v[4:5], v0, off
.LBB15_447:
	s_mov_b64 s[10:11], -1
.LBB15_448:
	s_andn2_b64 vcc, exec, s[10:11]
	s_cbranch_vccnz .LBB15_450
; %bb.449:
	v_add_u32_e32 v9, 0x80, v9
	s_mov_b64 s[10:11], -1
	s_branch .LBB15_563
.LBB15_450:
	s_mov_b64 s[10:11], 0
	s_branch .LBB15_562
.LBB15_451:
	s_mov_b64 s[8:9], -1
                                        ; implicit-def: $vgpr4_vgpr5
.LBB15_452:
	s_mov_b64 s[10:11], 0
.LBB15_453:
	s_and_b64 vcc, exec, s[10:11]
	s_cbranch_vccz .LBB15_457
; %bb.454:
	v_cmp_eq_u16_e32 vcc, 29, v8
	s_cbranch_vccz .LBB15_456
; %bb.455:
	global_load_dwordx2 v[4:5], v[0:1], off
	s_mov_b64 s[2:3], -1
	s_mov_b64 s[8:9], 0
	s_mov_b64 s[10:11], 0
	s_waitcnt vmcnt(0)
	v_cvt_f64_u32_e32 v[6:7], v5
	v_cvt_f64_u32_e32 v[4:5], v4
	v_ldexp_f64 v[6:7], v[6:7], 32
	v_add_f64 v[4:5], v[6:7], v[4:5]
	s_branch .LBB15_458
.LBB15_456:
	s_mov_b64 s[8:9], -1
                                        ; implicit-def: $vgpr4_vgpr5
.LBB15_457:
	s_mov_b64 s[10:11], 0
.LBB15_458:
	s_and_b64 vcc, exec, s[10:11]
	s_cbranch_vccz .LBB15_476
; %bb.459:
	v_cmp_gt_i16_e32 vcc, 27, v8
	s_cbranch_vccnz .LBB15_462
; %bb.460:
	v_cmp_lt_i16_e32 vcc, 27, v8
	s_cbranch_vccz .LBB15_463
; %bb.461:
	global_load_dword v3, v[0:1], off
	s_mov_b64 s[2:3], 0
	s_waitcnt vmcnt(0)
	v_cvt_f64_u32_e32 v[4:5], v3
	s_branch .LBB15_464
.LBB15_462:
	s_mov_b64 s[2:3], -1
                                        ; implicit-def: $vgpr4_vgpr5
	s_branch .LBB15_467
.LBB15_463:
	s_mov_b64 s[2:3], -1
                                        ; implicit-def: $vgpr4_vgpr5
.LBB15_464:
	s_andn2_b64 vcc, exec, s[2:3]
	s_cbranch_vccnz .LBB15_466
; %bb.465:
	global_load_ushort v3, v[0:1], off
	s_waitcnt vmcnt(0)
	v_cvt_f64_u32_e32 v[4:5], v3
.LBB15_466:
	s_mov_b64 s[2:3], 0
.LBB15_467:
	s_andn2_b64 vcc, exec, s[2:3]
	s_cbranch_vccnz .LBB15_475
; %bb.468:
	global_load_ubyte v3, v[0:1], off
	s_movk_i32 s2, 0x7f
                                        ; implicit-def: $sgpr10_sgpr11
	s_waitcnt vmcnt(0)
	v_cmp_lt_i16_e32 vcc, s2, v3
	s_mov_b64 s[2:3], 0
	s_and_saveexec_b64 s[12:13], vcc
	s_xor_b64 s[12:13], exec, s[12:13]
	s_cbranch_execz .LBB15_489
; %bb.469:
	s_movk_i32 s2, 0x80
	v_cmp_eq_u16_e32 vcc, s2, v3
	s_mov_b64 s[14:15], -1
                                        ; implicit-def: $sgpr10_sgpr11
	s_and_saveexec_b64 s[2:3], vcc
; %bb.470:
	s_mov_b32 s11, 0x7ff80000
	s_brev_b32 s10, 4
	s_xor_b64 s[14:15], exec, -1
; %bb.471:
	s_or_b64 exec, exec, s[2:3]
	s_and_b64 s[2:3], s[14:15], exec
	s_or_saveexec_b64 s[12:13], s[12:13]
	v_pk_mov_b32 v[4:5], s[10:11], s[10:11] op_sel:[0,1]
	s_xor_b64 exec, exec, s[12:13]
	s_cbranch_execnz .LBB15_490
.LBB15_472:
	s_or_b64 exec, exec, s[12:13]
	s_and_saveexec_b64 s[10:11], s[2:3]
	s_cbranch_execz .LBB15_474
.LBB15_473:
	v_lshlrev_b32_e32 v4, 24, v3
	v_and_b32_e32 v3, 0xffff, v3
	v_and_b32_e32 v5, 7, v3
	v_ffbh_u32_e32 v7, v5
	v_min_u32_e32 v7, 32, v7
	v_subrev_u32_e32 v10, 28, v7
	v_bfe_u32 v6, v3, 3, 4
	v_lshlrev_b32_e32 v3, v10, v3
	v_sub_u32_e32 v7, 29, v7
	v_and_b32_e32 v3, 7, v3
	v_cmp_eq_u32_e32 vcc, 0, v6
	v_cndmask_b32_e32 v6, v6, v7, vcc
	v_cndmask_b32_e32 v3, v5, v3, vcc
	v_mov_b32_e32 v5, 0x3b800000
	v_lshlrev_b32_e32 v3, 20, v3
	v_and_b32_e32 v4, 0x80000000, v4
	v_lshl_add_u32 v5, v6, 23, v5
	v_or3_b32 v3, v4, v5, v3
	v_cvt_f64_f32_e32 v[4:5], v3
.LBB15_474:
	s_or_b64 exec, exec, s[10:11]
.LBB15_475:
	s_mov_b64 s[2:3], -1
.LBB15_476:
	s_mov_b64 s[10:11], 0
.LBB15_477:
	s_and_b64 vcc, exec, s[10:11]
	s_cbranch_vccz .LBB15_512
; %bb.478:
	v_cmp_lt_i16_e32 vcc, 22, v8
	s_cbranch_vccz .LBB15_488
; %bb.479:
	v_cmp_gt_i16_e32 vcc, 24, v8
	s_cbranch_vccnz .LBB15_491
; %bb.480:
	v_cmp_lt_i16_e32 vcc, 24, v8
	s_cbranch_vccz .LBB15_492
; %bb.481:
	global_load_ubyte v3, v[0:1], off
	s_movk_i32 s2, 0x7f
                                        ; implicit-def: $sgpr10_sgpr11
	s_waitcnt vmcnt(0)
	v_cmp_lt_i16_e32 vcc, s2, v3
	s_mov_b64 s[2:3], 0
	s_and_saveexec_b64 s[12:13], vcc
	s_xor_b64 s[12:13], exec, s[12:13]
	s_cbranch_execz .LBB15_504
; %bb.482:
	s_movk_i32 s2, 0x80
	v_cmp_eq_u16_e32 vcc, s2, v3
	s_mov_b64 s[14:15], -1
                                        ; implicit-def: $sgpr10_sgpr11
	s_and_saveexec_b64 s[2:3], vcc
; %bb.483:
	s_mov_b32 s11, 0x7ff80000
	s_brev_b32 s10, 4
	s_xor_b64 s[14:15], exec, -1
; %bb.484:
	s_or_b64 exec, exec, s[2:3]
	s_and_b64 s[2:3], s[14:15], exec
	s_or_saveexec_b64 s[12:13], s[12:13]
	v_pk_mov_b32 v[4:5], s[10:11], s[10:11] op_sel:[0,1]
	s_xor_b64 exec, exec, s[12:13]
	s_cbranch_execnz .LBB15_505
.LBB15_485:
	s_or_b64 exec, exec, s[12:13]
	s_and_saveexec_b64 s[10:11], s[2:3]
	s_cbranch_execz .LBB15_487
.LBB15_486:
	v_lshlrev_b32_e32 v4, 24, v3
	v_and_b32_e32 v3, 0xffff, v3
	v_and_b32_e32 v5, 3, v3
	v_ffbh_u32_e32 v7, v5
	v_min_u32_e32 v7, 32, v7
	v_subrev_u32_e32 v10, 29, v7
	v_bfe_u32 v6, v3, 2, 5
	v_lshlrev_b32_e32 v3, v10, v3
	v_sub_u32_e32 v7, 30, v7
	v_and_b32_e32 v3, 3, v3
	v_cmp_eq_u32_e32 vcc, 0, v6
	v_cndmask_b32_e32 v6, v6, v7, vcc
	v_cndmask_b32_e32 v3, v5, v3, vcc
	v_mov_b32_e32 v5, 0x37800000
	v_lshlrev_b32_e32 v3, 21, v3
	v_and_b32_e32 v4, 0x80000000, v4
	v_lshl_add_u32 v5, v6, 23, v5
	v_or3_b32 v3, v4, v5, v3
	v_cvt_f64_f32_e32 v[4:5], v3
.LBB15_487:
	s_or_b64 exec, exec, s[10:11]
	s_mov_b64 s[2:3], 0
	s_branch .LBB15_493
.LBB15_488:
	s_mov_b64 s[10:11], -1
                                        ; implicit-def: $vgpr4_vgpr5
	s_branch .LBB15_499
.LBB15_489:
	s_or_saveexec_b64 s[12:13], s[12:13]
	v_pk_mov_b32 v[4:5], s[10:11], s[10:11] op_sel:[0,1]
	s_xor_b64 exec, exec, s[12:13]
	s_cbranch_execz .LBB15_472
.LBB15_490:
	v_cmp_ne_u16_e32 vcc, 0, v3
	s_andn2_b64 s[2:3], s[2:3], exec
	s_and_b64 s[10:11], vcc, exec
	v_pk_mov_b32 v[4:5], 0, 0
	s_or_b64 s[2:3], s[2:3], s[10:11]
	s_or_b64 exec, exec, s[12:13]
	s_and_saveexec_b64 s[10:11], s[2:3]
	s_cbranch_execnz .LBB15_473
	s_branch .LBB15_474
.LBB15_491:
	s_mov_b64 s[2:3], -1
                                        ; implicit-def: $vgpr4_vgpr5
	s_branch .LBB15_496
.LBB15_492:
	s_mov_b64 s[2:3], -1
                                        ; implicit-def: $vgpr4_vgpr5
.LBB15_493:
	s_and_b64 vcc, exec, s[2:3]
	s_cbranch_vccz .LBB15_495
; %bb.494:
	global_load_ubyte v3, v[0:1], off
	s_mov_b32 s2, 0x7f800000
	s_waitcnt vmcnt(0)
	v_lshlrev_b32_e32 v3, 24, v3
	v_and_b32_e32 v4, 0x7f000000, v3
	v_ffbh_u32_e32 v5, v4
	v_min_u32_e32 v5, 32, v5
	v_sub_u32_e64 v5, v5, 4 clamp
	v_lshlrev_b32_e32 v7, v5, v4
	v_lshlrev_b32_e32 v5, 23, v5
	v_lshrrev_b32_e32 v7, 4, v7
	v_add_u32_e32 v6, 0x1000000, v4
	v_sub_u32_e32 v5, v7, v5
	v_ashrrev_i32_e32 v6, 8, v6
	v_add_u32_e32 v5, 0x3c000000, v5
	v_and_or_b32 v5, v6, s2, v5
	v_cmp_ne_u32_e32 vcc, 0, v4
	v_cndmask_b32_e32 v4, 0, v5, vcc
	s_brev_b32 s2, 1
	v_and_or_b32 v3, v3, s2, v4
	v_cvt_f64_f32_e32 v[4:5], v3
.LBB15_495:
	s_mov_b64 s[2:3], 0
.LBB15_496:
	s_andn2_b64 vcc, exec, s[2:3]
	s_cbranch_vccnz .LBB15_498
; %bb.497:
	global_load_ubyte v3, v[0:1], off
	s_movk_i32 s2, 0x7f00
	s_brev_b32 s3, 16
	s_waitcnt vmcnt(0)
	v_lshlrev_b16_e32 v4, 8, v3
	v_lshlrev_b32_e32 v3, 25, v3
	v_lshrrev_b32_e32 v5, 4, v3
	v_and_or_b32 v6, v4, s2, 0.5
	v_or_b32_e32 v5, 0x70000000, v5
	v_add_f32_e32 v6, -0.5, v6
	v_mul_f32_e32 v5, 0x7800000, v5
	v_cmp_gt_u32_e32 vcc, s3, v3
	v_bfe_i32 v4, v4, 0, 16
	v_cndmask_b32_e32 v3, v5, v6, vcc
	s_brev_b32 s2, 1
	v_and_or_b32 v3, v4, s2, v3
	v_cvt_f64_f32_e32 v[4:5], v3
.LBB15_498:
	s_mov_b64 s[10:11], 0
	s_mov_b64 s[2:3], -1
.LBB15_499:
	s_andn2_b64 vcc, exec, s[10:11]
	s_cbranch_vccnz .LBB15_512
; %bb.500:
	v_cmp_lt_i16_e32 vcc, 14, v8
	s_cbranch_vccz .LBB15_503
; %bb.501:
	v_cmp_eq_u16_e32 vcc, 15, v8
	s_cbranch_vccz .LBB15_506
; %bb.502:
	global_load_ushort v3, v[0:1], off
	s_mov_b64 s[2:3], -1
	s_mov_b64 s[8:9], 0
	s_waitcnt vmcnt(0)
	v_lshlrev_b32_e32 v3, 16, v3
	v_cvt_f64_f32_e32 v[4:5], v3
	s_branch .LBB15_507
.LBB15_503:
	s_mov_b64 s[10:11], -1
                                        ; implicit-def: $vgpr4_vgpr5
	s_branch .LBB15_508
.LBB15_504:
	s_or_saveexec_b64 s[12:13], s[12:13]
	v_pk_mov_b32 v[4:5], s[10:11], s[10:11] op_sel:[0,1]
	s_xor_b64 exec, exec, s[12:13]
	s_cbranch_execz .LBB15_485
.LBB15_505:
	v_cmp_ne_u16_e32 vcc, 0, v3
	s_andn2_b64 s[2:3], s[2:3], exec
	s_and_b64 s[10:11], vcc, exec
	v_pk_mov_b32 v[4:5], 0, 0
	s_or_b64 s[2:3], s[2:3], s[10:11]
	s_or_b64 exec, exec, s[12:13]
	s_and_saveexec_b64 s[10:11], s[2:3]
	s_cbranch_execnz .LBB15_486
	s_branch .LBB15_487
.LBB15_506:
	s_mov_b64 s[8:9], -1
                                        ; implicit-def: $vgpr4_vgpr5
.LBB15_507:
	s_mov_b64 s[10:11], 0
.LBB15_508:
	s_and_b64 vcc, exec, s[10:11]
	s_cbranch_vccz .LBB15_512
; %bb.509:
	v_cmp_eq_u16_e32 vcc, 11, v8
	s_cbranch_vccz .LBB15_511
; %bb.510:
	global_load_ubyte v3, v[0:1], off
	s_waitcnt vmcnt(1)
	v_mov_b32_e32 v5, 0x3ff00000
	v_mov_b32_e32 v4, 0
	s_mov_b64 s[2:3], -1
	s_mov_b64 s[8:9], 0
	s_waitcnt vmcnt(0)
	v_cmp_ne_u16_e32 vcc, 0, v3
	v_cndmask_b32_e32 v5, 0, v5, vcc
	s_branch .LBB15_512
.LBB15_511:
	s_mov_b64 s[8:9], -1
                                        ; implicit-def: $vgpr4_vgpr5
.LBB15_512:
	s_branch .LBB15_305
.LBB15_513:
	v_cmp_gt_i16_e32 vcc, 5, v8
	s_cbranch_vccnz .LBB15_518
; %bb.514:
	v_cmp_gt_i16_e32 vcc, 8, v8
	s_cbranch_vccnz .LBB15_519
; %bb.515:
	;; [unrolled: 3-line block ×3, first 2 shown]
	v_cmp_lt_i16_e32 vcc, 9, v8
	s_cbranch_vccz .LBB15_521
; %bb.517:
	global_load_dwordx2 v[4:5], v[0:1], off
	s_mov_b64 s[2:3], 0
	s_branch .LBB15_522
.LBB15_518:
	s_mov_b64 s[2:3], -1
                                        ; implicit-def: $vgpr4_vgpr5
	s_branch .LBB15_540
.LBB15_519:
	s_mov_b64 s[2:3], -1
                                        ; implicit-def: $vgpr4_vgpr5
	s_branch .LBB15_528
.LBB15_520:
	s_mov_b64 s[2:3], -1
                                        ; implicit-def: $vgpr4_vgpr5
	s_branch .LBB15_525
.LBB15_521:
	s_mov_b64 s[2:3], -1
                                        ; implicit-def: $vgpr4_vgpr5
.LBB15_522:
	s_andn2_b64 vcc, exec, s[2:3]
	s_cbranch_vccnz .LBB15_524
; %bb.523:
	global_load_dword v3, v[0:1], off
	s_waitcnt vmcnt(0)
	v_cvt_f64_f32_e32 v[4:5], v3
.LBB15_524:
	s_mov_b64 s[2:3], 0
.LBB15_525:
	s_andn2_b64 vcc, exec, s[2:3]
	s_cbranch_vccnz .LBB15_527
; %bb.526:
	global_load_dword v3, v[0:1], off
	s_waitcnt vmcnt(0)
	v_cvt_f32_f16_e32 v3, v3
	v_cvt_f64_f32_e32 v[4:5], v3
.LBB15_527:
	s_mov_b64 s[2:3], 0
.LBB15_528:
	s_andn2_b64 vcc, exec, s[2:3]
	s_cbranch_vccnz .LBB15_539
; %bb.529:
	v_cmp_gt_i16_e32 vcc, 6, v8
	s_cbranch_vccnz .LBB15_532
; %bb.530:
	v_cmp_lt_i16_e32 vcc, 6, v8
	s_cbranch_vccz .LBB15_533
; %bb.531:
	global_load_dwordx2 v[4:5], v[0:1], off
	s_mov_b64 s[2:3], 0
	s_branch .LBB15_534
.LBB15_532:
	s_mov_b64 s[2:3], -1
                                        ; implicit-def: $vgpr4_vgpr5
	s_branch .LBB15_537
.LBB15_533:
	s_mov_b64 s[2:3], -1
                                        ; implicit-def: $vgpr4_vgpr5
.LBB15_534:
	s_andn2_b64 vcc, exec, s[2:3]
	s_cbranch_vccnz .LBB15_536
; %bb.535:
	global_load_dword v3, v[0:1], off
	s_waitcnt vmcnt(0)
	v_cvt_f64_f32_e32 v[4:5], v3
.LBB15_536:
	s_mov_b64 s[2:3], 0
.LBB15_537:
	s_andn2_b64 vcc, exec, s[2:3]
	s_cbranch_vccnz .LBB15_539
; %bb.538:
	global_load_ushort v3, v[0:1], off
	s_waitcnt vmcnt(0)
	v_cvt_f32_f16_e32 v3, v3
	v_cvt_f64_f32_e32 v[4:5], v3
.LBB15_539:
	s_mov_b64 s[2:3], 0
.LBB15_540:
	s_andn2_b64 vcc, exec, s[2:3]
	s_cbranch_vccnz .LBB15_560
; %bb.541:
	v_cmp_gt_i16_e32 vcc, 2, v8
	s_cbranch_vccnz .LBB15_545
; %bb.542:
	v_cmp_gt_i16_e32 vcc, 3, v8
	s_cbranch_vccnz .LBB15_546
; %bb.543:
	v_cmp_lt_i16_e32 vcc, 3, v8
	s_cbranch_vccz .LBB15_547
; %bb.544:
	global_load_dwordx2 v[4:5], v[0:1], off
	s_mov_b64 s[2:3], 0
	s_waitcnt vmcnt(0)
	v_cvt_f64_i32_e32 v[6:7], v5
	v_cvt_f64_u32_e32 v[4:5], v4
	v_ldexp_f64 v[6:7], v[6:7], 32
	v_add_f64 v[4:5], v[6:7], v[4:5]
	s_branch .LBB15_548
.LBB15_545:
	s_mov_b64 s[2:3], -1
                                        ; implicit-def: $vgpr4_vgpr5
	s_branch .LBB15_554
.LBB15_546:
	s_mov_b64 s[2:3], -1
                                        ; implicit-def: $vgpr4_vgpr5
	s_branch .LBB15_551
.LBB15_547:
	s_mov_b64 s[2:3], -1
                                        ; implicit-def: $vgpr4_vgpr5
.LBB15_548:
	s_andn2_b64 vcc, exec, s[2:3]
	s_cbranch_vccnz .LBB15_550
; %bb.549:
	global_load_dword v3, v[0:1], off
	s_waitcnt vmcnt(0)
	v_cvt_f64_i32_e32 v[4:5], v3
.LBB15_550:
	s_mov_b64 s[2:3], 0
.LBB15_551:
	s_andn2_b64 vcc, exec, s[2:3]
	s_cbranch_vccnz .LBB15_553
; %bb.552:
	global_load_sshort v3, v[0:1], off
	s_waitcnt vmcnt(0)
	v_cvt_f64_i32_e32 v[4:5], v3
.LBB15_553:
	s_mov_b64 s[2:3], 0
.LBB15_554:
	s_andn2_b64 vcc, exec, s[2:3]
	s_cbranch_vccnz .LBB15_560
; %bb.555:
	v_cmp_lt_i16_e32 vcc, 0, v8
	s_cbranch_vccz .LBB15_557
; %bb.556:
	global_load_sbyte v3, v[0:1], off
	s_mov_b64 s[2:3], 0
	s_waitcnt vmcnt(0)
	v_cvt_f64_i32_e32 v[4:5], v3
	s_branch .LBB15_558
.LBB15_557:
	s_mov_b64 s[2:3], -1
                                        ; implicit-def: $vgpr4_vgpr5
.LBB15_558:
	s_andn2_b64 vcc, exec, s[2:3]
	s_cbranch_vccnz .LBB15_560
; %bb.559:
	global_load_ubyte v0, v[0:1], off
	s_waitcnt vmcnt(0)
	v_cvt_f64_u32_e32 v[4:5], v0
.LBB15_560:
	s_branch .LBB15_306
.LBB15_561:
	s_mov_b64 s[10:11], 0
	s_mov_b64 s[2:3], s[60:61]
.LBB15_562:
                                        ; implicit-def: $vgpr9
.LBB15_563:
	s_andn2_b64 s[12:13], s[60:61], exec
	s_and_b64 s[2:3], s[2:3], exec
	s_or_b64 s[68:69], s[12:13], s[2:3]
	s_andn2_b64 s[2:3], s[62:63], exec
	s_and_b64 s[8:9], s[8:9], exec
	s_or_b64 s[66:67], s[2:3], s[8:9]
	s_orn2_b64 s[2:3], s[10:11], exec
.LBB15_564:
	s_or_b64 exec, exec, s[70:71]
	s_mov_b64 s[8:9], 0
	s_mov_b64 s[12:13], 0
	;; [unrolled: 1-line block ×3, first 2 shown]
                                        ; implicit-def: $vgpr0_vgpr1
                                        ; implicit-def: $vgpr2
                                        ; implicit-def: $vgpr6_vgpr7
	s_and_saveexec_b64 s[70:71], s[2:3]
	s_cbranch_execz .LBB15_951
; %bb.565:
	v_cmp_gt_i32_e32 vcc, s78, v9
	s_mov_b64 s[10:11], -1
	s_mov_b64 s[2:3], s[66:67]
	s_mov_b64 s[74:75], s[68:69]
	s_and_saveexec_b64 s[72:73], vcc
	s_cbranch_execz .LBB15_850
; %bb.566:
	s_andn2_b64 vcc, exec, s[44:45]
	s_cbranch_vccnz .LBB15_572
; %bb.567:
	s_mov_b32 s2, 0
	s_andn2_b64 vcc, exec, s[58:59]
	v_mov_b32_e32 v0, 0
	v_mov_b32_e32 v2, 0
	s_cbranch_vccnz .LBB15_578
; %bb.568:
	s_add_i32 s82, s79, 1
	s_cmp_eq_u32 s80, 2
	s_cbranch_scc1 .LBB15_573
; %bb.569:
	s_and_b32 s2, s82, 28
	s_mov_b32 s3, 0
	v_mov_b32_e32 v2, 0
	s_mov_b64 s[74:75], s[34:35]
	s_mov_b64 s[76:77], s[56:57]
	v_mov_b32_e32 v1, v9
	v_mov_b32_e32 v0, 0
.LBB15_570:                             ; =>This Inner Loop Header: Depth=1
	s_load_dwordx8 s[16:23], s[74:75], 0x4
	s_load_dwordx4 s[40:43], s[74:75], 0x24
	s_load_dwordx8 s[8:15], s[76:77], 0x0
	s_add_u32 s74, s74, 48
	s_addc_u32 s75, s75, 0
	s_waitcnt lgkmcnt(0)
	v_mul_hi_u32 v3, s17, v1
	v_add_u32_e32 v3, v1, v3
	v_lshrrev_b32_e32 v3, s18, v3
	s_waitcnt vmcnt(0)
	v_mul_lo_u32 v4, v3, s16
	v_mul_hi_u32 v5, s20, v3
	v_sub_u32_e32 v1, v1, v4
	v_add_u32_e32 v4, v3, v5
	v_lshrrev_b32_e32 v4, s21, v4
	v_mul_lo_u32 v6, v4, s19
	v_mul_hi_u32 v7, s23, v4
	v_sub_u32_e32 v3, v3, v6
	v_add_u32_e32 v6, v4, v7
	v_mul_lo_u32 v5, v1, s9
	v_mul_lo_u32 v1, v1, s8
	;; [unrolled: 1-line block ×4, first 2 shown]
	v_lshrrev_b32_e32 v6, s40, v6
	v_add3_u32 v2, v1, v2, v3
	v_mul_lo_u32 v1, v6, s22
	v_mul_hi_u32 v3, s42, v6
	v_sub_u32_e32 v1, v4, v1
	v_add_u32_e32 v3, v6, v3
	v_add3_u32 v0, v5, v0, v7
	v_mul_lo_u32 v4, v1, s12
	v_mul_lo_u32 v5, v1, s13
	v_lshrrev_b32_e32 v1, s43, v3
	s_add_i32 s3, s3, 4
	v_mul_lo_u32 v3, v1, s41
	s_add_u32 s76, s76, 32
	v_sub_u32_e32 v3, v6, v3
	s_addc_u32 s77, s77, 0
	v_mul_lo_u32 v6, v3, s14
	v_mul_lo_u32 v3, v3, s15
	s_cmp_eq_u32 s2, s3
	v_add3_u32 v0, v5, v0, v3
	v_add3_u32 v2, v4, v2, v6
	s_cbranch_scc0 .LBB15_570
; %bb.571:
	v_mov_b32_e32 v3, v0
	s_branch .LBB15_574
.LBB15_572:
	s_mov_b64 s[2:3], -1
                                        ; implicit-def: $vgpr0
                                        ; implicit-def: $vgpr2
	s_branch .LBB15_579
.LBB15_573:
	s_mov_b32 s3, s2
	v_pk_mov_b32 v[2:3], s[2:3], s[2:3] op_sel:[0,1]
                                        ; implicit-def: $vgpr0
	v_mov_b32_e32 v1, v9
.LBB15_574:
	s_and_b32 s10, s82, 3
	s_cmp_eq_u32 s10, 0
	s_cbranch_scc1 .LBB15_578
; %bb.575:
	s_lshl_b32 s3, s2, 3
	s_add_u32 s3, s3, s34
	s_addc_u32 s9, s35, 0
	s_add_u32 s8, s3, 0xc4
	s_addc_u32 s9, s9, 0
	s_mul_i32 s2, s2, 12
	s_add_u32 s2, s34, s2
	s_addc_u32 s3, s35, 0
.LBB15_576:                             ; =>This Inner Loop Header: Depth=1
	s_load_dwordx2 s[12:13], s[2:3], 0x4
	s_load_dword s11, s[2:3], 0xc
	s_load_dwordx2 s[14:15], s[8:9], 0x0
	v_mov_b32_e32 v0, v3
	s_add_u32 s2, s2, 12
	s_waitcnt lgkmcnt(0)
	v_mul_hi_u32 v3, s13, v1
	v_add_u32_e32 v3, v1, v3
	v_lshrrev_b32_e32 v3, s11, v3
	s_addc_u32 s3, s3, 0
	s_waitcnt vmcnt(0)
	v_mul_lo_u32 v4, v3, s12
	s_add_u32 s8, s8, 8
	v_sub_u32_e32 v6, v1, v4
	v_mov_b32_e32 v1, v3
	s_addc_u32 s9, s9, 0
	s_add_i32 s10, s10, -1
	v_mad_u64_u32 v[4:5], s[12:13], v6, s15, v[0:1]
	v_mad_u64_u32 v[2:3], s[12:13], v6, s14, v[2:3]
	s_cmp_lg_u32 s10, 0
	v_mov_b32_e32 v3, v4
	s_cbranch_scc1 .LBB15_576
; %bb.577:
	v_mov_b32_e32 v0, v3
.LBB15_578:
	s_mov_b64 s[2:3], 0
.LBB15_579:
	s_andn2_b64 vcc, exec, s[2:3]
	s_cbranch_vccnz .LBB15_582
; %bb.580:
	v_mul_hi_u32 v0, s29, v9
	v_add_u32_e32 v0, v9, v0
	v_lshrrev_b32_e32 v1, s30, v0
	v_mul_lo_u32 v0, v1, s28
	v_sub_u32_e32 v2, v9, v0
	v_mul_lo_u32 v0, v2, s37
	s_andn2_b64 vcc, exec, s[54:55]
	v_mul_lo_u32 v2, v2, s36
	s_cbranch_vccnz .LBB15_582
; %bb.581:
	v_mul_hi_u32 v3, s52, v1
	v_add_u32_e32 v3, v1, v3
	v_lshrrev_b32_e32 v3, s53, v3
	v_mul_lo_u32 v3, v3, s31
	v_sub_u32_e32 v1, v1, v3
	v_mad_u64_u32 v[2:3], s[2:3], v1, s38, v[2:3]
	v_mad_u64_u32 v[0:1], s[2:3], v1, s39, v[0:1]
.LBB15_582:
	v_mov_b32_e32 v1, s27
	v_add_co_u32_e32 v0, vcc, s26, v0
	v_addc_co_u32_e32 v1, vcc, 0, v1, vcc
	v_cmp_gt_i16_e32 vcc, 11, v8
	s_cbranch_vccnz .LBB15_589
; %bb.583:
	v_cmp_lt_i16_e32 vcc, 25, v8
	s_cbranch_vccz .LBB15_590
; %bb.584:
	v_cmp_lt_i16_e32 vcc, 28, v8
	s_cbranch_vccz .LBB15_591
	;; [unrolled: 3-line block ×4, first 2 shown]
; %bb.587:
	v_cmp_eq_u16_e32 vcc, 46, v8
	s_mov_b64 s[10:11], 0
	s_cbranch_vccz .LBB15_598
; %bb.588:
	global_load_dword v3, v[0:1], off
	s_mov_b64 s[2:3], -1
	s_mov_b64 s[8:9], 0
	s_waitcnt vmcnt(0)
	v_lshlrev_b32_e32 v3, 16, v3
	v_cvt_f64_f32_e32 v[4:5], v3
	s_branch .LBB15_599
.LBB15_589:
	s_mov_b64 s[10:11], -1
	s_mov_b64 s[2:3], 0
                                        ; implicit-def: $vgpr4_vgpr5
	s_mov_b64 s[8:9], s[66:67]
	s_branch .LBB15_664
.LBB15_590:
	s_mov_b64 s[10:11], -1
	s_mov_b64 s[2:3], 0
	s_mov_b64 s[8:9], s[66:67]
                                        ; implicit-def: $vgpr4_vgpr5
	s_branch .LBB15_628
.LBB15_591:
	s_mov_b64 s[10:11], -1
	s_mov_b64 s[2:3], 0
	s_mov_b64 s[8:9], s[66:67]
                                        ; implicit-def: $vgpr4_vgpr5
	s_branch .LBB15_609
.LBB15_592:
	s_mov_b64 s[10:11], -1
	s_mov_b64 s[2:3], 0
	s_mov_b64 s[8:9], s[66:67]
                                        ; implicit-def: $vgpr4_vgpr5
	s_branch .LBB15_604
.LBB15_593:
	s_or_saveexec_b64 s[14:15], s[14:15]
                                        ; implicit-def: $sgpr16
	s_xor_b64 exec, exec, s[14:15]
	s_cbranch_execz .LBB15_361
.LBB15_594:
	s_mov_b32 s16, 0x46000000
	v_add_f32_e64 v3, |v2|, s16
	v_and_b32_e32 v3, 0xff, v3
	v_cmp_ne_u32_e32 vcc, 0, v3
	s_andn2_b64 s[12:13], s[12:13], exec
	s_and_b64 s[18:19], vcc, exec
	s_mov_b32 s16, 0
	s_or_b64 s[12:13], s[12:13], s[18:19]
	s_or_b64 exec, exec, s[14:15]
	v_mov_b32_e32 v6, s16
	s_and_saveexec_b64 s[14:15], s[12:13]
	s_cbranch_execnz .LBB15_362
	s_branch .LBB15_363
.LBB15_595:
	s_mov_b64 s[10:11], -1
	s_mov_b64 s[2:3], 0
	s_mov_b64 s[8:9], s[66:67]
                                        ; implicit-def: $vgpr4_vgpr5
	s_branch .LBB15_599
.LBB15_596:
	s_or_saveexec_b64 s[14:15], s[14:15]
                                        ; implicit-def: $sgpr16
	s_xor_b64 exec, exec, s[14:15]
	s_cbranch_execz .LBB15_374
.LBB15_597:
	s_mov_b32 s16, 0x42800000
	v_add_f32_e64 v3, |v2|, s16
	v_and_b32_e32 v3, 0xff, v3
	v_cmp_ne_u32_e32 vcc, 0, v3
	s_andn2_b64 s[12:13], s[12:13], exec
	s_and_b64 s[18:19], vcc, exec
	s_mov_b32 s16, 0
	s_or_b64 s[12:13], s[12:13], s[18:19]
	s_or_b64 exec, exec, s[14:15]
	v_mov_b32_e32 v6, s16
	s_and_saveexec_b64 s[14:15], s[12:13]
	s_cbranch_execnz .LBB15_375
	s_branch .LBB15_376
.LBB15_598:
	s_mov_b64 s[8:9], -1
                                        ; implicit-def: $vgpr4_vgpr5
	s_mov_b64 s[2:3], 0
.LBB15_599:
	s_and_b64 vcc, exec, s[10:11]
	s_cbranch_vccz .LBB15_603
; %bb.600:
	v_cmp_eq_u16_e32 vcc, 44, v8
	s_cbranch_vccz .LBB15_602
; %bb.601:
	global_load_ubyte v3, v[0:1], off
	s_movk_i32 s8, 0xff
	v_bfrev_b32_e32 v6, 4
	v_mov_b32_e32 v7, 0x7ff80000
	v_bfrev_b32_e32 v10, 28
	s_mov_b64 s[2:3], -1
	s_waitcnt vmcnt(0)
	v_lshlrev_b32_e32 v4, 23, v3
	v_cvt_f64_f32_e32 v[4:5], v4
	v_cmp_ne_u32_e32 vcc, s8, v3
	v_cndmask_b32_e32 v4, v6, v4, vcc
	v_cndmask_b32_e32 v5, v7, v5, vcc
	v_cmp_ne_u32_e32 vcc, 0, v3
	v_cndmask_b32_e32 v5, v10, v5, vcc
	v_cndmask_b32_e32 v4, 0, v4, vcc
	s_mov_b64 s[8:9], 0
	s_branch .LBB15_603
.LBB15_602:
	s_mov_b64 s[8:9], -1
                                        ; implicit-def: $vgpr4_vgpr5
.LBB15_603:
	s_mov_b64 s[10:11], 0
.LBB15_604:
	s_and_b64 vcc, exec, s[10:11]
	s_cbranch_vccz .LBB15_608
; %bb.605:
	v_cmp_eq_u16_e32 vcc, 29, v8
	s_cbranch_vccz .LBB15_607
; %bb.606:
	global_load_dwordx2 v[4:5], v[0:1], off
	s_mov_b64 s[2:3], -1
	s_mov_b64 s[8:9], 0
	s_mov_b64 s[10:11], 0
	s_waitcnt vmcnt(0)
	v_cvt_f64_u32_e32 v[6:7], v5
	v_cvt_f64_u32_e32 v[4:5], v4
	v_ldexp_f64 v[6:7], v[6:7], 32
	v_add_f64 v[4:5], v[6:7], v[4:5]
	s_branch .LBB15_609
.LBB15_607:
	s_mov_b64 s[8:9], -1
                                        ; implicit-def: $vgpr4_vgpr5
.LBB15_608:
	s_mov_b64 s[10:11], 0
.LBB15_609:
	s_and_b64 vcc, exec, s[10:11]
	s_cbranch_vccz .LBB15_627
; %bb.610:
	v_cmp_gt_i16_e32 vcc, 27, v8
	s_cbranch_vccnz .LBB15_613
; %bb.611:
	v_cmp_lt_i16_e32 vcc, 27, v8
	s_cbranch_vccz .LBB15_614
; %bb.612:
	global_load_dword v3, v[0:1], off
	s_mov_b64 s[2:3], 0
	s_waitcnt vmcnt(0)
	v_cvt_f64_u32_e32 v[4:5], v3
	s_branch .LBB15_615
.LBB15_613:
	s_mov_b64 s[2:3], -1
                                        ; implicit-def: $vgpr4_vgpr5
	s_branch .LBB15_618
.LBB15_614:
	s_mov_b64 s[2:3], -1
                                        ; implicit-def: $vgpr4_vgpr5
.LBB15_615:
	s_andn2_b64 vcc, exec, s[2:3]
	s_cbranch_vccnz .LBB15_617
; %bb.616:
	global_load_ushort v3, v[0:1], off
	s_waitcnt vmcnt(0)
	v_cvt_f64_u32_e32 v[4:5], v3
.LBB15_617:
	s_mov_b64 s[2:3], 0
.LBB15_618:
	s_andn2_b64 vcc, exec, s[2:3]
	s_cbranch_vccnz .LBB15_626
; %bb.619:
	global_load_ubyte v3, v[0:1], off
	s_movk_i32 s2, 0x7f
                                        ; implicit-def: $sgpr10_sgpr11
	s_waitcnt vmcnt(0)
	v_cmp_lt_i16_e32 vcc, s2, v3
	s_mov_b64 s[2:3], 0
	s_and_saveexec_b64 s[12:13], vcc
	s_xor_b64 s[12:13], exec, s[12:13]
	s_cbranch_execz .LBB15_640
; %bb.620:
	s_movk_i32 s2, 0x80
	v_cmp_eq_u16_e32 vcc, s2, v3
	s_mov_b64 s[14:15], -1
                                        ; implicit-def: $sgpr10_sgpr11
	s_and_saveexec_b64 s[2:3], vcc
; %bb.621:
	s_mov_b32 s11, 0x7ff80000
	s_brev_b32 s10, 4
	s_xor_b64 s[14:15], exec, -1
; %bb.622:
	s_or_b64 exec, exec, s[2:3]
	s_and_b64 s[2:3], s[14:15], exec
	s_or_saveexec_b64 s[12:13], s[12:13]
	v_pk_mov_b32 v[4:5], s[10:11], s[10:11] op_sel:[0,1]
	s_xor_b64 exec, exec, s[12:13]
	s_cbranch_execnz .LBB15_641
.LBB15_623:
	s_or_b64 exec, exec, s[12:13]
	s_and_saveexec_b64 s[10:11], s[2:3]
	s_cbranch_execz .LBB15_625
.LBB15_624:
	v_lshlrev_b32_e32 v4, 24, v3
	v_and_b32_e32 v3, 0xffff, v3
	v_and_b32_e32 v5, 7, v3
	v_ffbh_u32_e32 v7, v5
	v_min_u32_e32 v7, 32, v7
	v_subrev_u32_e32 v10, 28, v7
	v_bfe_u32 v6, v3, 3, 4
	v_lshlrev_b32_e32 v3, v10, v3
	v_sub_u32_e32 v7, 29, v7
	v_and_b32_e32 v3, 7, v3
	v_cmp_eq_u32_e32 vcc, 0, v6
	v_cndmask_b32_e32 v6, v6, v7, vcc
	v_cndmask_b32_e32 v3, v5, v3, vcc
	v_mov_b32_e32 v5, 0x3b800000
	v_lshlrev_b32_e32 v3, 20, v3
	v_and_b32_e32 v4, 0x80000000, v4
	v_lshl_add_u32 v5, v6, 23, v5
	v_or3_b32 v3, v4, v5, v3
	v_cvt_f64_f32_e32 v[4:5], v3
.LBB15_625:
	s_or_b64 exec, exec, s[10:11]
.LBB15_626:
	s_mov_b64 s[2:3], -1
.LBB15_627:
	s_mov_b64 s[10:11], 0
.LBB15_628:
	s_and_b64 vcc, exec, s[10:11]
	s_cbranch_vccz .LBB15_663
; %bb.629:
	v_cmp_lt_i16_e32 vcc, 22, v8
	s_cbranch_vccz .LBB15_639
; %bb.630:
	v_cmp_gt_i16_e32 vcc, 24, v8
	s_cbranch_vccnz .LBB15_642
; %bb.631:
	v_cmp_lt_i16_e32 vcc, 24, v8
	s_cbranch_vccz .LBB15_643
; %bb.632:
	global_load_ubyte v3, v[0:1], off
	s_movk_i32 s2, 0x7f
                                        ; implicit-def: $sgpr10_sgpr11
	s_waitcnt vmcnt(0)
	v_cmp_lt_i16_e32 vcc, s2, v3
	s_mov_b64 s[2:3], 0
	s_and_saveexec_b64 s[12:13], vcc
	s_xor_b64 s[12:13], exec, s[12:13]
	s_cbranch_execz .LBB15_655
; %bb.633:
	s_movk_i32 s2, 0x80
	v_cmp_eq_u16_e32 vcc, s2, v3
	s_mov_b64 s[14:15], -1
                                        ; implicit-def: $sgpr10_sgpr11
	s_and_saveexec_b64 s[2:3], vcc
; %bb.634:
	s_mov_b32 s11, 0x7ff80000
	s_brev_b32 s10, 4
	s_xor_b64 s[14:15], exec, -1
; %bb.635:
	s_or_b64 exec, exec, s[2:3]
	s_and_b64 s[2:3], s[14:15], exec
	s_or_saveexec_b64 s[12:13], s[12:13]
	v_pk_mov_b32 v[4:5], s[10:11], s[10:11] op_sel:[0,1]
	s_xor_b64 exec, exec, s[12:13]
	s_cbranch_execnz .LBB15_656
.LBB15_636:
	s_or_b64 exec, exec, s[12:13]
	s_and_saveexec_b64 s[10:11], s[2:3]
	s_cbranch_execz .LBB15_638
.LBB15_637:
	v_lshlrev_b32_e32 v4, 24, v3
	v_and_b32_e32 v3, 0xffff, v3
	v_and_b32_e32 v5, 3, v3
	v_ffbh_u32_e32 v7, v5
	v_min_u32_e32 v7, 32, v7
	v_subrev_u32_e32 v10, 29, v7
	v_bfe_u32 v6, v3, 2, 5
	v_lshlrev_b32_e32 v3, v10, v3
	v_sub_u32_e32 v7, 30, v7
	v_and_b32_e32 v3, 3, v3
	v_cmp_eq_u32_e32 vcc, 0, v6
	v_cndmask_b32_e32 v6, v6, v7, vcc
	v_cndmask_b32_e32 v3, v5, v3, vcc
	v_mov_b32_e32 v5, 0x37800000
	v_lshlrev_b32_e32 v3, 21, v3
	v_and_b32_e32 v4, 0x80000000, v4
	v_lshl_add_u32 v5, v6, 23, v5
	v_or3_b32 v3, v4, v5, v3
	v_cvt_f64_f32_e32 v[4:5], v3
.LBB15_638:
	s_or_b64 exec, exec, s[10:11]
	s_mov_b64 s[2:3], 0
	s_branch .LBB15_644
.LBB15_639:
	s_mov_b64 s[10:11], -1
                                        ; implicit-def: $vgpr4_vgpr5
	s_branch .LBB15_650
.LBB15_640:
	s_or_saveexec_b64 s[12:13], s[12:13]
	v_pk_mov_b32 v[4:5], s[10:11], s[10:11] op_sel:[0,1]
	s_xor_b64 exec, exec, s[12:13]
	s_cbranch_execz .LBB15_623
.LBB15_641:
	v_cmp_ne_u16_e32 vcc, 0, v3
	s_andn2_b64 s[2:3], s[2:3], exec
	s_and_b64 s[10:11], vcc, exec
	v_pk_mov_b32 v[4:5], 0, 0
	s_or_b64 s[2:3], s[2:3], s[10:11]
	s_or_b64 exec, exec, s[12:13]
	s_and_saveexec_b64 s[10:11], s[2:3]
	s_cbranch_execnz .LBB15_624
	s_branch .LBB15_625
.LBB15_642:
	s_mov_b64 s[2:3], -1
                                        ; implicit-def: $vgpr4_vgpr5
	s_branch .LBB15_647
.LBB15_643:
	s_mov_b64 s[2:3], -1
                                        ; implicit-def: $vgpr4_vgpr5
.LBB15_644:
	s_and_b64 vcc, exec, s[2:3]
	s_cbranch_vccz .LBB15_646
; %bb.645:
	global_load_ubyte v3, v[0:1], off
	s_mov_b32 s2, 0x7f800000
	s_waitcnt vmcnt(0)
	v_lshlrev_b32_e32 v3, 24, v3
	v_and_b32_e32 v4, 0x7f000000, v3
	v_ffbh_u32_e32 v5, v4
	v_min_u32_e32 v5, 32, v5
	v_sub_u32_e64 v5, v5, 4 clamp
	v_lshlrev_b32_e32 v7, v5, v4
	v_lshlrev_b32_e32 v5, 23, v5
	v_lshrrev_b32_e32 v7, 4, v7
	v_add_u32_e32 v6, 0x1000000, v4
	v_sub_u32_e32 v5, v7, v5
	v_ashrrev_i32_e32 v6, 8, v6
	v_add_u32_e32 v5, 0x3c000000, v5
	v_and_or_b32 v5, v6, s2, v5
	v_cmp_ne_u32_e32 vcc, 0, v4
	v_cndmask_b32_e32 v4, 0, v5, vcc
	s_brev_b32 s2, 1
	v_and_or_b32 v3, v3, s2, v4
	v_cvt_f64_f32_e32 v[4:5], v3
.LBB15_646:
	s_mov_b64 s[2:3], 0
.LBB15_647:
	s_andn2_b64 vcc, exec, s[2:3]
	s_cbranch_vccnz .LBB15_649
; %bb.648:
	global_load_ubyte v3, v[0:1], off
	s_movk_i32 s2, 0x7f00
	s_brev_b32 s3, 16
	s_waitcnt vmcnt(0)
	v_lshlrev_b16_e32 v4, 8, v3
	v_lshlrev_b32_e32 v3, 25, v3
	v_lshrrev_b32_e32 v5, 4, v3
	v_and_or_b32 v6, v4, s2, 0.5
	v_or_b32_e32 v5, 0x70000000, v5
	v_add_f32_e32 v6, -0.5, v6
	v_mul_f32_e32 v5, 0x7800000, v5
	v_cmp_gt_u32_e32 vcc, s3, v3
	v_bfe_i32 v4, v4, 0, 16
	v_cndmask_b32_e32 v3, v5, v6, vcc
	s_brev_b32 s2, 1
	v_and_or_b32 v3, v4, s2, v3
	v_cvt_f64_f32_e32 v[4:5], v3
.LBB15_649:
	s_mov_b64 s[10:11], 0
	s_mov_b64 s[2:3], -1
.LBB15_650:
	s_andn2_b64 vcc, exec, s[10:11]
	s_cbranch_vccnz .LBB15_663
; %bb.651:
	v_cmp_lt_i16_e32 vcc, 14, v8
	s_cbranch_vccz .LBB15_654
; %bb.652:
	v_cmp_eq_u16_e32 vcc, 15, v8
	s_cbranch_vccz .LBB15_657
; %bb.653:
	global_load_ushort v3, v[0:1], off
	s_mov_b64 s[2:3], -1
	s_mov_b64 s[8:9], 0
	s_waitcnt vmcnt(0)
	v_lshlrev_b32_e32 v3, 16, v3
	v_cvt_f64_f32_e32 v[4:5], v3
	s_branch .LBB15_658
.LBB15_654:
	s_mov_b64 s[10:11], -1
                                        ; implicit-def: $vgpr4_vgpr5
	s_branch .LBB15_659
.LBB15_655:
	s_or_saveexec_b64 s[12:13], s[12:13]
	v_pk_mov_b32 v[4:5], s[10:11], s[10:11] op_sel:[0,1]
	s_xor_b64 exec, exec, s[12:13]
	s_cbranch_execz .LBB15_636
.LBB15_656:
	v_cmp_ne_u16_e32 vcc, 0, v3
	s_andn2_b64 s[2:3], s[2:3], exec
	s_and_b64 s[10:11], vcc, exec
	v_pk_mov_b32 v[4:5], 0, 0
	s_or_b64 s[2:3], s[2:3], s[10:11]
	s_or_b64 exec, exec, s[12:13]
	s_and_saveexec_b64 s[10:11], s[2:3]
	s_cbranch_execnz .LBB15_637
	s_branch .LBB15_638
.LBB15_657:
	s_mov_b64 s[8:9], -1
                                        ; implicit-def: $vgpr4_vgpr5
.LBB15_658:
	s_mov_b64 s[10:11], 0
.LBB15_659:
	s_and_b64 vcc, exec, s[10:11]
	s_cbranch_vccz .LBB15_663
; %bb.660:
	v_cmp_eq_u16_e32 vcc, 11, v8
	s_cbranch_vccz .LBB15_662
; %bb.661:
	global_load_ubyte v3, v[0:1], off
	s_waitcnt vmcnt(1)
	v_mov_b32_e32 v5, 0x3ff00000
	v_mov_b32_e32 v4, 0
	s_mov_b64 s[2:3], -1
	s_mov_b64 s[8:9], 0
	s_waitcnt vmcnt(0)
	v_cmp_ne_u16_e32 vcc, 0, v3
	v_cndmask_b32_e32 v5, 0, v5, vcc
	s_branch .LBB15_663
.LBB15_662:
	s_mov_b64 s[8:9], -1
                                        ; implicit-def: $vgpr4_vgpr5
.LBB15_663:
	s_mov_b64 s[10:11], 0
.LBB15_664:
	s_and_b64 vcc, exec, s[10:11]
	s_cbranch_vccz .LBB15_713
; %bb.665:
	v_cmp_gt_i16_e32 vcc, 5, v8
	s_cbranch_vccnz .LBB15_670
; %bb.666:
	v_cmp_gt_i16_e32 vcc, 8, v8
	s_cbranch_vccnz .LBB15_671
	;; [unrolled: 3-line block ×3, first 2 shown]
; %bb.668:
	v_cmp_lt_i16_e32 vcc, 9, v8
	s_cbranch_vccz .LBB15_673
; %bb.669:
	global_load_dwordx2 v[4:5], v[0:1], off
	s_mov_b64 s[2:3], 0
	s_branch .LBB15_674
.LBB15_670:
	s_mov_b64 s[2:3], -1
                                        ; implicit-def: $vgpr4_vgpr5
	s_branch .LBB15_692
.LBB15_671:
	s_mov_b64 s[2:3], -1
                                        ; implicit-def: $vgpr4_vgpr5
	s_branch .LBB15_680
.LBB15_672:
	s_mov_b64 s[2:3], -1
                                        ; implicit-def: $vgpr4_vgpr5
	s_branch .LBB15_677
.LBB15_673:
	s_mov_b64 s[2:3], -1
                                        ; implicit-def: $vgpr4_vgpr5
.LBB15_674:
	s_andn2_b64 vcc, exec, s[2:3]
	s_cbranch_vccnz .LBB15_676
; %bb.675:
	global_load_dword v3, v[0:1], off
	s_waitcnt vmcnt(0)
	v_cvt_f64_f32_e32 v[4:5], v3
.LBB15_676:
	s_mov_b64 s[2:3], 0
.LBB15_677:
	s_andn2_b64 vcc, exec, s[2:3]
	s_cbranch_vccnz .LBB15_679
; %bb.678:
	global_load_dword v3, v[0:1], off
	s_waitcnt vmcnt(0)
	v_cvt_f32_f16_e32 v3, v3
	v_cvt_f64_f32_e32 v[4:5], v3
.LBB15_679:
	s_mov_b64 s[2:3], 0
.LBB15_680:
	s_andn2_b64 vcc, exec, s[2:3]
	s_cbranch_vccnz .LBB15_691
; %bb.681:
	v_cmp_gt_i16_e32 vcc, 6, v8
	s_cbranch_vccnz .LBB15_684
; %bb.682:
	v_cmp_lt_i16_e32 vcc, 6, v8
	s_cbranch_vccz .LBB15_685
; %bb.683:
	global_load_dwordx2 v[4:5], v[0:1], off
	s_mov_b64 s[2:3], 0
	s_branch .LBB15_686
.LBB15_684:
	s_mov_b64 s[2:3], -1
                                        ; implicit-def: $vgpr4_vgpr5
	s_branch .LBB15_689
.LBB15_685:
	s_mov_b64 s[2:3], -1
                                        ; implicit-def: $vgpr4_vgpr5
.LBB15_686:
	s_andn2_b64 vcc, exec, s[2:3]
	s_cbranch_vccnz .LBB15_688
; %bb.687:
	global_load_dword v3, v[0:1], off
	s_waitcnt vmcnt(0)
	v_cvt_f64_f32_e32 v[4:5], v3
.LBB15_688:
	s_mov_b64 s[2:3], 0
.LBB15_689:
	s_andn2_b64 vcc, exec, s[2:3]
	s_cbranch_vccnz .LBB15_691
; %bb.690:
	global_load_ushort v3, v[0:1], off
	s_waitcnt vmcnt(0)
	v_cvt_f32_f16_e32 v3, v3
	v_cvt_f64_f32_e32 v[4:5], v3
.LBB15_691:
	s_mov_b64 s[2:3], 0
.LBB15_692:
	s_andn2_b64 vcc, exec, s[2:3]
	s_cbranch_vccnz .LBB15_712
; %bb.693:
	v_cmp_gt_i16_e32 vcc, 2, v8
	s_cbranch_vccnz .LBB15_697
; %bb.694:
	v_cmp_gt_i16_e32 vcc, 3, v8
	s_cbranch_vccnz .LBB15_698
; %bb.695:
	v_cmp_lt_i16_e32 vcc, 3, v8
	s_cbranch_vccz .LBB15_699
; %bb.696:
	global_load_dwordx2 v[4:5], v[0:1], off
	s_mov_b64 s[2:3], 0
	s_waitcnt vmcnt(0)
	v_cvt_f64_i32_e32 v[6:7], v5
	v_cvt_f64_u32_e32 v[4:5], v4
	v_ldexp_f64 v[6:7], v[6:7], 32
	v_add_f64 v[4:5], v[6:7], v[4:5]
	s_branch .LBB15_700
.LBB15_697:
	s_mov_b64 s[2:3], -1
                                        ; implicit-def: $vgpr4_vgpr5
	s_branch .LBB15_706
.LBB15_698:
	s_mov_b64 s[2:3], -1
                                        ; implicit-def: $vgpr4_vgpr5
	s_branch .LBB15_703
.LBB15_699:
	s_mov_b64 s[2:3], -1
                                        ; implicit-def: $vgpr4_vgpr5
.LBB15_700:
	s_andn2_b64 vcc, exec, s[2:3]
	s_cbranch_vccnz .LBB15_702
; %bb.701:
	global_load_dword v3, v[0:1], off
	s_waitcnt vmcnt(0)
	v_cvt_f64_i32_e32 v[4:5], v3
.LBB15_702:
	s_mov_b64 s[2:3], 0
.LBB15_703:
	s_andn2_b64 vcc, exec, s[2:3]
	s_cbranch_vccnz .LBB15_705
; %bb.704:
	global_load_sshort v3, v[0:1], off
	s_waitcnt vmcnt(0)
	v_cvt_f64_i32_e32 v[4:5], v3
.LBB15_705:
	s_mov_b64 s[2:3], 0
.LBB15_706:
	s_andn2_b64 vcc, exec, s[2:3]
	s_cbranch_vccnz .LBB15_712
; %bb.707:
	v_cmp_lt_i16_e32 vcc, 0, v8
	s_cbranch_vccz .LBB15_709
; %bb.708:
	global_load_sbyte v3, v[0:1], off
	s_mov_b64 s[2:3], 0
	s_waitcnt vmcnt(0)
	v_cvt_f64_i32_e32 v[4:5], v3
	s_branch .LBB15_710
.LBB15_709:
	s_mov_b64 s[2:3], -1
                                        ; implicit-def: $vgpr4_vgpr5
.LBB15_710:
	s_andn2_b64 vcc, exec, s[2:3]
	s_cbranch_vccnz .LBB15_712
; %bb.711:
	global_load_ubyte v0, v[0:1], off
	s_waitcnt vmcnt(0)
	v_cvt_f64_u32_e32 v[4:5], v0
.LBB15_712:
	s_mov_b64 s[2:3], -1
.LBB15_713:
	s_andn2_b64 vcc, exec, s[2:3]
	s_cbranch_vccnz .LBB15_721
; %bb.714:
	s_andn2_b64 vcc, exec, s[50:51]
	v_pk_mov_b32 v[0:1], 0, 0
	s_cbranch_vccnz .LBB15_725
; %bb.715:
	v_cmp_lt_i64_e64 s[2:3], s[48:49], 1
	v_mov_b32_e32 v0, 0
	s_and_b64 vcc, exec, s[2:3]
	v_mov_b32_e32 v1, 0x3ff00000
	s_cbranch_vccnz .LBB15_725
; %bb.716:
	s_cmp_lg_u64 s[48:49], 1
	s_cbranch_scc0 .LBB15_722
; %bb.717:
	v_mov_b32_e32 v0, 0
	s_andn2_b64 vcc, exec, s[0:1]
	v_mov_b32_e32 v1, 0x7ff80000
	s_cbranch_vccnz .LBB15_720
; %bb.718:
	v_mov_b32_e32 v6, 0
	s_mov_b64 s[2:3], 1
	v_mov_b32_e32 v7, 0x3ff00000
	s_waitcnt vmcnt(0)
	v_pk_mov_b32 v[0:1], v[4:5], v[4:5] op_sel:[0,1]
.LBB15_719:                             ; =>This Inner Loop Header: Depth=1
	v_cvt_f64_u32_e32 v[10:11], s3
	v_cvt_f64_u32_e32 v[12:13], s2
	v_ldexp_f64 v[10:11], v[10:11], 32
	s_add_u32 s2, s2, 1
	v_add_f64 v[10:11], v[10:11], v[12:13]
	s_addc_u32 s3, s3, 0
	v_mul_f64 v[10:11], v[6:7], v[10:11]
	s_cmp_lg_u64 s[48:49], s[2:3]
	v_pk_mov_b32 v[6:7], v[0:1], v[0:1] op_sel:[0,1]
	v_fma_f64 v[0:1], v[4:5], v[0:1], -v[10:11]
	s_cbranch_scc1 .LBB15_719
.LBB15_720:
	s_mov_b64 s[2:3], 0
	s_branch .LBB15_723
.LBB15_721:
	s_mov_b64 s[10:11], 0
	s_mov_b64 s[2:3], s[68:69]
	s_branch .LBB15_848
.LBB15_722:
	s_mov_b64 s[2:3], -1
                                        ; implicit-def: $vgpr0_vgpr1
.LBB15_723:
	s_andn2_b64 vcc, exec, s[2:3]
	s_cbranch_vccnz .LBB15_725
; %bb.724:
	s_waitcnt vmcnt(0)
	v_pk_mov_b32 v[0:1], v[4:5], v[4:5] op_sel:[0,1]
.LBB15_725:
	v_mov_b32_e32 v3, s25
	s_waitcnt vmcnt(0)
	v_add_co_u32_e32 v4, vcc, s24, v2
	v_mov_b32_e32 v2, 11
	v_addc_co_u32_e32 v5, vcc, 0, v3, vcc
	v_cmp_lt_i16_sdwa s[2:3], s81, v2 src0_sel:BYTE_0 src1_sel:DWORD
	s_and_b64 vcc, exec, s[2:3]
	s_cbranch_vccnz .LBB15_732
; %bb.726:
	v_mov_b32_e32 v2, 25
	v_cmp_gt_i16_sdwa s[2:3], s81, v2 src0_sel:BYTE_0 src1_sel:DWORD
	s_and_b64 vcc, exec, s[2:3]
	s_cbranch_vccz .LBB15_733
; %bb.727:
	v_mov_b32_e32 v2, 28
	v_cmp_gt_i16_sdwa s[2:3], s81, v2 src0_sel:BYTE_0 src1_sel:DWORD
	s_and_b64 vcc, exec, s[2:3]
	s_cbranch_vccz .LBB15_734
	;; [unrolled: 5-line block ×4, first 2 shown]
; %bb.730:
	v_mov_b32_e32 v2, 46
	v_cmp_eq_u16_sdwa s[10:11], s81, v2 src0_sel:BYTE_0 src1_sel:DWORD
	s_mov_b64 s[12:13], 0
	s_mov_b64 s[2:3], -1
	s_and_b64 vcc, exec, s[10:11]
	s_mov_b64 s[10:11], 0
	s_cbranch_vccz .LBB15_737
; %bb.731:
	v_cvt_f32_f64_e32 v2, v[0:1]
	v_bfe_u32 v3, v2, 16, 1
	s_movk_i32 s2, 0x7fff
	v_add3_u32 v3, v2, v3, s2
	v_lshrrev_b32_e32 v3, 16, v3
	v_mov_b32_e32 v6, 0x7fc0
	v_cmp_o_f32_e32 vcc, v2, v2
	v_cndmask_b32_e32 v2, v6, v3, vcc
	global_store_dword v[4:5], v2, off
	s_mov_b64 s[10:11], -1
	s_mov_b64 s[2:3], 0
	s_branch .LBB15_737
.LBB15_732:
	s_mov_b64 s[12:13], -1
	s_mov_b64 s[10:11], 0
	s_mov_b64 s[2:3], s[68:69]
	s_branch .LBB15_806
.LBB15_733:
	s_mov_b64 s[12:13], -1
	s_mov_b64 s[10:11], 0
	s_mov_b64 s[2:3], s[68:69]
	s_branch .LBB15_764
.LBB15_734:
	s_mov_b64 s[12:13], -1
	s_mov_b64 s[10:11], 0
	s_mov_b64 s[2:3], s[68:69]
	s_branch .LBB15_747
.LBB15_735:
	s_mov_b64 s[12:13], -1
	s_mov_b64 s[10:11], 0
	s_mov_b64 s[2:3], s[68:69]
	s_branch .LBB15_743
.LBB15_736:
	s_mov_b64 s[12:13], -1
	s_mov_b64 s[10:11], 0
	s_mov_b64 s[2:3], s[68:69]
.LBB15_737:
	s_and_b64 vcc, exec, s[12:13]
	s_cbranch_vccz .LBB15_742
; %bb.738:
	v_mov_b32_e32 v2, 44
	v_cmp_eq_u16_sdwa s[12:13], s81, v2 src0_sel:BYTE_0 src1_sel:DWORD
	s_mov_b64 s[2:3], -1
	s_and_b64 vcc, exec, s[12:13]
	s_cbranch_vccz .LBB15_742
; %bb.739:
	v_cvt_f32_f64_e32 v2, v[0:1]
	v_bfe_u32 v3, v2, 23, 8
	s_movk_i32 s2, 0xff
	v_cmp_ne_u32_e32 vcc, s2, v3
	v_mov_b32_e32 v6, 0xff
	s_and_saveexec_b64 s[10:11], vcc
; %bb.740:
	s_mov_b32 s2, 0x3fffff
	v_lshrrev_b32_e32 v6, 23, v2
	v_and_b32_e32 v7, 0x400000, v2
	v_and_or_b32 v2, v2, s2, v3
	v_cmp_ne_u32_e32 vcc, 0, v7
	v_cmp_ne_u32_e64 s[2:3], 0, v2
	s_and_b64 s[2:3], vcc, s[2:3]
	v_cndmask_b32_e64 v2, 0, 1, s[2:3]
	v_add_u32_e32 v6, v6, v2
; %bb.741:
	s_or_b64 exec, exec, s[10:11]
	s_mov_b64 s[10:11], -1
	s_mov_b64 s[2:3], 0
	global_store_byte v[4:5], v6, off
.LBB15_742:
	s_mov_b64 s[12:13], 0
.LBB15_743:
	s_and_b64 vcc, exec, s[12:13]
	s_cbranch_vccz .LBB15_746
; %bb.744:
	v_mov_b32_e32 v2, 29
	v_cmp_eq_u16_sdwa s[12:13], s81, v2 src0_sel:BYTE_0 src1_sel:DWORD
	s_mov_b64 s[2:3], -1
	s_and_b64 vcc, exec, s[12:13]
	s_cbranch_vccz .LBB15_746
; %bb.745:
	v_trunc_f64_e32 v[2:3], v[0:1]
	s_movk_i32 s2, 0xffe0
	v_ldexp_f64 v[6:7], v[2:3], s2
	v_floor_f64_e32 v[6:7], v[6:7]
	v_fmac_f64_e32 v[2:3], 0xc1f00000, v[6:7]
	v_cvt_u32_f64_e32 v11, v[6:7]
	v_cvt_u32_f64_e32 v10, v[2:3]
	global_store_dwordx2 v[4:5], v[10:11], off
	s_mov_b64 s[10:11], -1
	s_mov_b64 s[2:3], 0
.LBB15_746:
	s_mov_b64 s[12:13], 0
.LBB15_747:
	s_and_b64 vcc, exec, s[12:13]
	s_cbranch_vccz .LBB15_763
; %bb.748:
	v_mov_b32_e32 v2, 27
	v_cmp_lt_i16_sdwa s[12:13], s81, v2 src0_sel:BYTE_0 src1_sel:DWORD
	s_mov_b64 s[10:11], -1
	s_and_b64 vcc, exec, s[12:13]
	s_cbranch_vccnz .LBB15_754
; %bb.749:
	v_cmp_gt_i16_sdwa s[12:13], s81, v2 src0_sel:BYTE_0 src1_sel:DWORD
	s_and_b64 vcc, exec, s[12:13]
	v_cvt_u32_f64_e32 v2, v[0:1]
	s_cbranch_vccz .LBB15_751
; %bb.750:
	s_mov_b64 s[10:11], 0
	global_store_dword v[4:5], v2, off
.LBB15_751:
	s_andn2_b64 vcc, exec, s[10:11]
	s_cbranch_vccnz .LBB15_753
; %bb.752:
	global_store_short v[4:5], v2, off
.LBB15_753:
	s_mov_b64 s[10:11], 0
.LBB15_754:
	s_andn2_b64 vcc, exec, s[10:11]
	s_cbranch_vccnz .LBB15_762
; %bb.755:
	v_cvt_f32_f64_e32 v2, v[0:1]
	v_and_b32_e32 v3, 0x7fffffff, v2
	s_mov_b32 s10, 0x43800000
	v_cmp_gt_u32_e32 vcc, s10, v3
	v_mov_b32_e32 v6, 0x80
	s_and_saveexec_b64 s[10:11], vcc
	s_cbranch_execz .LBB15_761
; %bb.756:
	s_mov_b32 s12, 0x3bffffff
	v_cmp_lt_u32_e32 vcc, s12, v3
	s_mov_b64 s[12:13], 0
                                        ; implicit-def: $vgpr3
	s_and_saveexec_b64 s[14:15], vcc
	s_xor_b64 s[14:15], exec, s[14:15]
	s_cbranch_execz .LBB15_879
; %bb.757:
	v_bfe_u32 v3, v2, 20, 1
	s_mov_b32 s16, 0x487ffff
	v_add3_u32 v3, v2, v3, s16
	s_mov_b64 s[12:13], exec
	v_lshrrev_b32_e32 v3, 20, v3
	s_or_saveexec_b64 s[14:15], s[14:15]
                                        ; implicit-def: $sgpr16
	s_xor_b64 exec, exec, s[14:15]
	s_cbranch_execnz .LBB15_880
.LBB15_758:
	s_or_b64 exec, exec, s[14:15]
	v_mov_b32_e32 v6, s16
	s_and_saveexec_b64 s[14:15], s[12:13]
.LBB15_759:
	v_lshrrev_b32_e32 v2, 24, v2
	s_movk_i32 s12, 0x80
	v_and_or_b32 v6, v2, s12, v3
.LBB15_760:
	s_or_b64 exec, exec, s[14:15]
.LBB15_761:
	s_or_b64 exec, exec, s[10:11]
	global_store_byte v[4:5], v6, off
.LBB15_762:
	s_mov_b64 s[10:11], -1
.LBB15_763:
	s_mov_b64 s[12:13], 0
.LBB15_764:
	s_and_b64 vcc, exec, s[12:13]
	s_cbranch_vccz .LBB15_805
; %bb.765:
	v_mov_b32_e32 v2, 22
	v_cmp_gt_i16_sdwa s[14:15], s81, v2 src0_sel:BYTE_0 src1_sel:DWORD
	s_mov_b64 s[12:13], -1
	s_and_b64 vcc, exec, s[14:15]
	s_cbranch_vccz .LBB15_797
; %bb.766:
	v_mov_b32_e32 v2, 24
	v_cmp_lt_i16_sdwa s[12:13], s81, v2 src0_sel:BYTE_0 src1_sel:DWORD
	s_mov_b64 s[10:11], -1
	s_and_b64 vcc, exec, s[12:13]
	s_cbranch_vccnz .LBB15_786
; %bb.767:
	v_cmp_gt_i16_sdwa s[12:13], s81, v2 src0_sel:BYTE_0 src1_sel:DWORD
	s_and_b64 vcc, exec, s[12:13]
	s_cbranch_vccz .LBB15_775
; %bb.768:
	v_cvt_f32_f64_e32 v2, v[0:1]
	v_and_b32_e32 v3, 0x7fffffff, v2
	s_mov_b32 s10, 0x47800000
	v_cmp_gt_u32_e32 vcc, s10, v3
	v_mov_b32_e32 v6, 0x80
	s_and_saveexec_b64 s[10:11], vcc
	s_cbranch_execz .LBB15_774
; %bb.769:
	s_mov_b32 s12, 0x37ffffff
	v_cmp_lt_u32_e32 vcc, s12, v3
	s_mov_b64 s[12:13], 0
                                        ; implicit-def: $vgpr3
	s_and_saveexec_b64 s[14:15], vcc
	s_xor_b64 s[14:15], exec, s[14:15]
	s_cbranch_execz .LBB15_882
; %bb.770:
	v_bfe_u32 v3, v2, 21, 1
	s_mov_b32 s16, 0x88fffff
	v_add3_u32 v3, v2, v3, s16
	s_mov_b64 s[12:13], exec
	v_lshrrev_b32_e32 v3, 21, v3
	s_or_saveexec_b64 s[14:15], s[14:15]
                                        ; implicit-def: $sgpr16
	s_xor_b64 exec, exec, s[14:15]
	s_cbranch_execnz .LBB15_883
.LBB15_771:
	s_or_b64 exec, exec, s[14:15]
	v_mov_b32_e32 v6, s16
	s_and_saveexec_b64 s[14:15], s[12:13]
.LBB15_772:
	v_lshrrev_b32_e32 v2, 24, v2
	s_movk_i32 s12, 0x80
	v_and_or_b32 v6, v2, s12, v3
.LBB15_773:
	s_or_b64 exec, exec, s[14:15]
.LBB15_774:
	s_or_b64 exec, exec, s[10:11]
	s_mov_b64 s[10:11], 0
	global_store_byte v[4:5], v6, off
.LBB15_775:
	s_and_b64 vcc, exec, s[10:11]
	s_cbranch_vccz .LBB15_785
; %bb.776:
	v_cvt_f32_f64_e32 v2, v[0:1]
	v_and_b32_e32 v6, 0x7fffffff, v2
	s_mov_b32 s10, 0x43f00000
	v_cmp_gt_u32_e32 vcc, s10, v6
                                        ; implicit-def: $vgpr3
	s_and_saveexec_b64 s[10:11], vcc
	s_xor_b64 s[10:11], exec, s[10:11]
	s_cbranch_execz .LBB15_782
; %bb.777:
	s_mov_b32 s12, 0x3c7fffff
	v_cmp_lt_u32_e32 vcc, s12, v6
                                        ; implicit-def: $vgpr3
	s_and_saveexec_b64 s[12:13], vcc
	s_xor_b64 s[12:13], exec, s[12:13]
; %bb.778:
	v_bfe_u32 v3, v2, 20, 1
	s_mov_b32 s14, 0x407ffff
	v_add3_u32 v3, v2, v3, s14
	v_lshrrev_b32_e32 v6, 20, v3
	v_and_b32_e32 v3, 0xff00000, v3
	s_mov_b32 s14, 0x7f00000
	v_mov_b32_e32 v7, 0x7e
	v_cmp_ne_u32_e32 vcc, s14, v3
	v_cndmask_b32_e32 v3, v7, v6, vcc
; %bb.779:
	s_andn2_saveexec_b64 s[12:13], s[12:13]
; %bb.780:
	s_mov_b32 s14, 0x46800000
	v_add_f32_e64 v3, |v2|, s14
; %bb.781:
	s_or_b64 exec, exec, s[12:13]
                                        ; implicit-def: $vgpr6
.LBB15_782:
	s_andn2_saveexec_b64 s[10:11], s[10:11]
; %bb.783:
	s_mov_b32 s12, 0x7f800000
	v_mov_b32_e32 v3, 0x7e
	v_mov_b32_e32 v7, 0x7f
	v_cmp_lt_u32_e32 vcc, s12, v6
	v_cndmask_b32_e32 v3, v3, v7, vcc
; %bb.784:
	s_or_b64 exec, exec, s[10:11]
	v_lshrrev_b32_e32 v2, 24, v2
	s_movk_i32 s10, 0x80
	v_and_or_b32 v2, v2, s10, v3
	global_store_byte v[4:5], v2, off
.LBB15_785:
	s_mov_b64 s[10:11], 0
.LBB15_786:
	s_andn2_b64 vcc, exec, s[10:11]
	s_cbranch_vccnz .LBB15_796
; %bb.787:
	v_cvt_f32_f64_e32 v2, v[0:1]
	v_and_b32_e32 v6, 0x7fffffff, v2
	s_mov_b32 s10, 0x47800000
	v_cmp_gt_u32_e32 vcc, s10, v6
                                        ; implicit-def: $vgpr3
	s_and_saveexec_b64 s[10:11], vcc
	s_xor_b64 s[10:11], exec, s[10:11]
	s_cbranch_execz .LBB15_793
; %bb.788:
	s_mov_b32 s12, 0x387fffff
	v_cmp_lt_u32_e32 vcc, s12, v6
                                        ; implicit-def: $vgpr3
	s_and_saveexec_b64 s[12:13], vcc
	s_xor_b64 s[12:13], exec, s[12:13]
; %bb.789:
	v_bfe_u32 v3, v2, 21, 1
	s_mov_b32 s14, 0x80fffff
	v_add3_u32 v3, v2, v3, s14
	v_lshrrev_b32_e32 v3, 21, v3
; %bb.790:
	s_andn2_saveexec_b64 s[12:13], s[12:13]
; %bb.791:
	s_mov_b32 s14, 0x43000000
	v_add_f32_e64 v3, |v2|, s14
; %bb.792:
	s_or_b64 exec, exec, s[12:13]
                                        ; implicit-def: $vgpr6
.LBB15_793:
	s_andn2_saveexec_b64 s[10:11], s[10:11]
; %bb.794:
	s_mov_b32 s12, 0x7f800000
	v_mov_b32_e32 v3, 0x7c
	v_mov_b32_e32 v7, 0x7f
	v_cmp_lt_u32_e32 vcc, s12, v6
	v_cndmask_b32_e32 v3, v3, v7, vcc
; %bb.795:
	s_or_b64 exec, exec, s[10:11]
	v_lshrrev_b32_e32 v2, 24, v2
	s_movk_i32 s10, 0x80
	v_and_or_b32 v2, v2, s10, v3
	global_store_byte v[4:5], v2, off
.LBB15_796:
	s_mov_b64 s[12:13], 0
	s_mov_b64 s[10:11], -1
.LBB15_797:
	s_andn2_b64 vcc, exec, s[12:13]
	s_cbranch_vccnz .LBB15_805
; %bb.798:
	v_mov_b32_e32 v2, 14
	v_cmp_gt_i16_sdwa s[14:15], s81, v2 src0_sel:BYTE_0 src1_sel:DWORD
	s_mov_b64 s[12:13], -1
	s_and_b64 vcc, exec, s[14:15]
	s_cbranch_vccz .LBB15_802
; %bb.799:
	v_mov_b32_e32 v2, 15
	v_cmp_eq_u16_sdwa s[12:13], s81, v2 src0_sel:BYTE_0 src1_sel:DWORD
	s_mov_b64 s[2:3], -1
	s_and_b64 vcc, exec, s[12:13]
	s_cbranch_vccz .LBB15_801
; %bb.800:
	v_cvt_f32_f64_e32 v2, v[0:1]
	v_bfe_u32 v3, v2, 16, 1
	s_movk_i32 s2, 0x7fff
	v_add3_u32 v3, v2, v3, s2
	v_lshrrev_b32_e32 v3, 16, v3
	v_mov_b32_e32 v6, 0x7fc0
	v_cmp_o_f32_e32 vcc, v2, v2
	v_cndmask_b32_e32 v2, v6, v3, vcc
	global_store_short v[4:5], v2, off
	s_mov_b64 s[10:11], -1
	s_mov_b64 s[2:3], 0
.LBB15_801:
	s_mov_b64 s[12:13], 0
.LBB15_802:
	s_and_b64 vcc, exec, s[12:13]
	s_cbranch_vccz .LBB15_805
; %bb.803:
	v_mov_b32_e32 v2, 11
	v_cmp_eq_u16_sdwa s[12:13], s81, v2 src0_sel:BYTE_0 src1_sel:DWORD
	s_mov_b64 s[2:3], -1
	s_and_b64 vcc, exec, s[12:13]
	s_cbranch_vccz .LBB15_805
; %bb.804:
	v_cmp_neq_f64_e32 vcc, 0, v[0:1]
	s_mov_b64 s[2:3], 0
	v_cndmask_b32_e64 v2, 0, 1, vcc
	s_mov_b64 s[10:11], -1
	global_store_byte v[4:5], v2, off
.LBB15_805:
	s_mov_b64 s[12:13], 0
.LBB15_806:
	s_and_b64 vcc, exec, s[12:13]
	s_cbranch_vccz .LBB15_845
; %bb.807:
	v_mov_b32_e32 v2, 5
	v_cmp_lt_i16_sdwa s[12:13], s81, v2 src0_sel:BYTE_0 src1_sel:DWORD
	s_mov_b64 s[10:11], -1
	s_and_b64 vcc, exec, s[12:13]
	s_cbranch_vccnz .LBB15_828
; %bb.808:
	v_mov_b32_e32 v2, 8
	v_cmp_lt_i16_sdwa s[12:13], s81, v2 src0_sel:BYTE_0 src1_sel:DWORD
	s_and_b64 vcc, exec, s[12:13]
	s_cbranch_vccnz .LBB15_818
; %bb.809:
	v_mov_b32_e32 v2, 9
	v_cmp_lt_i16_sdwa s[12:13], s81, v2 src0_sel:BYTE_0 src1_sel:DWORD
	s_and_b64 vcc, exec, s[12:13]
	s_cbranch_vccnz .LBB15_815
; %bb.810:
	v_cmp_gt_i16_sdwa s[12:13], s81, v2 src0_sel:BYTE_0 src1_sel:DWORD
	s_and_b64 vcc, exec, s[12:13]
	s_cbranch_vccz .LBB15_812
; %bb.811:
	v_mov_b32_e32 v2, 0
	v_mov_b32_e32 v3, v2
	s_mov_b64 s[10:11], 0
	global_store_dwordx4 v[4:5], v[0:3], off
.LBB15_812:
	s_andn2_b64 vcc, exec, s[10:11]
	s_cbranch_vccnz .LBB15_814
; %bb.813:
	v_cvt_f32_f64_e32 v2, v[0:1]
	v_mov_b32_e32 v3, 0
	global_store_dwordx2 v[4:5], v[2:3], off
.LBB15_814:
	s_mov_b64 s[10:11], 0
.LBB15_815:
	s_andn2_b64 vcc, exec, s[10:11]
	s_cbranch_vccnz .LBB15_817
; %bb.816:
	v_cvt_f32_f64_e32 v2, v[0:1]
	v_cvt_f16_f32_e32 v2, v2
	global_store_dword v[4:5], v2, off
.LBB15_817:
	s_mov_b64 s[10:11], 0
.LBB15_818:
	s_andn2_b64 vcc, exec, s[10:11]
	s_cbranch_vccnz .LBB15_827
; %bb.819:
	v_mov_b32_e32 v2, 6
	v_cmp_lt_i16_sdwa s[12:13], s81, v2 src0_sel:BYTE_0 src1_sel:DWORD
	s_mov_b64 s[10:11], -1
	s_and_b64 vcc, exec, s[12:13]
	s_cbranch_vccnz .LBB15_825
; %bb.820:
	v_cmp_gt_i16_sdwa s[12:13], s81, v2 src0_sel:BYTE_0 src1_sel:DWORD
	s_and_b64 vcc, exec, s[12:13]
	s_cbranch_vccz .LBB15_822
; %bb.821:
	s_mov_b64 s[10:11], 0
	global_store_dwordx2 v[4:5], v[0:1], off
.LBB15_822:
	s_andn2_b64 vcc, exec, s[10:11]
	s_cbranch_vccnz .LBB15_824
; %bb.823:
	v_cvt_f32_f64_e32 v2, v[0:1]
	global_store_dword v[4:5], v2, off
.LBB15_824:
	s_mov_b64 s[10:11], 0
.LBB15_825:
	s_andn2_b64 vcc, exec, s[10:11]
	s_cbranch_vccnz .LBB15_827
; %bb.826:
	v_cvt_f32_f64_e32 v2, v[0:1]
	v_cvt_f16_f32_e32 v2, v2
	global_store_short v[4:5], v2, off
.LBB15_827:
	s_mov_b64 s[10:11], 0
.LBB15_828:
	s_andn2_b64 vcc, exec, s[10:11]
	s_cbranch_vccnz .LBB15_844
; %bb.829:
	v_mov_b32_e32 v2, 2
	v_cmp_lt_i16_sdwa s[12:13], s81, v2 src0_sel:BYTE_0 src1_sel:DWORD
	s_mov_b64 s[10:11], -1
	s_and_b64 vcc, exec, s[12:13]
	s_cbranch_vccnz .LBB15_839
; %bb.830:
	v_mov_b32_e32 v2, 3
	v_cmp_lt_i16_sdwa s[12:13], s81, v2 src0_sel:BYTE_0 src1_sel:DWORD
	s_and_b64 vcc, exec, s[12:13]
	s_cbranch_vccnz .LBB15_836
; %bb.831:
	v_cmp_gt_i16_sdwa s[12:13], s81, v2 src0_sel:BYTE_0 src1_sel:DWORD
	s_and_b64 vcc, exec, s[12:13]
	s_cbranch_vccz .LBB15_833
; %bb.832:
	v_trunc_f64_e32 v[2:3], v[0:1]
	s_movk_i32 s10, 0xffe0
	v_ldexp_f64 v[6:7], v[2:3], s10
	v_floor_f64_e32 v[6:7], v[6:7]
	v_fmac_f64_e32 v[2:3], 0xc1f00000, v[6:7]
	v_cvt_i32_f64_e32 v11, v[6:7]
	v_cvt_u32_f64_e32 v10, v[2:3]
	s_mov_b64 s[10:11], 0
	global_store_dwordx2 v[4:5], v[10:11], off
.LBB15_833:
	s_andn2_b64 vcc, exec, s[10:11]
	s_cbranch_vccnz .LBB15_835
; %bb.834:
	v_cvt_i32_f64_e32 v2, v[0:1]
	global_store_dword v[4:5], v2, off
.LBB15_835:
	s_mov_b64 s[10:11], 0
.LBB15_836:
	s_andn2_b64 vcc, exec, s[10:11]
	s_cbranch_vccnz .LBB15_838
; %bb.837:
	v_cvt_i32_f64_e32 v2, v[0:1]
	global_store_short v[4:5], v2, off
.LBB15_838:
	s_mov_b64 s[10:11], 0
.LBB15_839:
	s_andn2_b64 vcc, exec, s[10:11]
	s_cbranch_vccnz .LBB15_844
; %bb.840:
	v_mov_b32_e32 v2, 0
	v_cmp_gt_i16_sdwa s[12:13], s81, v2 src0_sel:BYTE_0 src1_sel:DWORD
	s_mov_b64 s[10:11], -1
	s_and_b64 vcc, exec, s[12:13]
	s_cbranch_vccz .LBB15_842
; %bb.841:
	v_cvt_i32_f64_e32 v2, v[0:1]
	s_mov_b64 s[10:11], 0
	global_store_byte v[4:5], v2, off
.LBB15_842:
	s_andn2_b64 vcc, exec, s[10:11]
	s_cbranch_vccnz .LBB15_844
; %bb.843:
	v_trunc_f64_e32 v[0:1], v[0:1]
	s_movk_i32 s10, 0xffe0
	v_ldexp_f64 v[2:3], v[0:1], s10
	v_floor_f64_e32 v[2:3], v[2:3]
	v_fmac_f64_e32 v[0:1], 0xc1f00000, v[2:3]
	v_cvt_u32_f64_e32 v0, v[0:1]
	global_store_byte v[4:5], v0, off
.LBB15_844:
	s_mov_b64 s[10:11], -1
.LBB15_845:
	s_andn2_b64 vcc, exec, s[10:11]
	s_cbranch_vccnz .LBB15_847
; %bb.846:
	v_add_u32_e32 v9, 0x80, v9
	s_mov_b64 s[10:11], -1
	s_branch .LBB15_849
.LBB15_847:
	s_mov_b64 s[10:11], 0
.LBB15_848:
                                        ; implicit-def: $vgpr9
.LBB15_849:
	s_andn2_b64 s[12:13], s[68:69], exec
	s_and_b64 s[2:3], s[2:3], exec
	s_or_b64 s[74:75], s[12:13], s[2:3]
	s_andn2_b64 s[2:3], s[66:67], exec
	s_and_b64 s[8:9], s[8:9], exec
	s_or_b64 s[2:3], s[2:3], s[8:9]
	s_orn2_b64 s[10:11], s[10:11], exec
.LBB15_850:
	s_or_b64 exec, exec, s[72:73]
	s_mov_b64 s[8:9], 0
	s_mov_b64 s[12:13], 0
	;; [unrolled: 1-line block ×3, first 2 shown]
                                        ; implicit-def: $vgpr0_vgpr1
                                        ; implicit-def: $vgpr2
                                        ; implicit-def: $vgpr6_vgpr7
	s_and_saveexec_b64 s[72:73], s[10:11]
	s_cbranch_execz .LBB15_950
; %bb.851:
	v_cmp_gt_i32_e32 vcc, s78, v9
	s_mov_b64 s[10:11], 0
	s_mov_b64 s[16:17], s[2:3]
                                        ; implicit-def: $vgpr0_vgpr1
                                        ; implicit-def: $vgpr2
                                        ; implicit-def: $vgpr6_vgpr7
	s_and_saveexec_b64 s[76:77], vcc
	s_cbranch_execz .LBB15_949
; %bb.852:
	s_andn2_b64 vcc, exec, s[44:45]
	s_cbranch_vccnz .LBB15_858
; %bb.853:
	s_mov_b32 s78, 0
	s_andn2_b64 vcc, exec, s[58:59]
	v_mov_b32_e32 v0, 0
	v_mov_b32_e32 v2, 0
	s_cbranch_vccnz .LBB15_864
; %bb.854:
	s_add_i32 s82, s79, 1
	s_cmp_eq_u32 s80, 2
	s_cbranch_scc1 .LBB15_859
; %bb.855:
	s_and_b32 s78, s82, 28
	s_mov_b32 s79, 0
	v_mov_b32_e32 v2, 0
	s_mov_b64 s[58:59], s[34:35]
	v_mov_b32_e32 v1, v9
	v_mov_b32_e32 v0, 0
.LBB15_856:                             ; =>This Inner Loop Header: Depth=1
	s_load_dwordx8 s[16:23], s[58:59], 0x4
	s_load_dwordx4 s[40:43], s[58:59], 0x24
	s_load_dwordx8 s[8:15], s[56:57], 0x0
	s_add_u32 s58, s58, 48
	s_addc_u32 s59, s59, 0
	s_waitcnt lgkmcnt(0)
	v_mul_hi_u32 v3, s17, v1
	v_add_u32_e32 v3, v1, v3
	v_lshrrev_b32_e32 v3, s18, v3
	s_waitcnt vmcnt(0)
	v_mul_lo_u32 v4, v3, s16
	v_mul_hi_u32 v5, s20, v3
	v_sub_u32_e32 v1, v1, v4
	v_add_u32_e32 v4, v3, v5
	v_lshrrev_b32_e32 v4, s21, v4
	v_mul_lo_u32 v6, v4, s19
	v_mul_hi_u32 v7, s23, v4
	v_sub_u32_e32 v3, v3, v6
	v_add_u32_e32 v6, v4, v7
	v_mul_lo_u32 v5, v1, s9
	v_mul_lo_u32 v1, v1, s8
	;; [unrolled: 1-line block ×4, first 2 shown]
	v_lshrrev_b32_e32 v6, s40, v6
	v_add3_u32 v2, v1, v2, v3
	v_mul_lo_u32 v1, v6, s22
	v_mul_hi_u32 v3, s42, v6
	v_sub_u32_e32 v1, v4, v1
	v_add_u32_e32 v3, v6, v3
	v_add3_u32 v0, v5, v0, v7
	v_mul_lo_u32 v4, v1, s12
	v_mul_lo_u32 v5, v1, s13
	v_lshrrev_b32_e32 v1, s43, v3
	s_add_i32 s79, s79, 4
	v_mul_lo_u32 v3, v1, s41
	s_add_u32 s56, s56, 32
	v_sub_u32_e32 v3, v6, v3
	s_addc_u32 s57, s57, 0
	v_mul_lo_u32 v6, v3, s14
	v_mul_lo_u32 v3, v3, s15
	s_cmp_eq_u32 s78, s79
	v_add3_u32 v0, v5, v0, v3
	v_add3_u32 v2, v4, v2, v6
	s_cbranch_scc0 .LBB15_856
; %bb.857:
	v_mov_b32_e32 v3, v0
	s_branch .LBB15_860
.LBB15_858:
	s_mov_b64 s[8:9], -1
                                        ; implicit-def: $vgpr0
                                        ; implicit-def: $vgpr2
	s_branch .LBB15_865
.LBB15_859:
	s_mov_b32 s79, s78
	v_pk_mov_b32 v[2:3], s[78:79], s[78:79] op_sel:[0,1]
                                        ; implicit-def: $vgpr0
	v_mov_b32_e32 v1, v9
.LBB15_860:
	s_and_b32 s12, s82, 3
	s_cmp_eq_u32 s12, 0
	s_cbranch_scc1 .LBB15_864
; %bb.861:
	s_lshl_b32 s8, s78, 3
	s_add_u32 s8, s8, s34
	s_addc_u32 s9, s35, 0
	s_add_u32 s8, s8, 0xc4
	s_addc_u32 s9, s9, 0
	s_mul_i32 s10, s78, 12
	s_add_u32 s10, s34, s10
	s_addc_u32 s11, s35, 0
.LBB15_862:                             ; =>This Inner Loop Header: Depth=1
	s_load_dwordx2 s[14:15], s[10:11], 0x4
	s_load_dword s13, s[10:11], 0xc
	s_load_dwordx2 s[16:17], s[8:9], 0x0
	v_mov_b32_e32 v0, v3
	s_add_u32 s10, s10, 12
	s_waitcnt lgkmcnt(0)
	v_mul_hi_u32 v3, s15, v1
	v_add_u32_e32 v3, v1, v3
	v_lshrrev_b32_e32 v3, s13, v3
	s_addc_u32 s11, s11, 0
	s_waitcnt vmcnt(0)
	v_mul_lo_u32 v4, v3, s14
	s_add_u32 s8, s8, 8
	v_sub_u32_e32 v6, v1, v4
	v_mov_b32_e32 v1, v3
	s_addc_u32 s9, s9, 0
	s_add_i32 s12, s12, -1
	v_mad_u64_u32 v[4:5], s[14:15], v6, s17, v[0:1]
	v_mad_u64_u32 v[2:3], s[14:15], v6, s16, v[2:3]
	s_cmp_lg_u32 s12, 0
	v_mov_b32_e32 v3, v4
	s_cbranch_scc1 .LBB15_862
; %bb.863:
	v_mov_b32_e32 v0, v3
.LBB15_864:
	s_mov_b64 s[8:9], 0
.LBB15_865:
	s_andn2_b64 vcc, exec, s[8:9]
	s_cbranch_vccnz .LBB15_868
; %bb.866:
	v_mul_hi_u32 v0, s29, v9
	v_add_u32_e32 v0, v9, v0
	v_lshrrev_b32_e32 v1, s30, v0
	v_mul_lo_u32 v0, v1, s28
	v_sub_u32_e32 v2, v9, v0
	v_mul_lo_u32 v0, v2, s37
	s_andn2_b64 vcc, exec, s[54:55]
	v_mul_lo_u32 v2, v2, s36
	s_cbranch_vccnz .LBB15_868
; %bb.867:
	v_mul_hi_u32 v3, s52, v1
	v_add_u32_e32 v3, v1, v3
	v_lshrrev_b32_e32 v3, s53, v3
	v_mul_lo_u32 v3, v3, s31
	v_sub_u32_e32 v1, v1, v3
	v_mad_u64_u32 v[2:3], s[8:9], v1, s38, v[2:3]
	v_mad_u64_u32 v[0:1], s[8:9], v1, s39, v[0:1]
.LBB15_868:
	v_mov_b32_e32 v1, s27
	v_add_co_u32_e32 v0, vcc, s26, v0
	v_addc_co_u32_e32 v1, vcc, 0, v1, vcc
	v_cmp_gt_i16_e32 vcc, 11, v8
	s_cbranch_vccnz .LBB15_875
; %bb.869:
	v_cmp_lt_i16_e32 vcc, 25, v8
	s_mov_b64 s[10:11], 0
	s_cbranch_vccz .LBB15_876
; %bb.870:
	v_cmp_lt_i16_e32 vcc, 28, v8
	s_cbranch_vccz .LBB15_877
; %bb.871:
	v_cmp_lt_i16_e32 vcc, 43, v8
	;; [unrolled: 3-line block ×3, first 2 shown]
	s_cbranch_vccz .LBB15_881
; %bb.873:
	v_cmp_eq_u16_e32 vcc, 46, v8
	s_mov_b64 s[14:15], 0
	s_cbranch_vccz .LBB15_884
; %bb.874:
	global_load_dword v3, v[0:1], off
	s_mov_b64 s[8:9], 0
	s_mov_b64 s[12:13], -1
	s_waitcnt vmcnt(0)
	v_lshlrev_b32_e32 v3, 16, v3
	v_cvt_f64_f32_e32 v[6:7], v3
	s_branch .LBB15_885
.LBB15_875:
	s_mov_b64 s[16:17], -1
	s_mov_b64 s[12:13], 0
	s_mov_b64 s[10:11], 0
	;; [unrolled: 1-line block ×3, first 2 shown]
                                        ; implicit-def: $vgpr6_vgpr7
	s_branch .LBB15_948
.LBB15_876:
	s_mov_b64 s[14:15], -1
	s_mov_b64 s[12:13], 0
	s_mov_b64 s[8:9], s[2:3]
                                        ; implicit-def: $vgpr6_vgpr7
	s_branch .LBB15_914
.LBB15_877:
	s_mov_b64 s[14:15], -1
	s_mov_b64 s[12:13], 0
	s_mov_b64 s[8:9], s[2:3]
                                        ; implicit-def: $vgpr6_vgpr7
	s_branch .LBB15_895
.LBB15_878:
	s_mov_b64 s[14:15], -1
	s_mov_b64 s[12:13], 0
	s_mov_b64 s[8:9], s[2:3]
                                        ; implicit-def: $vgpr6_vgpr7
	s_branch .LBB15_890
.LBB15_879:
	s_or_saveexec_b64 s[14:15], s[14:15]
                                        ; implicit-def: $sgpr16
	s_xor_b64 exec, exec, s[14:15]
	s_cbranch_execz .LBB15_758
.LBB15_880:
	s_mov_b32 s16, 0x46000000
	v_add_f32_e64 v3, |v2|, s16
	v_and_b32_e32 v3, 0xff, v3
	v_cmp_ne_u32_e32 vcc, 0, v3
	s_andn2_b64 s[12:13], s[12:13], exec
	s_and_b64 s[18:19], vcc, exec
	s_mov_b32 s16, 0
	s_or_b64 s[12:13], s[12:13], s[18:19]
	s_or_b64 exec, exec, s[14:15]
	v_mov_b32_e32 v6, s16
	s_and_saveexec_b64 s[14:15], s[12:13]
	s_cbranch_execnz .LBB15_759
	s_branch .LBB15_760
.LBB15_881:
	s_mov_b64 s[14:15], -1
	s_mov_b64 s[12:13], 0
	s_mov_b64 s[8:9], s[2:3]
                                        ; implicit-def: $vgpr6_vgpr7
	s_branch .LBB15_885
.LBB15_882:
	s_or_saveexec_b64 s[14:15], s[14:15]
                                        ; implicit-def: $sgpr16
	s_xor_b64 exec, exec, s[14:15]
	s_cbranch_execz .LBB15_771
.LBB15_883:
	s_mov_b32 s16, 0x42800000
	v_add_f32_e64 v3, |v2|, s16
	v_and_b32_e32 v3, 0xff, v3
	v_cmp_ne_u32_e32 vcc, 0, v3
	s_andn2_b64 s[12:13], s[12:13], exec
	s_and_b64 s[18:19], vcc, exec
	s_mov_b32 s16, 0
	s_or_b64 s[12:13], s[12:13], s[18:19]
	s_or_b64 exec, exec, s[14:15]
	v_mov_b32_e32 v6, s16
	s_and_saveexec_b64 s[14:15], s[12:13]
	s_cbranch_execnz .LBB15_772
	s_branch .LBB15_773
.LBB15_884:
	s_mov_b64 s[8:9], -1
                                        ; implicit-def: $vgpr6_vgpr7
	s_mov_b64 s[12:13], 0
.LBB15_885:
	s_and_b64 vcc, exec, s[14:15]
	s_cbranch_vccz .LBB15_889
; %bb.886:
	v_cmp_eq_u16_e32 vcc, 44, v8
	s_cbranch_vccz .LBB15_888
; %bb.887:
	global_load_ubyte v3, v[0:1], off
	s_movk_i32 s12, 0xff
	v_bfrev_b32_e32 v6, 4
	v_mov_b32_e32 v7, 0x7ff80000
	v_bfrev_b32_e32 v9, 28
	s_mov_b64 s[8:9], 0
	s_waitcnt vmcnt(0)
	v_lshlrev_b32_e32 v4, 23, v3
	v_cvt_f64_f32_e32 v[4:5], v4
	v_cmp_ne_u32_e32 vcc, s12, v3
	v_cndmask_b32_e32 v4, v6, v4, vcc
	v_cndmask_b32_e32 v5, v7, v5, vcc
	v_cmp_ne_u32_e32 vcc, 0, v3
	v_cndmask_b32_e32 v7, v9, v5, vcc
	v_cndmask_b32_e32 v6, 0, v4, vcc
	s_mov_b64 s[12:13], -1
	s_branch .LBB15_889
.LBB15_888:
	s_mov_b64 s[8:9], -1
                                        ; implicit-def: $vgpr6_vgpr7
.LBB15_889:
	s_mov_b64 s[14:15], 0
.LBB15_890:
	s_and_b64 vcc, exec, s[14:15]
	s_cbranch_vccz .LBB15_894
; %bb.891:
	v_cmp_eq_u16_e32 vcc, 29, v8
	s_cbranch_vccz .LBB15_893
; %bb.892:
	global_load_dwordx2 v[4:5], v[0:1], off
	s_mov_b64 s[8:9], 0
	s_mov_b64 s[12:13], -1
	s_mov_b64 s[14:15], 0
	s_waitcnt vmcnt(0)
	v_cvt_f64_u32_e32 v[6:7], v5
	v_cvt_f64_u32_e32 v[4:5], v4
	v_ldexp_f64 v[6:7], v[6:7], 32
	v_add_f64 v[6:7], v[6:7], v[4:5]
	s_branch .LBB15_895
.LBB15_893:
	s_mov_b64 s[8:9], -1
                                        ; implicit-def: $vgpr6_vgpr7
.LBB15_894:
	s_mov_b64 s[14:15], 0
.LBB15_895:
	s_and_b64 vcc, exec, s[14:15]
	s_cbranch_vccz .LBB15_913
; %bb.896:
	v_cmp_gt_i16_e32 vcc, 27, v8
	s_cbranch_vccnz .LBB15_899
; %bb.897:
	v_cmp_lt_i16_e32 vcc, 27, v8
	s_cbranch_vccz .LBB15_900
; %bb.898:
	global_load_dword v3, v[0:1], off
	s_mov_b64 s[12:13], 0
	s_waitcnt vmcnt(0)
	v_cvt_f64_u32_e32 v[6:7], v3
	s_branch .LBB15_901
.LBB15_899:
	s_mov_b64 s[12:13], -1
                                        ; implicit-def: $vgpr6_vgpr7
	s_branch .LBB15_904
.LBB15_900:
	s_mov_b64 s[12:13], -1
                                        ; implicit-def: $vgpr6_vgpr7
.LBB15_901:
	s_andn2_b64 vcc, exec, s[12:13]
	s_cbranch_vccnz .LBB15_903
; %bb.902:
	global_load_ushort v3, v[0:1], off
	s_waitcnt vmcnt(0)
	v_cvt_f64_u32_e32 v[6:7], v3
.LBB15_903:
	s_mov_b64 s[12:13], 0
.LBB15_904:
	s_andn2_b64 vcc, exec, s[12:13]
	s_cbranch_vccnz .LBB15_912
; %bb.905:
	global_load_ubyte v3, v[0:1], off
	s_movk_i32 s12, 0x7f
                                        ; implicit-def: $sgpr14_sgpr15
	s_waitcnt vmcnt(0)
	v_cmp_lt_i16_e32 vcc, s12, v3
	s_mov_b64 s[12:13], 0
	s_and_saveexec_b64 s[16:17], vcc
	s_xor_b64 s[16:17], exec, s[16:17]
	s_cbranch_execz .LBB15_926
; %bb.906:
	s_movk_i32 s12, 0x80
	v_cmp_eq_u16_e32 vcc, s12, v3
	s_mov_b64 s[18:19], -1
                                        ; implicit-def: $sgpr14_sgpr15
	s_and_saveexec_b64 s[12:13], vcc
; %bb.907:
	s_mov_b32 s15, 0x7ff80000
	s_brev_b32 s14, 4
	s_xor_b64 s[18:19], exec, -1
; %bb.908:
	s_or_b64 exec, exec, s[12:13]
	s_and_b64 s[12:13], s[18:19], exec
	s_or_saveexec_b64 s[16:17], s[16:17]
	v_pk_mov_b32 v[6:7], s[14:15], s[14:15] op_sel:[0,1]
	s_xor_b64 exec, exec, s[16:17]
	s_cbranch_execnz .LBB15_927
.LBB15_909:
	s_or_b64 exec, exec, s[16:17]
	s_and_saveexec_b64 s[14:15], s[12:13]
	s_cbranch_execz .LBB15_911
.LBB15_910:
	v_lshlrev_b32_e32 v4, 24, v3
	v_and_b32_e32 v3, 0xffff, v3
	v_and_b32_e32 v5, 7, v3
	v_ffbh_u32_e32 v7, v5
	v_min_u32_e32 v7, 32, v7
	v_subrev_u32_e32 v9, 28, v7
	v_bfe_u32 v6, v3, 3, 4
	v_lshlrev_b32_e32 v3, v9, v3
	v_sub_u32_e32 v7, 29, v7
	v_and_b32_e32 v3, 7, v3
	v_cmp_eq_u32_e32 vcc, 0, v6
	v_cndmask_b32_e32 v6, v6, v7, vcc
	v_cndmask_b32_e32 v3, v5, v3, vcc
	v_mov_b32_e32 v5, 0x3b800000
	v_lshlrev_b32_e32 v3, 20, v3
	v_and_b32_e32 v4, 0x80000000, v4
	v_lshl_add_u32 v5, v6, 23, v5
	v_or3_b32 v3, v4, v5, v3
	v_cvt_f64_f32_e32 v[6:7], v3
.LBB15_911:
	s_or_b64 exec, exec, s[14:15]
.LBB15_912:
	s_mov_b64 s[12:13], -1
.LBB15_913:
	s_mov_b64 s[14:15], 0
.LBB15_914:
	s_and_b64 vcc, exec, s[14:15]
	s_cbranch_vccz .LBB15_947
; %bb.915:
	v_cmp_lt_i16_e32 vcc, 22, v8
	s_cbranch_vccz .LBB15_925
; %bb.916:
	v_cmp_gt_i16_e32 vcc, 24, v8
	s_cbranch_vccnz .LBB15_928
; %bb.917:
	v_cmp_lt_i16_e32 vcc, 24, v8
	s_cbranch_vccz .LBB15_929
; %bb.918:
	global_load_ubyte v3, v[0:1], off
	s_movk_i32 s10, 0x7f
                                        ; implicit-def: $sgpr12_sgpr13
	s_waitcnt vmcnt(0)
	v_cmp_lt_i16_e32 vcc, s10, v3
	s_mov_b64 s[10:11], 0
	s_and_saveexec_b64 s[14:15], vcc
	s_xor_b64 s[14:15], exec, s[14:15]
	s_cbranch_execz .LBB15_941
; %bb.919:
	s_movk_i32 s10, 0x80
	v_cmp_eq_u16_e32 vcc, s10, v3
	s_mov_b64 s[16:17], -1
                                        ; implicit-def: $sgpr12_sgpr13
	s_and_saveexec_b64 s[10:11], vcc
; %bb.920:
	s_mov_b32 s13, 0x7ff80000
	s_brev_b32 s12, 4
	s_xor_b64 s[16:17], exec, -1
; %bb.921:
	s_or_b64 exec, exec, s[10:11]
	s_and_b64 s[10:11], s[16:17], exec
	s_or_saveexec_b64 s[14:15], s[14:15]
	v_pk_mov_b32 v[6:7], s[12:13], s[12:13] op_sel:[0,1]
	s_xor_b64 exec, exec, s[14:15]
	s_cbranch_execnz .LBB15_942
.LBB15_922:
	s_or_b64 exec, exec, s[14:15]
	s_and_saveexec_b64 s[12:13], s[10:11]
	s_cbranch_execz .LBB15_924
.LBB15_923:
	v_lshlrev_b32_e32 v4, 24, v3
	v_and_b32_e32 v3, 0xffff, v3
	v_and_b32_e32 v5, 3, v3
	v_ffbh_u32_e32 v7, v5
	v_min_u32_e32 v7, 32, v7
	v_subrev_u32_e32 v9, 29, v7
	v_bfe_u32 v6, v3, 2, 5
	v_lshlrev_b32_e32 v3, v9, v3
	v_sub_u32_e32 v7, 30, v7
	v_and_b32_e32 v3, 3, v3
	v_cmp_eq_u32_e32 vcc, 0, v6
	v_cndmask_b32_e32 v6, v6, v7, vcc
	v_cndmask_b32_e32 v3, v5, v3, vcc
	v_mov_b32_e32 v5, 0x37800000
	v_lshlrev_b32_e32 v3, 21, v3
	v_and_b32_e32 v4, 0x80000000, v4
	v_lshl_add_u32 v5, v6, 23, v5
	v_or3_b32 v3, v4, v5, v3
	v_cvt_f64_f32_e32 v[6:7], v3
.LBB15_924:
	s_or_b64 exec, exec, s[12:13]
	s_mov_b64 s[10:11], 0
	s_branch .LBB15_930
.LBB15_925:
	s_mov_b64 s[10:11], -1
                                        ; implicit-def: $vgpr6_vgpr7
	s_branch .LBB15_936
.LBB15_926:
	s_or_saveexec_b64 s[16:17], s[16:17]
	v_pk_mov_b32 v[6:7], s[14:15], s[14:15] op_sel:[0,1]
	s_xor_b64 exec, exec, s[16:17]
	s_cbranch_execz .LBB15_909
.LBB15_927:
	v_cmp_ne_u16_e32 vcc, 0, v3
	s_andn2_b64 s[12:13], s[12:13], exec
	s_and_b64 s[14:15], vcc, exec
	v_pk_mov_b32 v[6:7], 0, 0
	s_or_b64 s[12:13], s[12:13], s[14:15]
	s_or_b64 exec, exec, s[16:17]
	s_and_saveexec_b64 s[14:15], s[12:13]
	s_cbranch_execnz .LBB15_910
	s_branch .LBB15_911
.LBB15_928:
	s_mov_b64 s[10:11], -1
                                        ; implicit-def: $vgpr6_vgpr7
	s_branch .LBB15_933
.LBB15_929:
	s_mov_b64 s[10:11], -1
                                        ; implicit-def: $vgpr6_vgpr7
.LBB15_930:
	s_and_b64 vcc, exec, s[10:11]
	s_cbranch_vccz .LBB15_932
; %bb.931:
	global_load_ubyte v3, v[0:1], off
	s_mov_b32 s10, 0x7f800000
	s_waitcnt vmcnt(0)
	v_lshlrev_b32_e32 v3, 24, v3
	v_and_b32_e32 v4, 0x7f000000, v3
	v_ffbh_u32_e32 v5, v4
	v_min_u32_e32 v5, 32, v5
	v_sub_u32_e64 v5, v5, 4 clamp
	v_lshlrev_b32_e32 v7, v5, v4
	v_lshlrev_b32_e32 v5, 23, v5
	v_lshrrev_b32_e32 v7, 4, v7
	v_add_u32_e32 v6, 0x1000000, v4
	v_sub_u32_e32 v5, v7, v5
	v_ashrrev_i32_e32 v6, 8, v6
	v_add_u32_e32 v5, 0x3c000000, v5
	v_and_or_b32 v5, v6, s10, v5
	v_cmp_ne_u32_e32 vcc, 0, v4
	v_cndmask_b32_e32 v4, 0, v5, vcc
	s_brev_b32 s10, 1
	v_and_or_b32 v3, v3, s10, v4
	v_cvt_f64_f32_e32 v[6:7], v3
.LBB15_932:
	s_mov_b64 s[10:11], 0
.LBB15_933:
	s_andn2_b64 vcc, exec, s[10:11]
	s_cbranch_vccnz .LBB15_935
; %bb.934:
	global_load_ubyte v3, v[0:1], off
	s_movk_i32 s10, 0x7f00
	s_brev_b32 s11, 16
	s_waitcnt vmcnt(0)
	v_lshlrev_b16_e32 v4, 8, v3
	v_lshlrev_b32_e32 v3, 25, v3
	v_lshrrev_b32_e32 v5, 4, v3
	v_and_or_b32 v6, v4, s10, 0.5
	v_or_b32_e32 v5, 0x70000000, v5
	v_add_f32_e32 v6, -0.5, v6
	v_mul_f32_e32 v5, 0x7800000, v5
	v_cmp_gt_u32_e32 vcc, s11, v3
	v_bfe_i32 v4, v4, 0, 16
	v_cndmask_b32_e32 v3, v5, v6, vcc
	s_brev_b32 s10, 1
	v_and_or_b32 v3, v4, s10, v3
	v_cvt_f64_f32_e32 v[6:7], v3
.LBB15_935:
	s_mov_b64 s[10:11], 0
	s_mov_b64 s[12:13], -1
.LBB15_936:
	s_andn2_b64 vcc, exec, s[10:11]
	s_mov_b64 s[10:11], 0
	s_cbranch_vccnz .LBB15_947
; %bb.937:
	v_cmp_lt_i16_e32 vcc, 14, v8
	s_cbranch_vccz .LBB15_940
; %bb.938:
	v_cmp_eq_u16_e32 vcc, 15, v8
	s_cbranch_vccz .LBB15_943
; %bb.939:
	global_load_ushort v3, v[0:1], off
	s_mov_b64 s[8:9], 0
	s_mov_b64 s[12:13], -1
	s_waitcnt vmcnt(0)
	v_lshlrev_b32_e32 v3, 16, v3
	v_cvt_f64_f32_e32 v[6:7], v3
	s_branch .LBB15_944
.LBB15_940:
	s_mov_b64 s[14:15], -1
                                        ; implicit-def: $vgpr6_vgpr7
	s_branch .LBB15_945
.LBB15_941:
	s_or_saveexec_b64 s[14:15], s[14:15]
	v_pk_mov_b32 v[6:7], s[12:13], s[12:13] op_sel:[0,1]
	s_xor_b64 exec, exec, s[14:15]
	s_cbranch_execz .LBB15_922
.LBB15_942:
	v_cmp_ne_u16_e32 vcc, 0, v3
	s_andn2_b64 s[10:11], s[10:11], exec
	s_and_b64 s[12:13], vcc, exec
	v_pk_mov_b32 v[6:7], 0, 0
	s_or_b64 s[10:11], s[10:11], s[12:13]
	s_or_b64 exec, exec, s[14:15]
	s_and_saveexec_b64 s[12:13], s[10:11]
	s_cbranch_execnz .LBB15_923
	s_branch .LBB15_924
.LBB15_943:
	s_mov_b64 s[8:9], -1
                                        ; implicit-def: $vgpr6_vgpr7
.LBB15_944:
	s_mov_b64 s[14:15], 0
.LBB15_945:
	s_and_b64 vcc, exec, s[14:15]
	s_cbranch_vccz .LBB15_947
; %bb.946:
	v_cmp_ne_u16_e32 vcc, 11, v8
	s_andn2_b64 s[8:9], s[8:9], exec
	s_and_b64 s[14:15], vcc, exec
	s_mov_b64 s[10:11], -1
	s_or_b64 s[8:9], s[8:9], s[14:15]
                                        ; implicit-def: $vgpr6_vgpr7
.LBB15_947:
	s_mov_b64 s[16:17], 0
.LBB15_948:
	s_and_b64 s[14:15], s[12:13], exec
	s_and_b64 s[12:13], s[16:17], exec
	s_andn2_b64 s[16:17], s[2:3], exec
	s_and_b64 s[8:9], s[8:9], exec
	s_and_b64 s[10:11], s[10:11], exec
	s_or_b64 s[16:17], s[16:17], s[8:9]
.LBB15_949:
	s_or_b64 exec, exec, s[76:77]
	s_and_b64 s[8:9], s[10:11], exec
	s_andn2_b64 s[2:3], s[2:3], exec
	s_and_b64 s[10:11], s[16:17], exec
	s_and_b64 s[14:15], s[14:15], exec
	;; [unrolled: 1-line block ×3, first 2 shown]
	s_or_b64 s[2:3], s[2:3], s[10:11]
.LBB15_950:
	s_or_b64 exec, exec, s[72:73]
	s_andn2_b64 s[10:11], s[68:69], exec
	s_and_b64 s[16:17], s[74:75], exec
	s_or_b64 s[68:69], s[10:11], s[16:17]
	s_and_b64 s[10:11], s[14:15], exec
	s_andn2_b64 s[14:15], s[66:67], exec
	s_and_b64 s[2:3], s[2:3], exec
	s_and_b64 s[12:13], s[12:13], exec
	s_and_b64 s[8:9], s[8:9], exec
	s_or_b64 s[66:67], s[14:15], s[2:3]
.LBB15_951:
	s_or_b64 exec, exec, s[70:71]
	s_andn2_b64 s[2:3], s[60:61], exec
	s_and_b64 s[14:15], s[68:69], exec
	s_or_b64 s[60:61], s[2:3], s[14:15]
	s_and_b64 s[68:69], s[8:9], exec
	s_andn2_b64 s[2:3], s[62:63], exec
	s_and_b64 s[8:9], s[66:67], exec
	s_and_b64 s[10:11], s[10:11], exec
	;; [unrolled: 1-line block ×3, first 2 shown]
	s_or_b64 s[62:63], s[2:3], s[8:9]
	s_or_b64 exec, exec, s[64:65]
	s_mov_b64 s[2:3], 0
	s_and_saveexec_b64 s[8:9], s[62:63]
	s_cbranch_execz .LBB15_286
.LBB15_952:
	s_mov_b64 s[2:3], exec
	s_andn2_b64 s[68:69], s[68:69], exec
	s_trap 2
                                        ; implicit-def: $vgpr6_vgpr7
	s_or_b64 exec, exec, s[8:9]
	s_and_saveexec_b64 s[8:9], s[68:69]
	s_xor_b64 s[8:9], exec, s[8:9]
	s_cbranch_execnz .LBB15_287
.LBB15_953:
	s_or_b64 exec, exec, s[8:9]
	s_and_saveexec_b64 s[8:9], s[12:13]
	s_cbranch_execz .LBB15_999
.LBB15_954:
	v_cmp_gt_i16_e32 vcc, 5, v8
	s_cbranch_vccnz .LBB15_959
; %bb.955:
	v_cmp_gt_i16_e32 vcc, 8, v8
	s_cbranch_vccnz .LBB15_960
; %bb.956:
	;; [unrolled: 3-line block ×3, first 2 shown]
	v_cmp_lt_i16_e32 vcc, 9, v8
	s_cbranch_vccz .LBB15_962
; %bb.958:
	global_load_dwordx2 v[6:7], v[0:1], off
	s_mov_b64 s[12:13], 0
	s_branch .LBB15_963
.LBB15_959:
                                        ; implicit-def: $vgpr6_vgpr7
	s_branch .LBB15_980
.LBB15_960:
                                        ; implicit-def: $vgpr6_vgpr7
	s_branch .LBB15_969
.LBB15_961:
	s_mov_b64 s[12:13], -1
                                        ; implicit-def: $vgpr6_vgpr7
	s_branch .LBB15_966
.LBB15_962:
	s_mov_b64 s[12:13], -1
                                        ; implicit-def: $vgpr6_vgpr7
.LBB15_963:
	s_andn2_b64 vcc, exec, s[12:13]
	s_cbranch_vccnz .LBB15_965
; %bb.964:
	global_load_dword v3, v[0:1], off
	s_waitcnt vmcnt(0)
	v_cvt_f64_f32_e32 v[6:7], v3
.LBB15_965:
	s_mov_b64 s[12:13], 0
.LBB15_966:
	s_andn2_b64 vcc, exec, s[12:13]
	s_cbranch_vccnz .LBB15_968
; %bb.967:
	global_load_dword v3, v[0:1], off
	s_waitcnt vmcnt(0)
	v_cvt_f32_f16_e32 v3, v3
	v_cvt_f64_f32_e32 v[6:7], v3
.LBB15_968:
	s_cbranch_execnz .LBB15_979
.LBB15_969:
	v_cmp_gt_i16_e32 vcc, 6, v8
	s_cbranch_vccnz .LBB15_972
; %bb.970:
	v_cmp_lt_i16_e32 vcc, 6, v8
	s_cbranch_vccz .LBB15_973
; %bb.971:
	global_load_dwordx2 v[6:7], v[0:1], off
	s_mov_b64 s[12:13], 0
	s_branch .LBB15_974
.LBB15_972:
	s_mov_b64 s[12:13], -1
                                        ; implicit-def: $vgpr6_vgpr7
	s_branch .LBB15_977
.LBB15_973:
	s_mov_b64 s[12:13], -1
                                        ; implicit-def: $vgpr6_vgpr7
.LBB15_974:
	s_andn2_b64 vcc, exec, s[12:13]
	s_cbranch_vccnz .LBB15_976
; %bb.975:
	global_load_dword v3, v[0:1], off
	s_waitcnt vmcnt(0)
	v_cvt_f64_f32_e32 v[6:7], v3
.LBB15_976:
	s_mov_b64 s[12:13], 0
.LBB15_977:
	s_andn2_b64 vcc, exec, s[12:13]
	s_cbranch_vccnz .LBB15_979
; %bb.978:
	global_load_ushort v3, v[0:1], off
	s_waitcnt vmcnt(0)
	v_cvt_f32_f16_e32 v3, v3
	v_cvt_f64_f32_e32 v[6:7], v3
.LBB15_979:
	s_cbranch_execnz .LBB15_998
.LBB15_980:
	v_cmp_gt_i16_e32 vcc, 2, v8
	s_cbranch_vccnz .LBB15_984
; %bb.981:
	v_cmp_gt_i16_e32 vcc, 3, v8
	s_cbranch_vccnz .LBB15_985
; %bb.982:
	v_cmp_lt_i16_e32 vcc, 3, v8
	s_cbranch_vccz .LBB15_986
; %bb.983:
	global_load_dwordx2 v[4:5], v[0:1], off
	s_mov_b64 s[12:13], 0
	s_waitcnt vmcnt(0)
	v_cvt_f64_i32_e32 v[6:7], v5
	v_cvt_f64_u32_e32 v[4:5], v4
	v_ldexp_f64 v[6:7], v[6:7], 32
	v_add_f64 v[6:7], v[6:7], v[4:5]
	s_branch .LBB15_987
.LBB15_984:
                                        ; implicit-def: $vgpr6_vgpr7
	s_branch .LBB15_993
.LBB15_985:
	s_mov_b64 s[12:13], -1
                                        ; implicit-def: $vgpr6_vgpr7
	s_branch .LBB15_990
.LBB15_986:
	s_mov_b64 s[12:13], -1
                                        ; implicit-def: $vgpr6_vgpr7
.LBB15_987:
	s_andn2_b64 vcc, exec, s[12:13]
	s_cbranch_vccnz .LBB15_989
; %bb.988:
	global_load_dword v3, v[0:1], off
	s_waitcnt vmcnt(0)
	v_cvt_f64_i32_e32 v[6:7], v3
.LBB15_989:
	s_mov_b64 s[12:13], 0
.LBB15_990:
	s_andn2_b64 vcc, exec, s[12:13]
	s_cbranch_vccnz .LBB15_992
; %bb.991:
	global_load_sshort v3, v[0:1], off
	s_waitcnt vmcnt(0)
	v_cvt_f64_i32_e32 v[6:7], v3
.LBB15_992:
	s_cbranch_execnz .LBB15_998
.LBB15_993:
	v_cmp_lt_i16_e32 vcc, 0, v8
	s_cbranch_vccz .LBB15_995
; %bb.994:
	global_load_sbyte v3, v[0:1], off
	s_mov_b64 s[12:13], 0
	s_waitcnt vmcnt(0)
	v_cvt_f64_i32_e32 v[6:7], v3
	s_branch .LBB15_996
.LBB15_995:
	s_mov_b64 s[12:13], -1
                                        ; implicit-def: $vgpr6_vgpr7
.LBB15_996:
	s_andn2_b64 vcc, exec, s[12:13]
	s_cbranch_vccnz .LBB15_998
; %bb.997:
	global_load_ubyte v0, v[0:1], off
	s_waitcnt vmcnt(0)
	v_cvt_f64_u32_e32 v[6:7], v0
.LBB15_998:
	s_or_b64 s[10:11], s[10:11], exec
.LBB15_999:
	s_or_b64 exec, exec, s[8:9]
	s_mov_b64 s[14:15], 0
	s_mov_b64 s[12:13], 0
                                        ; implicit-def: $vgpr8
                                        ; implicit-def: $vgpr4_vgpr5
                                        ; implicit-def: $vgpr0_vgpr1
	s_and_saveexec_b64 s[8:9], s[10:11]
	s_cbranch_execz .LBB15_1007
; %bb.1000:
	s_andn2_b64 vcc, exec, s[50:51]
	v_pk_mov_b32 v[0:1], 0, 0
	s_cbranch_vccnz .LBB15_1013
; %bb.1001:
	v_cmp_lt_i64_e64 s[10:11], s[48:49], 1
	v_mov_b32_e32 v0, 0
	s_and_b64 vcc, exec, s[10:11]
	v_mov_b32_e32 v1, 0x3ff00000
	s_cbranch_vccnz .LBB15_1013
; %bb.1002:
	s_cmp_lg_u64 s[48:49], 1
	s_cbranch_scc0 .LBB15_1010
; %bb.1003:
	v_mov_b32_e32 v0, 0
	s_andn2_b64 vcc, exec, s[0:1]
	v_mov_b32_e32 v1, 0x7ff80000
	s_cbranch_vccnz .LBB15_1006
; %bb.1004:
	s_waitcnt vmcnt(0)
	v_mov_b32_e32 v4, 0
	s_mov_b64 s[0:1], 1
	v_mov_b32_e32 v5, 0x3ff00000
	v_pk_mov_b32 v[0:1], v[6:7], v[6:7] op_sel:[0,1]
.LBB15_1005:                            ; =>This Inner Loop Header: Depth=1
	v_cvt_f64_u32_e32 v[8:9], s1
	v_cvt_f64_u32_e32 v[10:11], s0
	v_ldexp_f64 v[8:9], v[8:9], 32
	s_add_u32 s0, s0, 1
	v_add_f64 v[8:9], v[8:9], v[10:11]
	s_addc_u32 s1, s1, 0
	v_mul_f64 v[8:9], v[4:5], v[8:9]
	s_cmp_lg_u64 s[48:49], s[0:1]
	v_pk_mov_b32 v[4:5], v[0:1], v[0:1] op_sel:[0,1]
	v_fma_f64 v[0:1], v[6:7], v[0:1], -v[8:9]
	s_cbranch_scc1 .LBB15_1005
.LBB15_1006:
	s_mov_b64 s[0:1], 0
	s_branch .LBB15_1011
.LBB15_1007:
	s_or_b64 exec, exec, s[8:9]
	s_and_saveexec_b64 s[0:1], s[60:61]
	s_cbranch_execnz .LBB15_1090
.LBB15_1008:
	s_or_b64 exec, exec, s[0:1]
	s_and_saveexec_b64 s[0:1], s[14:15]
	s_xor_b64 s[0:1], exec, s[0:1]
	s_cbranch_execz .LBB15_1091
.LBB15_1009:
	v_cmp_neq_f64_e32 vcc, 0, v[0:1]
	v_cndmask_b32_e64 v2, 0, 1, vcc
	s_waitcnt vmcnt(0)
	global_store_byte v[4:5], v2, off
	s_or_b64 exec, exec, s[0:1]
	s_and_saveexec_b64 s[0:1], s[12:13]
	s_xor_b64 s[0:1], exec, s[0:1]
	s_cbranch_execz .LBB15_1129
	s_branch .LBB15_1092
.LBB15_1010:
	s_mov_b64 s[0:1], -1
                                        ; implicit-def: $vgpr0_vgpr1
.LBB15_1011:
	s_andn2_b64 vcc, exec, s[0:1]
	s_cbranch_vccnz .LBB15_1013
; %bb.1012:
	s_waitcnt vmcnt(0)
	v_pk_mov_b32 v[0:1], v[6:7], v[6:7] op_sel:[0,1]
.LBB15_1013:
	v_mov_b32_e32 v3, s25
	s_waitcnt vmcnt(0)
	v_add_co_u32_e32 v4, vcc, s24, v2
	v_mov_b32_e32 v2, 0xff
	v_addc_co_u32_e32 v5, vcc, 0, v3, vcc
	v_and_b32_e32 v8, s81, v2
	v_cmp_gt_i16_e32 vcc, 11, v8
	s_cbranch_vccnz .LBB15_1087
; %bb.1014:
	v_cmp_lt_i16_e32 vcc, 25, v8
	s_mov_b64 s[12:13], -1
	s_mov_b64 s[0:1], s[60:61]
	s_cbranch_vccz .LBB15_1047
; %bb.1015:
	v_cmp_lt_i16_e32 vcc, 28, v8
	s_mov_b64 s[10:11], -1
	s_mov_b64 s[0:1], s[60:61]
	s_cbranch_vccz .LBB15_1031
; %bb.1016:
	v_cmp_lt_i16_e32 vcc, 43, v8
	s_mov_b64 s[0:1], s[60:61]
	s_cbranch_vccz .LBB15_1027
; %bb.1017:
	v_cmp_lt_i16_e32 vcc, 45, v8
	s_mov_b64 s[0:1], s[60:61]
	s_cbranch_vccz .LBB15_1021
; %bb.1018:
	v_cmp_eq_u16_e32 vcc, 46, v8
	s_mov_b64 s[0:1], -1
	s_cbranch_vccz .LBB15_1020
; %bb.1019:
	v_cvt_f32_f64_e32 v2, v[0:1]
	v_bfe_u32 v3, v2, 16, 1
	s_movk_i32 s0, 0x7fff
	v_add3_u32 v3, v2, v3, s0
	v_lshrrev_b32_e32 v3, 16, v3
	v_mov_b32_e32 v6, 0x7fc0
	v_cmp_o_f32_e32 vcc, v2, v2
	v_cndmask_b32_e32 v2, v6, v3, vcc
	global_store_dword v[4:5], v2, off
	s_mov_b64 s[0:1], 0
.LBB15_1020:
	s_mov_b64 s[10:11], 0
.LBB15_1021:
	s_and_b64 vcc, exec, s[10:11]
	s_cbranch_vccz .LBB15_1026
; %bb.1022:
	v_cmp_eq_u16_e32 vcc, 44, v8
	s_mov_b64 s[0:1], -1
	s_cbranch_vccz .LBB15_1026
; %bb.1023:
	v_cvt_f32_f64_e32 v2, v[0:1]
	v_bfe_u32 v3, v2, 23, 8
	s_movk_i32 s0, 0xff
	v_cmp_ne_u32_e32 vcc, s0, v3
	v_mov_b32_e32 v6, 0xff
	s_and_saveexec_b64 s[10:11], vcc
; %bb.1024:
	s_mov_b32 s0, 0x3fffff
	v_lshrrev_b32_e32 v6, 23, v2
	v_and_b32_e32 v7, 0x400000, v2
	v_and_or_b32 v2, v2, s0, v3
	v_cmp_ne_u32_e32 vcc, 0, v7
	v_cmp_ne_u32_e64 s[0:1], 0, v2
	s_and_b64 s[0:1], vcc, s[0:1]
	v_cndmask_b32_e64 v2, 0, 1, s[0:1]
	v_add_u32_e32 v6, v6, v2
; %bb.1025:
	s_or_b64 exec, exec, s[10:11]
	s_mov_b64 s[0:1], 0
	global_store_byte v[4:5], v6, off
.LBB15_1026:
	s_mov_b64 s[10:11], 0
.LBB15_1027:
	s_and_b64 vcc, exec, s[10:11]
	s_cbranch_vccz .LBB15_1030
; %bb.1028:
	v_cmp_eq_u16_e32 vcc, 29, v8
	s_mov_b64 s[0:1], -1
	s_cbranch_vccz .LBB15_1030
; %bb.1029:
	v_trunc_f64_e32 v[2:3], v[0:1]
	s_movk_i32 s0, 0xffe0
	v_ldexp_f64 v[6:7], v[2:3], s0
	v_floor_f64_e32 v[6:7], v[6:7]
	v_fmac_f64_e32 v[2:3], 0xc1f00000, v[6:7]
	v_cvt_u32_f64_e32 v11, v[6:7]
	v_cvt_u32_f64_e32 v10, v[2:3]
	global_store_dwordx2 v[4:5], v[10:11], off
	s_mov_b64 s[0:1], 0
.LBB15_1030:
	s_mov_b64 s[10:11], 0
.LBB15_1031:
	s_and_b64 vcc, exec, s[10:11]
	s_cbranch_vccz .LBB15_1046
; %bb.1032:
	v_cmp_gt_i16_e32 vcc, 27, v8
	s_mov_b64 s[10:11], -1
	s_cbranch_vccnz .LBB15_1038
; %bb.1033:
	v_cmp_lt_i16_e32 vcc, 27, v8
	s_cbranch_vccz .LBB15_1035
; %bb.1034:
	v_cvt_u32_f64_e32 v2, v[0:1]
	s_mov_b64 s[10:11], 0
	global_store_dword v[4:5], v2, off
.LBB15_1035:
	s_andn2_b64 vcc, exec, s[10:11]
	s_cbranch_vccnz .LBB15_1037
; %bb.1036:
	v_cvt_u32_f64_e32 v2, v[0:1]
	global_store_short v[4:5], v2, off
.LBB15_1037:
	s_mov_b64 s[10:11], 0
.LBB15_1038:
	s_andn2_b64 vcc, exec, s[10:11]
	s_cbranch_vccnz .LBB15_1046
; %bb.1039:
	v_cvt_f32_f64_e32 v2, v[0:1]
	v_and_b32_e32 v3, 0x7fffffff, v2
	s_mov_b32 s10, 0x43800000
	v_cmp_gt_u32_e32 vcc, s10, v3
	v_mov_b32_e32 v6, 0x80
	s_and_saveexec_b64 s[10:11], vcc
	s_cbranch_execz .LBB15_1045
; %bb.1040:
	s_mov_b32 s12, 0x3bffffff
	v_cmp_lt_u32_e32 vcc, s12, v3
	s_mov_b64 s[12:13], 0
                                        ; implicit-def: $vgpr3
	s_and_saveexec_b64 s[14:15], vcc
	s_xor_b64 s[14:15], exec, s[14:15]
	s_cbranch_execz .LBB15_1200
; %bb.1041:
	v_bfe_u32 v3, v2, 20, 1
	s_mov_b32 s16, 0x487ffff
	v_add3_u32 v3, v2, v3, s16
	s_mov_b64 s[12:13], exec
	v_lshrrev_b32_e32 v3, 20, v3
	s_or_saveexec_b64 s[14:15], s[14:15]
                                        ; implicit-def: $sgpr16
	s_xor_b64 exec, exec, s[14:15]
	s_cbranch_execnz .LBB15_1201
.LBB15_1042:
	s_or_b64 exec, exec, s[14:15]
	v_mov_b32_e32 v6, s16
	s_and_saveexec_b64 s[14:15], s[12:13]
.LBB15_1043:
	v_lshrrev_b32_e32 v2, 24, v2
	s_movk_i32 s12, 0x80
	v_and_or_b32 v6, v2, s12, v3
.LBB15_1044:
	s_or_b64 exec, exec, s[14:15]
.LBB15_1045:
	s_or_b64 exec, exec, s[10:11]
	global_store_byte v[4:5], v6, off
.LBB15_1046:
	s_mov_b64 s[12:13], 0
.LBB15_1047:
	s_mov_b64 s[10:11], 0
	s_and_b64 vcc, exec, s[12:13]
	s_cbranch_vccz .LBB15_1088
; %bb.1048:
	v_cmp_lt_i16_e32 vcc, 22, v8
	s_mov_b64 s[12:13], -1
	s_cbranch_vccz .LBB15_1080
; %bb.1049:
	v_cmp_gt_i16_e32 vcc, 24, v8
	s_cbranch_vccnz .LBB15_1069
; %bb.1050:
	v_cmp_lt_i16_e32 vcc, 24, v8
	s_cbranch_vccz .LBB15_1058
; %bb.1051:
	v_cvt_f32_f64_e32 v2, v[0:1]
	v_and_b32_e32 v3, 0x7fffffff, v2
	s_mov_b32 s12, 0x47800000
	v_cmp_gt_u32_e32 vcc, s12, v3
	v_mov_b32_e32 v6, 0x80
	s_and_saveexec_b64 s[12:13], vcc
	s_cbranch_execz .LBB15_1057
; %bb.1052:
	s_mov_b32 s14, 0x37ffffff
	v_cmp_lt_u32_e32 vcc, s14, v3
	s_mov_b64 s[14:15], 0
                                        ; implicit-def: $vgpr3
	s_and_saveexec_b64 s[16:17], vcc
	s_xor_b64 s[16:17], exec, s[16:17]
	s_cbranch_execz .LBB15_1335
; %bb.1053:
	v_bfe_u32 v3, v2, 21, 1
	s_mov_b32 s18, 0x88fffff
	v_add3_u32 v3, v2, v3, s18
	s_mov_b64 s[14:15], exec
	v_lshrrev_b32_e32 v3, 21, v3
	s_or_saveexec_b64 s[16:17], s[16:17]
                                        ; implicit-def: $sgpr18
	s_xor_b64 exec, exec, s[16:17]
	s_cbranch_execnz .LBB15_1336
.LBB15_1054:
	s_or_b64 exec, exec, s[16:17]
	v_mov_b32_e32 v6, s18
	s_and_saveexec_b64 s[16:17], s[14:15]
.LBB15_1055:
	v_lshrrev_b32_e32 v2, 24, v2
	s_movk_i32 s14, 0x80
	v_and_or_b32 v6, v2, s14, v3
.LBB15_1056:
	s_or_b64 exec, exec, s[16:17]
.LBB15_1057:
	s_or_b64 exec, exec, s[12:13]
	s_mov_b64 s[12:13], 0
	global_store_byte v[4:5], v6, off
.LBB15_1058:
	s_and_b64 vcc, exec, s[12:13]
	s_cbranch_vccz .LBB15_1068
; %bb.1059:
	v_cvt_f32_f64_e32 v2, v[0:1]
	v_and_b32_e32 v6, 0x7fffffff, v2
	s_mov_b32 s12, 0x43f00000
	v_cmp_gt_u32_e32 vcc, s12, v6
                                        ; implicit-def: $vgpr3
	s_and_saveexec_b64 s[12:13], vcc
	s_xor_b64 s[12:13], exec, s[12:13]
	s_cbranch_execz .LBB15_1065
; %bb.1060:
	s_mov_b32 s14, 0x3c7fffff
	v_cmp_lt_u32_e32 vcc, s14, v6
                                        ; implicit-def: $vgpr3
	s_and_saveexec_b64 s[14:15], vcc
	s_xor_b64 s[14:15], exec, s[14:15]
; %bb.1061:
	v_bfe_u32 v3, v2, 20, 1
	s_mov_b32 s16, 0x407ffff
	v_add3_u32 v3, v2, v3, s16
	v_lshrrev_b32_e32 v6, 20, v3
	v_and_b32_e32 v3, 0xff00000, v3
	s_mov_b32 s16, 0x7f00000
	v_mov_b32_e32 v7, 0x7e
	v_cmp_ne_u32_e32 vcc, s16, v3
	v_cndmask_b32_e32 v3, v7, v6, vcc
; %bb.1062:
	s_andn2_saveexec_b64 s[14:15], s[14:15]
; %bb.1063:
	s_mov_b32 s16, 0x46800000
	v_add_f32_e64 v3, |v2|, s16
; %bb.1064:
	s_or_b64 exec, exec, s[14:15]
                                        ; implicit-def: $vgpr6
.LBB15_1065:
	s_andn2_saveexec_b64 s[12:13], s[12:13]
; %bb.1066:
	s_mov_b32 s14, 0x7f800000
	v_mov_b32_e32 v3, 0x7e
	v_mov_b32_e32 v7, 0x7f
	v_cmp_lt_u32_e32 vcc, s14, v6
	v_cndmask_b32_e32 v3, v3, v7, vcc
; %bb.1067:
	s_or_b64 exec, exec, s[12:13]
	v_lshrrev_b32_e32 v2, 24, v2
	s_movk_i32 s12, 0x80
	v_and_or_b32 v2, v2, s12, v3
	global_store_byte v[4:5], v2, off
.LBB15_1068:
	s_mov_b64 s[12:13], 0
.LBB15_1069:
	s_andn2_b64 vcc, exec, s[12:13]
	s_cbranch_vccnz .LBB15_1079
; %bb.1070:
	v_cvt_f32_f64_e32 v2, v[0:1]
	v_and_b32_e32 v6, 0x7fffffff, v2
	s_mov_b32 s12, 0x47800000
	v_cmp_gt_u32_e32 vcc, s12, v6
                                        ; implicit-def: $vgpr3
	s_and_saveexec_b64 s[12:13], vcc
	s_xor_b64 s[12:13], exec, s[12:13]
	s_cbranch_execz .LBB15_1076
; %bb.1071:
	s_mov_b32 s14, 0x387fffff
	v_cmp_lt_u32_e32 vcc, s14, v6
                                        ; implicit-def: $vgpr3
	s_and_saveexec_b64 s[14:15], vcc
	s_xor_b64 s[14:15], exec, s[14:15]
; %bb.1072:
	v_bfe_u32 v3, v2, 21, 1
	s_mov_b32 s16, 0x80fffff
	v_add3_u32 v3, v2, v3, s16
	v_lshrrev_b32_e32 v3, 21, v3
; %bb.1073:
	s_andn2_saveexec_b64 s[14:15], s[14:15]
; %bb.1074:
	s_mov_b32 s16, 0x43000000
	v_add_f32_e64 v3, |v2|, s16
; %bb.1075:
	s_or_b64 exec, exec, s[14:15]
                                        ; implicit-def: $vgpr6
.LBB15_1076:
	s_andn2_saveexec_b64 s[12:13], s[12:13]
; %bb.1077:
	s_mov_b32 s14, 0x7f800000
	v_mov_b32_e32 v3, 0x7c
	v_mov_b32_e32 v7, 0x7f
	v_cmp_lt_u32_e32 vcc, s14, v6
	v_cndmask_b32_e32 v3, v3, v7, vcc
; %bb.1078:
	s_or_b64 exec, exec, s[12:13]
	v_lshrrev_b32_e32 v2, 24, v2
	s_movk_i32 s12, 0x80
	v_and_or_b32 v2, v2, s12, v3
	global_store_byte v[4:5], v2, off
.LBB15_1079:
	s_mov_b64 s[12:13], 0
.LBB15_1080:
	s_andn2_b64 vcc, exec, s[12:13]
	s_mov_b64 s[14:15], 0
	s_cbranch_vccnz .LBB15_1089
; %bb.1081:
	v_cmp_lt_i16_e32 vcc, 14, v8
	s_mov_b64 s[12:13], -1
	s_cbranch_vccz .LBB15_1085
; %bb.1082:
	v_cmp_eq_u16_e32 vcc, 15, v8
	s_mov_b64 s[0:1], -1
	s_cbranch_vccz .LBB15_1084
; %bb.1083:
	v_cvt_f32_f64_e32 v2, v[0:1]
	v_bfe_u32 v3, v2, 16, 1
	s_movk_i32 s0, 0x7fff
	v_add3_u32 v3, v2, v3, s0
	v_lshrrev_b32_e32 v3, 16, v3
	v_mov_b32_e32 v6, 0x7fc0
	v_cmp_o_f32_e32 vcc, v2, v2
	v_cndmask_b32_e32 v2, v6, v3, vcc
	global_store_short v[4:5], v2, off
	s_mov_b64 s[0:1], 0
.LBB15_1084:
	s_mov_b64 s[12:13], 0
.LBB15_1085:
	s_and_b64 vcc, exec, s[12:13]
	s_cbranch_vccz .LBB15_1089
; %bb.1086:
	v_cmp_ne_u16_e32 vcc, 11, v8
	s_andn2_b64 s[0:1], s[0:1], exec
	s_and_b64 s[12:13], vcc, exec
	s_mov_b64 s[14:15], -1
	s_or_b64 s[0:1], s[0:1], s[12:13]
	s_branch .LBB15_1089
.LBB15_1087:
	s_mov_b64 s[14:15], 0
	s_mov_b64 s[10:11], -1
	s_mov_b64 s[0:1], s[60:61]
	s_branch .LBB15_1089
.LBB15_1088:
	s_mov_b64 s[14:15], 0
.LBB15_1089:
	s_and_b64 s[12:13], s[10:11], exec
	s_andn2_b64 s[10:11], s[60:61], exec
	s_and_b64 s[0:1], s[0:1], exec
	s_and_b64 s[14:15], s[14:15], exec
	s_or_b64 s[60:61], s[10:11], s[0:1]
	s_or_b64 exec, exec, s[8:9]
	s_and_saveexec_b64 s[0:1], s[60:61]
	s_cbranch_execz .LBB15_1008
.LBB15_1090:
	s_or_b64 s[2:3], s[2:3], exec
	s_andn2_b64 s[14:15], s[14:15], exec
	s_trap 2
	s_or_b64 exec, exec, s[0:1]
	s_and_saveexec_b64 s[0:1], s[14:15]
	s_xor_b64 s[0:1], exec, s[0:1]
	s_cbranch_execnz .LBB15_1009
.LBB15_1091:
	s_or_b64 exec, exec, s[0:1]
	s_and_saveexec_b64 s[0:1], s[12:13]
	s_xor_b64 s[0:1], exec, s[0:1]
	s_cbranch_execz .LBB15_1129
.LBB15_1092:
	v_cmp_gt_i16_e32 vcc, 5, v8
	s_mov_b64 s[8:9], -1
	s_cbranch_vccnz .LBB15_1113
; %bb.1093:
	v_cmp_gt_i16_e32 vcc, 8, v8
	s_cbranch_vccnz .LBB15_1103
; %bb.1094:
	v_cmp_gt_i16_e32 vcc, 9, v8
	s_cbranch_vccnz .LBB15_1100
; %bb.1095:
	v_cmp_lt_i16_e32 vcc, 9, v8
	s_cbranch_vccz .LBB15_1097
; %bb.1096:
	v_mov_b32_e32 v2, 0
	v_mov_b32_e32 v3, v2
	s_mov_b64 s[8:9], 0
	s_waitcnt vmcnt(0)
	global_store_dwordx4 v[4:5], v[0:3], off
.LBB15_1097:
	s_andn2_b64 vcc, exec, s[8:9]
	s_cbranch_vccnz .LBB15_1099
; %bb.1098:
	v_cvt_f32_f64_e32 v2, v[0:1]
	v_mov_b32_e32 v3, 0
	s_waitcnt vmcnt(0)
	global_store_dwordx2 v[4:5], v[2:3], off
.LBB15_1099:
	s_mov_b64 s[8:9], 0
.LBB15_1100:
	s_andn2_b64 vcc, exec, s[8:9]
	s_cbranch_vccnz .LBB15_1102
; %bb.1101:
	v_cvt_f32_f64_e32 v2, v[0:1]
	v_cvt_f16_f32_e32 v2, v2
	s_waitcnt vmcnt(0)
	global_store_dword v[4:5], v2, off
.LBB15_1102:
	s_mov_b64 s[8:9], 0
.LBB15_1103:
	s_andn2_b64 vcc, exec, s[8:9]
	s_cbranch_vccnz .LBB15_1112
; %bb.1104:
	v_cmp_gt_i16_e32 vcc, 6, v8
	s_mov_b64 s[8:9], -1
	s_cbranch_vccnz .LBB15_1110
; %bb.1105:
	v_cmp_lt_i16_e32 vcc, 6, v8
	s_cbranch_vccz .LBB15_1107
; %bb.1106:
	s_mov_b64 s[8:9], 0
	s_waitcnt vmcnt(0)
	global_store_dwordx2 v[4:5], v[0:1], off
.LBB15_1107:
	s_andn2_b64 vcc, exec, s[8:9]
	s_cbranch_vccnz .LBB15_1109
; %bb.1108:
	v_cvt_f32_f64_e32 v2, v[0:1]
	s_waitcnt vmcnt(0)
	global_store_dword v[4:5], v2, off
.LBB15_1109:
	s_mov_b64 s[8:9], 0
.LBB15_1110:
	s_andn2_b64 vcc, exec, s[8:9]
	s_cbranch_vccnz .LBB15_1112
; %bb.1111:
	v_cvt_f32_f64_e32 v2, v[0:1]
	v_cvt_f16_f32_e32 v2, v2
	s_waitcnt vmcnt(0)
	global_store_short v[4:5], v2, off
.LBB15_1112:
	s_mov_b64 s[8:9], 0
.LBB15_1113:
	s_andn2_b64 vcc, exec, s[8:9]
	s_cbranch_vccnz .LBB15_1129
; %bb.1114:
	v_cmp_gt_i16_e32 vcc, 2, v8
	s_mov_b64 s[8:9], -1
	s_cbranch_vccnz .LBB15_1124
; %bb.1115:
	v_cmp_gt_i16_e32 vcc, 3, v8
	s_cbranch_vccnz .LBB15_1121
; %bb.1116:
	v_cmp_lt_i16_e32 vcc, 3, v8
	s_cbranch_vccz .LBB15_1118
; %bb.1117:
	v_trunc_f64_e32 v[2:3], v[0:1]
	s_movk_i32 s8, 0xffe0
	s_waitcnt vmcnt(0)
	v_ldexp_f64 v[6:7], v[2:3], s8
	v_floor_f64_e32 v[6:7], v[6:7]
	v_fmac_f64_e32 v[2:3], 0xc1f00000, v[6:7]
	v_cvt_i32_f64_e32 v11, v[6:7]
	v_cvt_u32_f64_e32 v10, v[2:3]
	s_mov_b64 s[8:9], 0
	global_store_dwordx2 v[4:5], v[10:11], off
.LBB15_1118:
	s_andn2_b64 vcc, exec, s[8:9]
	s_cbranch_vccnz .LBB15_1120
; %bb.1119:
	v_cvt_i32_f64_e32 v2, v[0:1]
	s_waitcnt vmcnt(0)
	global_store_dword v[4:5], v2, off
.LBB15_1120:
	s_mov_b64 s[8:9], 0
.LBB15_1121:
	s_andn2_b64 vcc, exec, s[8:9]
	s_cbranch_vccnz .LBB15_1123
; %bb.1122:
	v_cvt_i32_f64_e32 v2, v[0:1]
	s_waitcnt vmcnt(0)
	global_store_short v[4:5], v2, off
.LBB15_1123:
	s_mov_b64 s[8:9], 0
.LBB15_1124:
	s_andn2_b64 vcc, exec, s[8:9]
	s_cbranch_vccnz .LBB15_1129
; %bb.1125:
	v_cmp_lt_i16_e32 vcc, 0, v8
	s_mov_b64 s[8:9], -1
	s_cbranch_vccz .LBB15_1127
; %bb.1126:
	v_cvt_i32_f64_e32 v2, v[0:1]
	s_mov_b64 s[8:9], 0
	s_waitcnt vmcnt(0)
	global_store_byte v[4:5], v2, off
.LBB15_1127:
	s_andn2_b64 vcc, exec, s[8:9]
	s_cbranch_vccnz .LBB15_1129
; %bb.1128:
	v_trunc_f64_e32 v[0:1], v[0:1]
	s_movk_i32 s8, 0xffe0
	v_ldexp_f64 v[2:3], v[0:1], s8
	v_floor_f64_e32 v[2:3], v[2:3]
	v_fmac_f64_e32 v[0:1], 0xc1f00000, v[2:3]
	v_cvt_u32_f64_e32 v0, v[0:1]
	s_waitcnt vmcnt(0)
	global_store_byte v[4:5], v0, off
.LBB15_1129:
	s_or_b64 exec, exec, s[0:1]
	s_and_b64 s[28:29], s[2:3], exec
                                        ; implicit-def: $vgpr16
                                        ; implicit-def: $vgpr9
.LBB15_1130:
	s_or_saveexec_b64 s[30:31], s[46:47]
	s_mov_b64 s[0:1], 0
                                        ; implicit-def: $vgpr0_vgpr1
                                        ; implicit-def: $sgpr16
                                        ; implicit-def: $vgpr12_vgpr13
	s_xor_b64 exec, exec, s[30:31]
	s_cbranch_execz .LBB15_1739
; %bb.1131:
	v_cndmask_b32_e64 v0, 0, 1, s[44:45]
	v_cmp_ne_u32_e64 s[0:1], 1, v0
	s_andn2_b64 vcc, exec, s[44:45]
	s_cbranch_vccnz .LBB15_1138
; %bb.1132:
	s_mov_b32 s2, 0
	s_cmp_lg_u32 s33, 0
	v_mov_b32_e32 v0, 0
	v_mov_b32_e32 v2, 0
	s_cbranch_scc0 .LBB15_1137
; %bb.1133:
	s_min_u32 s38, s80, 15
	s_add_i32 s38, s38, 1
	s_cmp_eq_u32 s80, 2
	s_cbranch_scc1 .LBB15_1139
; %bb.1134:
	s_add_u32 s6, s34, 0xc4
	s_addc_u32 s7, s35, 0
	s_and_b32 s2, s38, 28
	s_mov_b32 s3, 0
	v_mov_b32_e32 v2, 0
	s_mov_b64 s[36:37], s[34:35]
	v_mov_b32_e32 v1, v9
	v_mov_b32_e32 v0, 0
.LBB15_1135:                            ; =>This Inner Loop Header: Depth=1
	s_load_dwordx8 s[16:23], s[36:37], 0x4
	s_load_dwordx4 s[24:27], s[36:37], 0x24
	s_load_dwordx8 s[8:15], s[6:7], 0x0
	s_add_u32 s36, s36, 48
	s_addc_u32 s37, s37, 0
	s_waitcnt lgkmcnt(0)
	v_mul_hi_u32 v3, s17, v1
	v_add_u32_e32 v3, v1, v3
	v_lshrrev_b32_e32 v3, s18, v3
	s_waitcnt vmcnt(0)
	v_mul_lo_u32 v4, v3, s16
	v_mul_hi_u32 v5, s20, v3
	v_sub_u32_e32 v1, v1, v4
	v_add_u32_e32 v4, v3, v5
	v_lshrrev_b32_e32 v4, s21, v4
	v_mul_lo_u32 v6, v4, s19
	v_mul_hi_u32 v7, s23, v4
	v_sub_u32_e32 v3, v3, v6
	v_add_u32_e32 v6, v4, v7
	v_mul_lo_u32 v5, v1, s9
	v_mul_lo_u32 v1, v1, s8
	;; [unrolled: 1-line block ×4, first 2 shown]
	v_lshrrev_b32_e32 v6, s24, v6
	v_add3_u32 v2, v1, v2, v3
	v_mul_lo_u32 v1, v6, s22
	v_mul_hi_u32 v3, s26, v6
	v_sub_u32_e32 v1, v4, v1
	v_add_u32_e32 v3, v6, v3
	v_add3_u32 v0, v5, v0, v7
	v_mul_lo_u32 v4, v1, s12
	v_mul_lo_u32 v5, v1, s13
	v_lshrrev_b32_e32 v1, s27, v3
	s_add_i32 s3, s3, 4
	v_mul_lo_u32 v3, v1, s25
	s_add_u32 s6, s6, 32
	v_sub_u32_e32 v3, v6, v3
	s_addc_u32 s7, s7, 0
	v_mul_lo_u32 v6, v3, s14
	v_mul_lo_u32 v3, v3, s15
	s_cmp_lg_u32 s2, s3
	v_add3_u32 v0, v5, v0, v3
	v_add3_u32 v2, v4, v2, v6
	s_cbranch_scc1 .LBB15_1135
; %bb.1136:
	v_mov_b32_e32 v3, v0
	s_and_b32 s8, s38, 3
	s_cmp_eq_u32 s8, 0
	s_cbranch_scc0 .LBB15_1140
.LBB15_1137:
	s_cbranch_execz .LBB15_1143
	s_branch .LBB15_1145
.LBB15_1138:
                                        ; implicit-def: $vgpr0
                                        ; implicit-def: $vgpr2
	s_branch .LBB15_1143
.LBB15_1139:
	s_mov_b32 s3, s2
	v_pk_mov_b32 v[2:3], s[2:3], s[2:3] op_sel:[0,1]
                                        ; implicit-def: $vgpr0
	v_mov_b32_e32 v1, v9
	s_and_b32 s8, s38, 3
	s_cmp_eq_u32 s8, 0
	s_cbranch_scc1 .LBB15_1137
.LBB15_1140:
	s_lshl_b32 s3, s2, 3
	s_add_u32 s3, s3, s34
	s_addc_u32 s7, 0, s35
	s_add_u32 s6, s3, 0xc4
	s_addc_u32 s7, s7, 0
	s_mul_i32 s2, s2, 12
	s_add_u32 s2, s34, s2
	s_addc_u32 s3, 0, s35
.LBB15_1141:                            ; =>This Inner Loop Header: Depth=1
	s_load_dwordx2 s[10:11], s[2:3], 0x4
	s_load_dword s9, s[2:3], 0xc
	s_load_dwordx2 s[12:13], s[6:7], 0x0
	v_mov_b32_e32 v0, v3
	s_add_u32 s2, s2, 12
	s_waitcnt lgkmcnt(0)
	v_mul_hi_u32 v3, s11, v1
	v_add_u32_e32 v3, v1, v3
	v_lshrrev_b32_e32 v3, s9, v3
	s_addc_u32 s3, s3, 0
	s_waitcnt vmcnt(0)
	v_mul_lo_u32 v4, v3, s10
	s_add_u32 s6, s6, 8
	v_sub_u32_e32 v6, v1, v4
	v_mov_b32_e32 v1, v3
	s_addc_u32 s7, s7, 0
	s_add_i32 s8, s8, -1
	v_mad_u64_u32 v[4:5], s[10:11], v6, s13, v[0:1]
	v_mad_u64_u32 v[2:3], s[10:11], v6, s12, v[2:3]
	s_cmp_lg_u32 s8, 0
	v_mov_b32_e32 v3, v4
	s_cbranch_scc1 .LBB15_1141
; %bb.1142:
	v_mov_b32_e32 v0, v3
	s_cbranch_execnz .LBB15_1145
.LBB15_1143:
	s_load_dwordx4 s[8:11], s[34:35], 0x4
	s_load_dwordx2 s[2:3], s[34:35], 0xc4
	s_cmp_lt_u32 s33, 2
	s_waitcnt lgkmcnt(0)
	v_mul_hi_u32 v0, s9, v9
	v_add_u32_e32 v0, v9, v0
	v_lshrrev_b32_e32 v1, s10, v0
	v_mul_lo_u32 v0, v1, s8
	v_sub_u32_e32 v2, v9, v0
	v_mul_lo_u32 v0, v2, s3
	v_mul_lo_u32 v2, v2, s2
	s_cbranch_scc1 .LBB15_1145
; %bb.1144:
	s_load_dwordx4 s[8:11], s[34:35], 0x10
	s_load_dwordx2 s[2:3], s[34:35], 0xcc
	s_waitcnt lgkmcnt(0)
	v_mul_hi_u32 v3, s9, v1
	v_add_u32_e32 v3, v1, v3
	v_lshrrev_b32_e32 v3, s10, v3
	v_mul_lo_u32 v3, v3, s8
	v_sub_u32_e32 v1, v1, v3
	v_mad_u64_u32 v[2:3], s[6:7], v1, s2, v[2:3]
	v_mad_u64_u32 v[0:1], s[2:3], v1, s3, v[0:1]
.LBB15_1145:
	s_and_b64 vcc, exec, s[0:1]
	v_add_u32_e32 v1, 0x80, v9
	s_cbranch_vccnz .LBB15_1152
; %bb.1146:
	s_mov_b32 s2, 0
	s_cmp_lg_u32 s33, 0
	s_waitcnt vmcnt(0)
	v_mov_b32_e32 v4, 0
	v_mov_b32_e32 v6, 0
	s_cbranch_scc0 .LBB15_1151
; %bb.1147:
	s_min_u32 s38, s80, 15
	s_add_i32 s38, s38, 1
	s_cmp_eq_u32 s80, 2
	s_cbranch_scc1 .LBB15_1153
; %bb.1148:
	s_add_u32 s6, s34, 0xc4
	s_addc_u32 s7, s35, 0
	s_and_b32 s2, s38, 28
	s_mov_b32 s3, 0
	v_mov_b32_e32 v6, 0
	s_mov_b64 s[36:37], s[34:35]
	v_mov_b32_e32 v3, v1
	v_mov_b32_e32 v4, 0
.LBB15_1149:                            ; =>This Inner Loop Header: Depth=1
	s_load_dwordx8 s[16:23], s[36:37], 0x4
	s_load_dwordx4 s[24:27], s[36:37], 0x24
	s_load_dwordx8 s[8:15], s[6:7], 0x0
	s_add_u32 s36, s36, 48
	s_addc_u32 s37, s37, 0
	s_waitcnt lgkmcnt(0)
	v_mul_hi_u32 v5, s17, v3
	v_add_u32_e32 v5, v3, v5
	v_lshrrev_b32_e32 v5, s18, v5
	v_mul_lo_u32 v7, v5, s16
	v_mul_hi_u32 v8, s20, v5
	v_sub_u32_e32 v3, v3, v7
	v_add_u32_e32 v7, v5, v8
	v_lshrrev_b32_e32 v7, s21, v7
	v_mul_lo_u32 v10, v7, s19
	v_mul_hi_u32 v11, s23, v7
	v_sub_u32_e32 v5, v5, v10
	v_add_u32_e32 v10, v7, v11
	v_mul_lo_u32 v8, v3, s9
	v_mul_lo_u32 v3, v3, s8
	;; [unrolled: 1-line block ×4, first 2 shown]
	v_lshrrev_b32_e32 v10, s24, v10
	v_add3_u32 v5, v3, v6, v5
	v_mul_lo_u32 v3, v10, s22
	v_mul_hi_u32 v6, s26, v10
	v_sub_u32_e32 v3, v7, v3
	v_add_u32_e32 v6, v10, v6
	v_add3_u32 v4, v8, v4, v11
	v_mul_lo_u32 v7, v3, s12
	v_mul_lo_u32 v8, v3, s13
	v_lshrrev_b32_e32 v3, s27, v6
	s_add_i32 s3, s3, 4
	v_mul_lo_u32 v6, v3, s25
	s_add_u32 s6, s6, 32
	v_sub_u32_e32 v6, v10, v6
	s_addc_u32 s7, s7, 0
	v_mul_lo_u32 v10, v6, s14
	v_mul_lo_u32 v6, v6, s15
	s_cmp_lg_u32 s2, s3
	v_add3_u32 v4, v8, v4, v6
	v_add3_u32 v6, v7, v5, v10
	s_cbranch_scc1 .LBB15_1149
; %bb.1150:
	v_mov_b32_e32 v7, v4
	s_and_b32 s8, s38, 3
	s_cmp_eq_u32 s8, 0
	s_cbranch_scc0 .LBB15_1154
.LBB15_1151:
	s_cbranch_execz .LBB15_1157
	s_branch .LBB15_1159
.LBB15_1152:
                                        ; implicit-def: $vgpr4
                                        ; implicit-def: $vgpr6
	s_branch .LBB15_1157
.LBB15_1153:
	s_mov_b32 s3, s2
	v_pk_mov_b32 v[6:7], s[2:3], s[2:3] op_sel:[0,1]
                                        ; implicit-def: $vgpr4
	v_mov_b32_e32 v3, v1
	s_and_b32 s8, s38, 3
	s_cmp_eq_u32 s8, 0
	s_cbranch_scc1 .LBB15_1151
.LBB15_1154:
	s_lshl_b32 s3, s2, 3
	s_add_u32 s3, s3, s34
	s_addc_u32 s7, 0, s35
	s_add_u32 s6, s3, 0xc4
	s_addc_u32 s7, s7, 0
	s_mul_i32 s2, s2, 12
	s_add_u32 s2, s34, s2
	s_addc_u32 s3, 0, s35
.LBB15_1155:                            ; =>This Inner Loop Header: Depth=1
	s_load_dwordx2 s[10:11], s[2:3], 0x4
	s_load_dword s9, s[2:3], 0xc
	s_load_dwordx2 s[12:13], s[6:7], 0x0
	s_add_u32 s2, s2, 12
	v_mov_b32_e32 v4, v7
	s_waitcnt lgkmcnt(0)
	v_mul_hi_u32 v5, s11, v3
	v_add_u32_e32 v5, v3, v5
	v_lshrrev_b32_e32 v5, s9, v5
	s_addc_u32 s3, s3, 0
	v_mul_lo_u32 v7, v5, s10
	s_add_u32 s6, s6, 8
	v_sub_u32_e32 v7, v3, v7
	s_addc_u32 s7, s7, 0
	s_add_i32 s8, s8, -1
	v_mov_b32_e32 v3, v5
	v_mad_u64_u32 v[4:5], s[10:11], v7, s13, v[4:5]
	v_mad_u64_u32 v[6:7], s[10:11], v7, s12, v[6:7]
	s_cmp_lg_u32 s8, 0
	v_mov_b32_e32 v7, v4
	s_cbranch_scc1 .LBB15_1155
; %bb.1156:
	v_mov_b32_e32 v4, v7
	s_cbranch_execnz .LBB15_1159
.LBB15_1157:
	s_load_dwordx4 s[8:11], s[34:35], 0x4
	s_load_dwordx2 s[2:3], s[34:35], 0xc4
	s_cmp_lt_u32 s33, 2
	s_waitcnt lgkmcnt(0)
	v_mul_hi_u32 v3, s9, v1
	v_add_u32_e32 v3, v1, v3
	v_lshrrev_b32_e32 v3, s10, v3
	s_waitcnt vmcnt(0)
	v_mul_lo_u32 v4, v3, s8
	v_sub_u32_e32 v1, v1, v4
	v_mul_lo_u32 v4, v1, s3
	v_mul_lo_u32 v6, v1, s2
	s_cbranch_scc1 .LBB15_1159
; %bb.1158:
	s_load_dwordx4 s[8:11], s[34:35], 0x10
	s_load_dwordx2 s[2:3], s[34:35], 0xcc
	s_waitcnt lgkmcnt(0)
	v_mul_hi_u32 v1, s9, v3
	v_add_u32_e32 v1, v3, v1
	v_lshrrev_b32_e32 v1, s10, v1
	v_mul_lo_u32 v1, v1, s8
	v_sub_u32_e32 v1, v3, v1
	v_mad_u64_u32 v[6:7], s[6:7], v1, s2, v[6:7]
	v_mad_u64_u32 v[4:5], s[2:3], v1, s3, v[4:5]
.LBB15_1159:
	s_and_b64 vcc, exec, s[0:1]
	v_add_u32_e32 v1, 0x100, v9
	s_cbranch_vccnz .LBB15_1166
; %bb.1160:
	s_mov_b32 s2, 0
	s_cmp_lg_u32 s33, 0
	v_mov_b32_e32 v8, 0
	v_mov_b32_e32 v10, 0
	s_cbranch_scc0 .LBB15_1165
; %bb.1161:
	s_min_u32 s38, s80, 15
	s_add_i32 s38, s38, 1
	s_cmp_eq_u32 s80, 2
	s_cbranch_scc1 .LBB15_1167
; %bb.1162:
	s_add_u32 s6, s34, 0xc4
	s_addc_u32 s7, s35, 0
	s_and_b32 s2, s38, 28
	s_mov_b32 s3, 0
	v_mov_b32_e32 v10, 0
	s_mov_b64 s[36:37], s[34:35]
	v_mov_b32_e32 v3, v1
	v_mov_b32_e32 v8, 0
.LBB15_1163:                            ; =>This Inner Loop Header: Depth=1
	s_load_dwordx8 s[16:23], s[36:37], 0x4
	s_load_dwordx4 s[24:27], s[36:37], 0x24
	s_load_dwordx8 s[8:15], s[6:7], 0x0
	s_add_u32 s36, s36, 48
	s_addc_u32 s37, s37, 0
	s_waitcnt vmcnt(0) lgkmcnt(0)
	v_mul_hi_u32 v5, s17, v3
	v_add_u32_e32 v5, v3, v5
	v_lshrrev_b32_e32 v5, s18, v5
	v_mul_lo_u32 v7, v5, s16
	v_mul_hi_u32 v9, s20, v5
	v_sub_u32_e32 v3, v3, v7
	v_add_u32_e32 v7, v5, v9
	v_lshrrev_b32_e32 v7, s21, v7
	v_mul_lo_u32 v11, v7, s19
	v_mul_hi_u32 v12, s23, v7
	v_sub_u32_e32 v5, v5, v11
	v_add_u32_e32 v11, v7, v12
	v_mul_lo_u32 v9, v3, s9
	v_mul_lo_u32 v3, v3, s8
	v_mul_lo_u32 v12, v5, s11
	v_mul_lo_u32 v5, v5, s10
	v_lshrrev_b32_e32 v11, s24, v11
	v_add3_u32 v5, v3, v10, v5
	v_add3_u32 v8, v9, v8, v12
	v_mul_lo_u32 v3, v11, s22
	v_mul_hi_u32 v9, s26, v11
	v_sub_u32_e32 v3, v7, v3
	v_add_u32_e32 v7, v11, v9
	v_mul_lo_u32 v9, v3, s12
	v_mul_lo_u32 v10, v3, s13
	v_lshrrev_b32_e32 v3, s27, v7
	s_add_i32 s3, s3, 4
	v_mul_lo_u32 v7, v3, s25
	s_add_u32 s6, s6, 32
	v_sub_u32_e32 v7, v11, v7
	s_addc_u32 s7, s7, 0
	v_mul_lo_u32 v11, v7, s14
	v_mul_lo_u32 v7, v7, s15
	s_cmp_lg_u32 s2, s3
	v_add3_u32 v8, v10, v8, v7
	v_add3_u32 v10, v9, v5, v11
	s_cbranch_scc1 .LBB15_1163
; %bb.1164:
	v_mov_b32_e32 v11, v8
	s_and_b32 s8, s38, 3
	s_cmp_eq_u32 s8, 0
	s_cbranch_scc0 .LBB15_1168
.LBB15_1165:
	s_cbranch_execz .LBB15_1171
	s_branch .LBB15_1173
.LBB15_1166:
                                        ; implicit-def: $vgpr8
                                        ; implicit-def: $vgpr10
	s_branch .LBB15_1171
.LBB15_1167:
	s_mov_b32 s3, s2
	v_pk_mov_b32 v[10:11], s[2:3], s[2:3] op_sel:[0,1]
                                        ; implicit-def: $vgpr8
	v_mov_b32_e32 v3, v1
	s_and_b32 s8, s38, 3
	s_cmp_eq_u32 s8, 0
	s_cbranch_scc1 .LBB15_1165
.LBB15_1168:
	s_lshl_b32 s3, s2, 3
	s_add_u32 s3, s3, s34
	s_addc_u32 s7, 0, s35
	s_add_u32 s6, s3, 0xc4
	s_addc_u32 s7, s7, 0
	s_mul_i32 s2, s2, 12
	s_add_u32 s2, s34, s2
	s_addc_u32 s3, 0, s35
.LBB15_1169:                            ; =>This Inner Loop Header: Depth=1
	s_load_dwordx2 s[10:11], s[2:3], 0x4
	s_load_dword s9, s[2:3], 0xc
	s_load_dwordx2 s[12:13], s[6:7], 0x0
	s_add_u32 s2, s2, 12
	s_addc_u32 s3, s3, 0
	s_waitcnt vmcnt(0) lgkmcnt(0)
	v_mul_hi_u32 v5, s11, v3
	v_add_u32_e32 v5, v3, v5
	v_lshrrev_b32_e32 v5, s9, v5
	v_mul_lo_u32 v7, v5, s10
	v_mov_b32_e32 v8, v11
	s_add_u32 s6, s6, 8
	v_sub_u32_e32 v7, v3, v7
	s_addc_u32 s7, s7, 0
	s_add_i32 s8, s8, -1
	v_mad_u64_u32 v[8:9], s[10:11], v7, s13, v[8:9]
	v_mad_u64_u32 v[10:11], s[10:11], v7, s12, v[10:11]
	s_cmp_lg_u32 s8, 0
	v_mov_b32_e32 v3, v5
	v_mov_b32_e32 v11, v8
	s_cbranch_scc1 .LBB15_1169
; %bb.1170:
	v_mov_b32_e32 v8, v11
	s_cbranch_execnz .LBB15_1173
.LBB15_1171:
	s_load_dwordx4 s[8:11], s[34:35], 0x4
	s_load_dwordx2 s[2:3], s[34:35], 0xc4
	s_cmp_lt_u32 s33, 2
	s_waitcnt lgkmcnt(0)
	v_mul_hi_u32 v3, s9, v1
	v_add_u32_e32 v3, v1, v3
	v_lshrrev_b32_e32 v3, s10, v3
	s_waitcnt vmcnt(0)
	v_mul_lo_u32 v5, v3, s8
	v_sub_u32_e32 v1, v1, v5
	v_mul_lo_u32 v8, v1, s3
	v_mul_lo_u32 v10, v1, s2
	s_cbranch_scc1 .LBB15_1173
; %bb.1172:
	s_load_dwordx4 s[8:11], s[34:35], 0x10
	s_load_dwordx2 s[2:3], s[34:35], 0xcc
	s_waitcnt lgkmcnt(0)
	v_mul_hi_u32 v1, s9, v3
	v_add_u32_e32 v1, v3, v1
	v_lshrrev_b32_e32 v1, s10, v1
	v_mul_lo_u32 v1, v1, s8
	v_sub_u32_e32 v1, v3, v1
	v_mad_u64_u32 v[10:11], s[6:7], v1, s2, v[10:11]
	v_mad_u64_u32 v[8:9], s[2:3], v1, s3, v[8:9]
.LBB15_1173:
	s_and_b64 vcc, exec, s[0:1]
	s_cbranch_vccnz .LBB15_1180
; %bb.1174:
	s_mov_b32 s6, 0
	s_cmp_lg_u32 s33, 0
	v_mov_b32_e32 v12, 0
	v_mov_b32_e32 v14, 0
	s_cbranch_scc0 .LBB15_1179
; %bb.1175:
	s_min_u32 s36, s80, 15
	s_add_i32 s36, s36, 1
	s_cmp_eq_u32 s80, 2
	s_cbranch_scc1 .LBB15_1181
; %bb.1176:
	s_add_u32 s24, s34, 0xc4
	s_addc_u32 s25, s35, 0
	s_and_b32 s6, s36, 28
	s_mov_b32 s7, 0
	v_mov_b32_e32 v14, 0
	s_mov_b64 s[26:27], s[34:35]
	v_mov_b32_e32 v1, v16
	v_mov_b32_e32 v12, 0
.LBB15_1177:                            ; =>This Inner Loop Header: Depth=1
	s_load_dwordx8 s[16:23], s[26:27], 0x4
	s_load_dwordx4 s[0:3], s[26:27], 0x24
	s_load_dwordx8 s[8:15], s[24:25], 0x0
	s_add_u32 s26, s26, 48
	s_addc_u32 s27, s27, 0
	s_waitcnt lgkmcnt(0)
	v_mul_hi_u32 v3, s17, v1
	v_add_u32_e32 v3, v1, v3
	v_lshrrev_b32_e32 v3, s18, v3
	s_waitcnt vmcnt(0)
	v_mul_lo_u32 v5, v3, s16
	v_mul_hi_u32 v7, s20, v3
	v_sub_u32_e32 v1, v1, v5
	v_add_u32_e32 v5, v3, v7
	v_lshrrev_b32_e32 v5, s21, v5
	v_mul_lo_u32 v9, v5, s19
	v_mul_hi_u32 v11, s23, v5
	v_sub_u32_e32 v3, v3, v9
	v_add_u32_e32 v9, v5, v11
	v_mul_lo_u32 v7, v1, s9
	v_mul_lo_u32 v1, v1, s8
	;; [unrolled: 1-line block ×4, first 2 shown]
	v_lshrrev_b32_e32 v9, s0, v9
	v_add3_u32 v3, v1, v14, v3
	v_add3_u32 v7, v7, v12, v11
	v_mul_lo_u32 v1, v9, s22
	v_mul_hi_u32 v11, s2, v9
	v_sub_u32_e32 v1, v5, v1
	v_add_u32_e32 v5, v9, v11
	v_mul_lo_u32 v11, v1, s12
	v_mul_lo_u32 v12, v1, s13
	v_lshrrev_b32_e32 v1, s3, v5
	s_add_i32 s7, s7, 4
	v_mul_lo_u32 v5, v1, s1
	s_add_u32 s24, s24, 32
	v_sub_u32_e32 v5, v9, v5
	s_addc_u32 s25, s25, 0
	v_mul_lo_u32 v9, v5, s14
	v_mul_lo_u32 v5, v5, s15
	s_cmp_lg_u32 s6, s7
	v_add3_u32 v12, v12, v7, v5
	v_add3_u32 v14, v11, v3, v9
	s_cbranch_scc1 .LBB15_1177
; %bb.1178:
	v_mov_b32_e32 v15, v12
	s_and_b32 s7, s36, 3
	s_cmp_eq_u32 s7, 0
	s_cbranch_scc0 .LBB15_1182
.LBB15_1179:
	s_cbranch_execz .LBB15_1185
	s_branch .LBB15_1187
.LBB15_1180:
                                        ; implicit-def: $vgpr12
                                        ; implicit-def: $vgpr14
	s_branch .LBB15_1185
.LBB15_1181:
	s_mov_b32 s7, s6
	v_pk_mov_b32 v[14:15], s[6:7], s[6:7] op_sel:[0,1]
                                        ; implicit-def: $vgpr12
	v_mov_b32_e32 v1, v16
	s_and_b32 s7, s36, 3
	s_cmp_eq_u32 s7, 0
	s_cbranch_scc1 .LBB15_1179
.LBB15_1182:
	s_lshl_b32 s0, s6, 3
	s_add_u32 s0, s0, s34
	s_addc_u32 s1, 0, s35
	s_add_u32 s0, s0, 0xc4
	s_addc_u32 s1, s1, 0
	s_mul_i32 s2, s6, 12
	s_add_u32 s2, s34, s2
	s_addc_u32 s3, 0, s35
.LBB15_1183:                            ; =>This Inner Loop Header: Depth=1
	s_load_dwordx2 s[8:9], s[2:3], 0x4
	s_load_dword s6, s[2:3], 0xc
	s_load_dwordx2 s[10:11], s[0:1], 0x0
	s_add_u32 s2, s2, 12
	s_addc_u32 s3, s3, 0
	s_waitcnt lgkmcnt(0)
	v_mul_hi_u32 v3, s9, v1
	v_add_u32_e32 v3, v1, v3
	v_lshrrev_b32_e32 v3, s6, v3
	s_waitcnt vmcnt(0)
	v_mul_lo_u32 v5, v3, s8
	v_mov_b32_e32 v12, v15
	s_add_u32 s0, s0, 8
	v_sub_u32_e32 v5, v1, v5
	s_addc_u32 s1, s1, 0
	s_add_i32 s7, s7, -1
	v_mad_u64_u32 v[12:13], s[8:9], v5, s11, v[12:13]
	v_mad_u64_u32 v[14:15], s[8:9], v5, s10, v[14:15]
	s_cmp_lg_u32 s7, 0
	v_mov_b32_e32 v1, v3
	v_mov_b32_e32 v15, v12
	s_cbranch_scc1 .LBB15_1183
; %bb.1184:
	v_mov_b32_e32 v12, v15
	s_cbranch_execnz .LBB15_1187
.LBB15_1185:
	s_load_dwordx4 s[0:3], s[34:35], 0x4
	s_load_dwordx2 s[6:7], s[34:35], 0xc4
	s_cmp_lt_u32 s33, 2
	s_waitcnt lgkmcnt(0)
	v_mul_hi_u32 v1, s1, v16
	v_add_u32_e32 v1, v16, v1
	v_lshrrev_b32_e32 v1, s2, v1
	v_mul_lo_u32 v3, v1, s0
	v_sub_u32_e32 v3, v16, v3
	v_mul_lo_u32 v12, v3, s7
	v_mul_lo_u32 v14, v3, s6
	s_cbranch_scc1 .LBB15_1187
; %bb.1186:
	s_load_dwordx4 s[0:3], s[34:35], 0x10
	s_load_dwordx2 s[6:7], s[34:35], 0xcc
	s_waitcnt lgkmcnt(0)
	v_mul_hi_u32 v3, s1, v1
	v_add_u32_e32 v3, v1, v3
	v_lshrrev_b32_e32 v3, s2, v3
	v_mul_lo_u32 v3, v3, s0
	v_sub_u32_e32 v1, v1, v3
	v_mad_u64_u32 v[14:15], s[0:1], v1, s6, v[14:15]
	v_mad_u64_u32 v[12:13], s[0:1], v1, s7, v[12:13]
.LBB15_1187:
	s_load_dword s0, s[4:5], 0x170
	s_load_dwordx4 s[8:11], s[34:35], 0x148
	v_mov_b32_e32 v3, 11
	s_waitcnt lgkmcnt(0)
	s_lshr_b32 s22, s0, 8
	v_mov_b32_e32 v1, s11
	v_add_co_u32_e32 v0, vcc, s10, v0
	v_addc_co_u32_e32 v1, vcc, 0, v1, vcc
	v_cmp_lt_i16_sdwa s[0:1], s22, v3 src0_sel:BYTE_0 src1_sel:DWORD
	s_and_b64 vcc, exec, s[0:1]
	s_cbranch_vccnz .LBB15_1194
; %bb.1188:
	v_mov_b32_e32 v3, 25
	v_cmp_gt_i16_sdwa s[0:1], s22, v3 src0_sel:BYTE_0 src1_sel:DWORD
	s_mov_b64 s[4:5], 0
	s_and_b64 vcc, exec, s[0:1]
	s_cbranch_vccz .LBB15_1196
; %bb.1189:
	v_mov_b32_e32 v3, 28
	v_cmp_gt_i16_sdwa s[0:1], s22, v3 src0_sel:BYTE_0 src1_sel:DWORD
	s_and_b64 vcc, exec, s[0:1]
	s_cbranch_vccz .LBB15_1197
; %bb.1190:
	v_mov_b32_e32 v3, 43
	v_cmp_gt_i16_sdwa s[0:1], s22, v3 src0_sel:BYTE_0 src1_sel:DWORD
	;; [unrolled: 5-line block ×3, first 2 shown]
	s_and_b64 vcc, exec, s[0:1]
	s_cbranch_vccz .LBB15_1199
; %bb.1192:
	v_mov_b32_e32 v3, 46
	v_cmp_eq_u16_sdwa s[0:1], s22, v3 src0_sel:BYTE_0 src1_sel:DWORD
	s_mov_b64 s[2:3], 0
	s_and_b64 vcc, exec, s[0:1]
	s_cbranch_vccz .LBB15_1202
; %bb.1193:
	global_load_dword v3, v[0:1], off
	s_mov_b64 s[0:1], 0
	s_mov_b64 s[6:7], -1
	s_waitcnt vmcnt(0)
	v_lshlrev_b32_e32 v3, 16, v3
	v_cvt_f64_f32_e32 v[16:17], v3
	s_branch .LBB15_1203
.LBB15_1194:
	s_mov_b64 s[6:7], 0
                                        ; implicit-def: $vgpr16_vgpr17
	s_mov_b64 s[2:3], s[28:29]
	s_cbranch_execnz .LBB15_1266
.LBB15_1195:
	s_andn2_b64 vcc, exec, s[6:7]
	s_cbranch_vccz .LBB15_1311
	s_branch .LBB15_1736
.LBB15_1196:
	s_mov_b64 s[6:7], 0
	s_mov_b64 s[0:1], 0
                                        ; implicit-def: $vgpr16_vgpr17
	s_cbranch_execnz .LBB15_1231
	s_branch .LBB15_1262
.LBB15_1197:
	s_mov_b64 s[2:3], -1
	s_mov_b64 s[6:7], 0
	s_mov_b64 s[0:1], 0
                                        ; implicit-def: $vgpr16_vgpr17
	s_branch .LBB15_1212
.LBB15_1198:
	s_mov_b64 s[6:7], 0
	s_mov_b64 s[0:1], 0
                                        ; implicit-def: $vgpr16_vgpr17
	s_cbranch_execnz .LBB15_1208
	s_branch .LBB15_1211
.LBB15_1199:
	s_mov_b64 s[2:3], -1
	s_mov_b64 s[6:7], 0
	s_mov_b64 s[0:1], 0
                                        ; implicit-def: $vgpr16_vgpr17
	s_branch .LBB15_1203
.LBB15_1200:
	s_or_saveexec_b64 s[14:15], s[14:15]
                                        ; implicit-def: $sgpr16
	s_xor_b64 exec, exec, s[14:15]
	s_cbranch_execz .LBB15_1042
.LBB15_1201:
	s_mov_b32 s16, 0x46000000
	v_add_f32_e64 v3, |v2|, s16
	v_and_b32_e32 v3, 0xff, v3
	v_cmp_ne_u32_e32 vcc, 0, v3
	s_andn2_b64 s[12:13], s[12:13], exec
	s_and_b64 s[18:19], vcc, exec
	s_mov_b32 s16, 0
	s_or_b64 s[12:13], s[12:13], s[18:19]
	s_or_b64 exec, exec, s[14:15]
	v_mov_b32_e32 v6, s16
	s_and_saveexec_b64 s[14:15], s[12:13]
	s_cbranch_execnz .LBB15_1043
	s_branch .LBB15_1044
.LBB15_1202:
	s_mov_b64 s[0:1], -1
                                        ; implicit-def: $vgpr16_vgpr17
	s_mov_b64 s[6:7], 0
.LBB15_1203:
	s_and_b64 vcc, exec, s[2:3]
	s_cbranch_vccz .LBB15_1206
; %bb.1204:
	v_mov_b32_e32 v3, 44
	v_cmp_eq_u16_sdwa s[0:1], s22, v3 src0_sel:BYTE_0 src1_sel:DWORD
	s_and_b64 vcc, exec, s[0:1]
	s_cbranch_vccz .LBB15_1207
; %bb.1205:
	global_load_ubyte v3, v[0:1], off
	s_movk_i32 s2, 0xff
	s_waitcnt vmcnt(1)
	v_bfrev_b32_e32 v5, 4
	v_mov_b32_e32 v7, 0x7ff80000
	v_bfrev_b32_e32 v9, 28
	s_mov_b64 s[0:1], 0
	s_mov_b64 s[6:7], -1
	s_waitcnt vmcnt(0)
	v_lshlrev_b32_e32 v11, 23, v3
	v_cvt_f64_f32_e32 v[16:17], v11
	v_cmp_ne_u32_e32 vcc, s2, v3
	v_cndmask_b32_e32 v5, v5, v16, vcc
	v_cndmask_b32_e32 v7, v7, v17, vcc
	v_cmp_ne_u32_e32 vcc, 0, v3
	v_cndmask_b32_e32 v17, v9, v7, vcc
	v_cndmask_b32_e32 v16, 0, v5, vcc
.LBB15_1206:
	s_branch .LBB15_1211
.LBB15_1207:
	s_mov_b64 s[0:1], -1
                                        ; implicit-def: $vgpr16_vgpr17
	s_branch .LBB15_1211
.LBB15_1208:
	v_mov_b32_e32 v3, 29
	v_cmp_eq_u16_sdwa s[0:1], s22, v3 src0_sel:BYTE_0 src1_sel:DWORD
	s_and_b64 vcc, exec, s[0:1]
	s_cbranch_vccz .LBB15_1210
; %bb.1209:
	global_load_dwordx2 v[16:17], v[0:1], off
	s_mov_b64 s[0:1], 0
	s_mov_b64 s[6:7], -1
	s_mov_b64 s[2:3], 0
	s_waitcnt vmcnt(0)
	v_cvt_f64_u32_e32 v[18:19], v17
	v_cvt_f64_u32_e32 v[16:17], v16
	v_ldexp_f64 v[18:19], v[18:19], 32
	v_add_f64 v[16:17], v[18:19], v[16:17]
	s_branch .LBB15_1212
.LBB15_1210:
	s_mov_b64 s[0:1], -1
                                        ; implicit-def: $vgpr16_vgpr17
.LBB15_1211:
	s_mov_b64 s[2:3], 0
.LBB15_1212:
	s_and_b64 vcc, exec, s[2:3]
	s_cbranch_vccz .LBB15_1230
; %bb.1213:
	v_mov_b32_e32 v3, 27
	v_cmp_lt_i16_sdwa s[2:3], s22, v3 src0_sel:BYTE_0 src1_sel:DWORD
	s_and_b64 vcc, exec, s[2:3]
	s_cbranch_vccnz .LBB15_1216
; %bb.1214:
	v_cmp_gt_i16_sdwa s[2:3], s22, v3 src0_sel:BYTE_0 src1_sel:DWORD
	s_and_b64 vcc, exec, s[2:3]
	s_cbranch_vccz .LBB15_1217
; %bb.1215:
	global_load_dword v3, v[0:1], off
	s_mov_b64 s[2:3], 0
	s_waitcnt vmcnt(0)
	v_cvt_f64_u32_e32 v[16:17], v3
	s_branch .LBB15_1218
.LBB15_1216:
	s_mov_b64 s[2:3], -1
                                        ; implicit-def: $vgpr16_vgpr17
	s_branch .LBB15_1221
.LBB15_1217:
	s_mov_b64 s[2:3], -1
                                        ; implicit-def: $vgpr16_vgpr17
.LBB15_1218:
	s_andn2_b64 vcc, exec, s[2:3]
	s_cbranch_vccnz .LBB15_1220
; %bb.1219:
	global_load_ushort v3, v[0:1], off
	s_waitcnt vmcnt(0)
	v_cvt_f64_u32_e32 v[16:17], v3
.LBB15_1220:
	s_mov_b64 s[2:3], 0
.LBB15_1221:
	s_andn2_b64 vcc, exec, s[2:3]
	s_cbranch_vccnz .LBB15_1229
; %bb.1222:
	global_load_ubyte v3, v[0:1], off
	s_movk_i32 s2, 0x7f
                                        ; implicit-def: $sgpr6_sgpr7
	s_waitcnt vmcnt(0)
	v_cmp_lt_i16_e32 vcc, s2, v3
	s_mov_b64 s[2:3], 0
	s_and_saveexec_b64 s[12:13], vcc
	s_xor_b64 s[12:13], exec, s[12:13]
	s_cbranch_execz .LBB15_1242
; %bb.1223:
	s_movk_i32 s2, 0x80
	v_cmp_eq_u16_e32 vcc, s2, v3
	s_mov_b64 s[14:15], -1
                                        ; implicit-def: $sgpr6_sgpr7
	s_and_saveexec_b64 s[2:3], vcc
; %bb.1224:
	s_mov_b32 s7, 0x7ff80000
	s_brev_b32 s6, 4
	s_xor_b64 s[14:15], exec, -1
; %bb.1225:
	s_or_b64 exec, exec, s[2:3]
	s_and_b64 s[2:3], s[14:15], exec
	s_or_saveexec_b64 s[12:13], s[12:13]
	v_pk_mov_b32 v[16:17], s[6:7], s[6:7] op_sel:[0,1]
	s_xor_b64 exec, exec, s[12:13]
	s_cbranch_execnz .LBB15_1243
.LBB15_1226:
	s_or_b64 exec, exec, s[12:13]
	s_and_saveexec_b64 s[6:7], s[2:3]
	s_cbranch_execz .LBB15_1228
.LBB15_1227:
	v_lshlrev_b32_e32 v5, 24, v3
	v_and_b32_e32 v3, 0xffff, v3
	v_and_b32_e32 v7, 7, v3
	v_ffbh_u32_e32 v11, v7
	v_min_u32_e32 v11, 32, v11
	v_subrev_u32_e32 v13, 28, v11
	v_bfe_u32 v9, v3, 3, 4
	v_lshlrev_b32_e32 v3, v13, v3
	v_sub_u32_e32 v11, 29, v11
	v_and_b32_e32 v3, 7, v3
	v_cmp_eq_u32_e32 vcc, 0, v9
	v_cndmask_b32_e32 v9, v9, v11, vcc
	v_cndmask_b32_e32 v3, v7, v3, vcc
	v_mov_b32_e32 v7, 0x3b800000
	v_lshlrev_b32_e32 v3, 20, v3
	v_and_b32_e32 v5, 0x80000000, v5
	v_lshl_add_u32 v7, v9, 23, v7
	v_or3_b32 v3, v5, v7, v3
	v_cvt_f64_f32_e32 v[16:17], v3
.LBB15_1228:
	s_or_b64 exec, exec, s[6:7]
.LBB15_1229:
	s_mov_b64 s[6:7], -1
.LBB15_1230:
	s_branch .LBB15_1262
.LBB15_1231:
	v_mov_b32_e32 v3, 22
	v_cmp_gt_i16_sdwa s[2:3], s22, v3 src0_sel:BYTE_0 src1_sel:DWORD
	s_and_b64 vcc, exec, s[2:3]
	s_cbranch_vccz .LBB15_1241
; %bb.1232:
	v_mov_b32_e32 v3, 24
	v_cmp_lt_i16_sdwa s[2:3], s22, v3 src0_sel:BYTE_0 src1_sel:DWORD
	s_and_b64 vcc, exec, s[2:3]
	s_cbranch_vccnz .LBB15_1244
; %bb.1233:
	v_cmp_gt_i16_sdwa s[2:3], s22, v3 src0_sel:BYTE_0 src1_sel:DWORD
	s_and_b64 vcc, exec, s[2:3]
	s_cbranch_vccz .LBB15_1245
; %bb.1234:
	global_load_ubyte v3, v[0:1], off
	s_movk_i32 s2, 0x7f
                                        ; implicit-def: $sgpr4_sgpr5
	s_waitcnt vmcnt(0)
	v_cmp_lt_i16_e32 vcc, s2, v3
	s_mov_b64 s[2:3], 0
	s_and_saveexec_b64 s[6:7], vcc
	s_xor_b64 s[6:7], exec, s[6:7]
	s_cbranch_execz .LBB15_1256
; %bb.1235:
	s_movk_i32 s2, 0x80
	v_cmp_eq_u16_e32 vcc, s2, v3
	s_mov_b64 s[12:13], -1
                                        ; implicit-def: $sgpr4_sgpr5
	s_and_saveexec_b64 s[2:3], vcc
; %bb.1236:
	s_mov_b32 s5, 0x7ff80000
	s_brev_b32 s4, 4
	s_xor_b64 s[12:13], exec, -1
; %bb.1237:
	s_or_b64 exec, exec, s[2:3]
	s_and_b64 s[2:3], s[12:13], exec
	s_or_saveexec_b64 s[6:7], s[6:7]
	v_pk_mov_b32 v[16:17], s[4:5], s[4:5] op_sel:[0,1]
	s_xor_b64 exec, exec, s[6:7]
	s_cbranch_execnz .LBB15_1257
.LBB15_1238:
	s_or_b64 exec, exec, s[6:7]
	s_and_saveexec_b64 s[4:5], s[2:3]
	s_cbranch_execz .LBB15_1240
.LBB15_1239:
	v_lshlrev_b32_e32 v5, 24, v3
	v_and_b32_e32 v3, 0xffff, v3
	v_and_b32_e32 v7, 3, v3
	v_ffbh_u32_e32 v11, v7
	v_min_u32_e32 v11, 32, v11
	v_subrev_u32_e32 v13, 29, v11
	v_bfe_u32 v9, v3, 2, 5
	v_lshlrev_b32_e32 v3, v13, v3
	v_sub_u32_e32 v11, 30, v11
	v_and_b32_e32 v3, 3, v3
	v_cmp_eq_u32_e32 vcc, 0, v9
	v_cndmask_b32_e32 v9, v9, v11, vcc
	v_cndmask_b32_e32 v3, v7, v3, vcc
	v_mov_b32_e32 v7, 0x37800000
	v_lshlrev_b32_e32 v3, 21, v3
	v_and_b32_e32 v5, 0x80000000, v5
	v_lshl_add_u32 v7, v9, 23, v7
	v_or3_b32 v3, v5, v7, v3
	v_cvt_f64_f32_e32 v[16:17], v3
.LBB15_1240:
	s_or_b64 exec, exec, s[4:5]
	s_mov_b64 s[2:3], 0
	s_branch .LBB15_1246
.LBB15_1241:
                                        ; implicit-def: $vgpr16_vgpr17
	s_mov_b64 s[4:5], 0
	s_branch .LBB15_1252
.LBB15_1242:
	s_or_saveexec_b64 s[12:13], s[12:13]
	v_pk_mov_b32 v[16:17], s[6:7], s[6:7] op_sel:[0,1]
	s_xor_b64 exec, exec, s[12:13]
	s_cbranch_execz .LBB15_1226
.LBB15_1243:
	v_cmp_ne_u16_e32 vcc, 0, v3
	s_andn2_b64 s[2:3], s[2:3], exec
	s_and_b64 s[6:7], vcc, exec
	v_pk_mov_b32 v[16:17], 0, 0
	s_or_b64 s[2:3], s[2:3], s[6:7]
	s_or_b64 exec, exec, s[12:13]
	s_and_saveexec_b64 s[6:7], s[2:3]
	s_cbranch_execnz .LBB15_1227
	s_branch .LBB15_1228
.LBB15_1244:
	s_mov_b64 s[2:3], -1
                                        ; implicit-def: $vgpr16_vgpr17
	s_branch .LBB15_1249
.LBB15_1245:
	s_mov_b64 s[2:3], -1
                                        ; implicit-def: $vgpr16_vgpr17
.LBB15_1246:
	s_and_b64 vcc, exec, s[2:3]
	s_cbranch_vccz .LBB15_1248
; %bb.1247:
	global_load_ubyte v3, v[0:1], off
	s_mov_b32 s2, 0x7f800000
	s_waitcnt vmcnt(0)
	v_lshlrev_b32_e32 v3, 24, v3
	v_and_b32_e32 v5, 0x7f000000, v3
	v_ffbh_u32_e32 v7, v5
	v_min_u32_e32 v7, 32, v7
	v_sub_u32_e64 v7, v7, 4 clamp
	v_lshlrev_b32_e32 v11, v7, v5
	v_lshlrev_b32_e32 v7, 23, v7
	v_lshrrev_b32_e32 v11, 4, v11
	v_add_u32_e32 v9, 0x1000000, v5
	v_sub_u32_e32 v7, v11, v7
	v_ashrrev_i32_e32 v9, 8, v9
	v_add_u32_e32 v7, 0x3c000000, v7
	v_and_or_b32 v7, v9, s2, v7
	v_cmp_ne_u32_e32 vcc, 0, v5
	v_cndmask_b32_e32 v5, 0, v7, vcc
	s_brev_b32 s2, 1
	v_and_or_b32 v3, v3, s2, v5
	v_cvt_f64_f32_e32 v[16:17], v3
.LBB15_1248:
	s_mov_b64 s[2:3], 0
.LBB15_1249:
	s_andn2_b64 vcc, exec, s[2:3]
	s_cbranch_vccnz .LBB15_1251
; %bb.1250:
	global_load_ubyte v3, v[0:1], off
	s_movk_i32 s2, 0x7f00
	s_brev_b32 s3, 16
	s_waitcnt vmcnt(0)
	v_lshlrev_b16_e32 v5, 8, v3
	v_lshlrev_b32_e32 v3, 25, v3
	v_lshrrev_b32_e32 v7, 4, v3
	v_and_or_b32 v9, v5, s2, 0.5
	v_or_b32_e32 v7, 0x70000000, v7
	v_add_f32_e32 v9, -0.5, v9
	v_mul_f32_e32 v7, 0x7800000, v7
	v_cmp_gt_u32_e32 vcc, s3, v3
	v_bfe_i32 v5, v5, 0, 16
	v_cndmask_b32_e32 v3, v7, v9, vcc
	s_brev_b32 s2, 1
	v_and_or_b32 v3, v5, s2, v3
	v_cvt_f64_f32_e32 v[16:17], v3
.LBB15_1251:
	s_mov_b64 s[6:7], -1
	s_mov_b64 s[4:5], 0
	s_cbranch_execnz .LBB15_1262
.LBB15_1252:
	v_mov_b32_e32 v3, 14
	v_cmp_gt_i16_sdwa s[2:3], s22, v3 src0_sel:BYTE_0 src1_sel:DWORD
	s_and_b64 vcc, exec, s[2:3]
	s_cbranch_vccz .LBB15_1255
; %bb.1253:
	v_mov_b32_e32 v3, 15
	v_cmp_eq_u16_sdwa s[0:1], s22, v3 src0_sel:BYTE_0 src1_sel:DWORD
	s_and_b64 vcc, exec, s[0:1]
	s_cbranch_vccz .LBB15_1258
; %bb.1254:
	global_load_ushort v3, v[0:1], off
	s_mov_b64 s[0:1], 0
	s_mov_b64 s[6:7], -1
	s_waitcnt vmcnt(0)
	v_lshlrev_b32_e32 v3, 16, v3
	v_cvt_f64_f32_e32 v[16:17], v3
	s_branch .LBB15_1259
.LBB15_1255:
	s_mov_b64 s[2:3], -1
                                        ; implicit-def: $vgpr16_vgpr17
	s_branch .LBB15_1260
.LBB15_1256:
	s_or_saveexec_b64 s[6:7], s[6:7]
	v_pk_mov_b32 v[16:17], s[4:5], s[4:5] op_sel:[0,1]
	s_xor_b64 exec, exec, s[6:7]
	s_cbranch_execz .LBB15_1238
.LBB15_1257:
	v_cmp_ne_u16_e32 vcc, 0, v3
	s_andn2_b64 s[2:3], s[2:3], exec
	s_and_b64 s[4:5], vcc, exec
	v_pk_mov_b32 v[16:17], 0, 0
	s_or_b64 s[2:3], s[2:3], s[4:5]
	s_or_b64 exec, exec, s[6:7]
	s_and_saveexec_b64 s[4:5], s[2:3]
	s_cbranch_execnz .LBB15_1239
	s_branch .LBB15_1240
.LBB15_1258:
	s_mov_b64 s[0:1], -1
                                        ; implicit-def: $vgpr16_vgpr17
.LBB15_1259:
	s_mov_b64 s[2:3], 0
.LBB15_1260:
	s_and_b64 vcc, exec, s[2:3]
	s_cbranch_vccz .LBB15_1262
; %bb.1261:
	v_mov_b32_e32 v3, 11
	v_cmp_ne_u16_sdwa s[0:1], s22, v3 src0_sel:BYTE_0 src1_sel:DWORD
	s_mov_b64 s[4:5], -1
                                        ; implicit-def: $vgpr16_vgpr17
.LBB15_1262:
	s_and_b64 vcc, exec, s[0:1]
	s_mov_b64 s[2:3], s[28:29]
	s_cbranch_vccnz .LBB15_1333
; %bb.1263:
	s_andn2_b64 vcc, exec, s[4:5]
	s_cbranch_vccnz .LBB15_1265
.LBB15_1264:
	global_load_ubyte v3, v[0:1], off
	s_waitcnt vmcnt(1)
	v_mov_b32_e32 v5, 0x3ff00000
	v_mov_b32_e32 v16, 0
	s_mov_b64 s[6:7], -1
	s_waitcnt vmcnt(0)
	v_cmp_ne_u16_e32 vcc, 0, v3
	v_cndmask_b32_e32 v17, 0, v5, vcc
.LBB15_1265:
	s_branch .LBB15_1195
.LBB15_1266:
	v_mov_b32_e32 v3, 5
	v_cmp_lt_i16_sdwa s[0:1], s22, v3 src0_sel:BYTE_0 src1_sel:DWORD
	s_and_b64 vcc, exec, s[0:1]
	s_cbranch_vccnz .LBB15_1271
; %bb.1267:
	v_mov_b32_e32 v3, 8
	v_cmp_lt_i16_sdwa s[0:1], s22, v3 src0_sel:BYTE_0 src1_sel:DWORD
	s_and_b64 vcc, exec, s[0:1]
	s_cbranch_vccnz .LBB15_1272
; %bb.1268:
	;; [unrolled: 5-line block ×3, first 2 shown]
	v_cmp_gt_i16_sdwa s[0:1], s22, v3 src0_sel:BYTE_0 src1_sel:DWORD
	s_and_b64 vcc, exec, s[0:1]
	s_cbranch_vccz .LBB15_1274
; %bb.1270:
	global_load_dwordx2 v[16:17], v[0:1], off
	s_mov_b64 s[0:1], 0
	s_branch .LBB15_1275
.LBB15_1271:
                                        ; implicit-def: $vgpr16_vgpr17
	s_branch .LBB15_1292
.LBB15_1272:
                                        ; implicit-def: $vgpr16_vgpr17
	s_branch .LBB15_1281
.LBB15_1273:
	s_mov_b64 s[0:1], -1
                                        ; implicit-def: $vgpr16_vgpr17
	s_branch .LBB15_1278
.LBB15_1274:
	s_mov_b64 s[0:1], -1
                                        ; implicit-def: $vgpr16_vgpr17
.LBB15_1275:
	s_andn2_b64 vcc, exec, s[0:1]
	s_cbranch_vccnz .LBB15_1277
; %bb.1276:
	global_load_dword v3, v[0:1], off
	s_waitcnt vmcnt(0)
	v_cvt_f64_f32_e32 v[16:17], v3
.LBB15_1277:
	s_mov_b64 s[0:1], 0
.LBB15_1278:
	s_andn2_b64 vcc, exec, s[0:1]
	s_cbranch_vccnz .LBB15_1280
; %bb.1279:
	global_load_dword v3, v[0:1], off
	s_waitcnt vmcnt(0)
	v_cvt_f32_f16_e32 v3, v3
	v_cvt_f64_f32_e32 v[16:17], v3
.LBB15_1280:
	s_cbranch_execnz .LBB15_1291
.LBB15_1281:
	v_mov_b32_e32 v3, 6
	v_cmp_lt_i16_sdwa s[0:1], s22, v3 src0_sel:BYTE_0 src1_sel:DWORD
	s_and_b64 vcc, exec, s[0:1]
	s_cbranch_vccnz .LBB15_1284
; %bb.1282:
	v_cmp_gt_i16_sdwa s[0:1], s22, v3 src0_sel:BYTE_0 src1_sel:DWORD
	s_and_b64 vcc, exec, s[0:1]
	s_cbranch_vccz .LBB15_1285
; %bb.1283:
	global_load_dwordx2 v[16:17], v[0:1], off
	s_mov_b64 s[0:1], 0
	s_branch .LBB15_1286
.LBB15_1284:
	s_mov_b64 s[0:1], -1
                                        ; implicit-def: $vgpr16_vgpr17
	s_branch .LBB15_1289
.LBB15_1285:
	s_mov_b64 s[0:1], -1
                                        ; implicit-def: $vgpr16_vgpr17
.LBB15_1286:
	s_andn2_b64 vcc, exec, s[0:1]
	s_cbranch_vccnz .LBB15_1288
; %bb.1287:
	global_load_dword v3, v[0:1], off
	s_waitcnt vmcnt(0)
	v_cvt_f64_f32_e32 v[16:17], v3
.LBB15_1288:
	s_mov_b64 s[0:1], 0
.LBB15_1289:
	s_andn2_b64 vcc, exec, s[0:1]
	s_cbranch_vccnz .LBB15_1291
; %bb.1290:
	global_load_ushort v3, v[0:1], off
	s_waitcnt vmcnt(0)
	v_cvt_f32_f16_e32 v3, v3
	v_cvt_f64_f32_e32 v[16:17], v3
.LBB15_1291:
	s_cbranch_execnz .LBB15_1310
.LBB15_1292:
	v_mov_b32_e32 v3, 2
	v_cmp_lt_i16_sdwa s[0:1], s22, v3 src0_sel:BYTE_0 src1_sel:DWORD
	s_and_b64 vcc, exec, s[0:1]
	s_cbranch_vccnz .LBB15_1296
; %bb.1293:
	v_mov_b32_e32 v3, 3
	v_cmp_lt_i16_sdwa s[0:1], s22, v3 src0_sel:BYTE_0 src1_sel:DWORD
	s_and_b64 vcc, exec, s[0:1]
	s_cbranch_vccnz .LBB15_1297
; %bb.1294:
	v_cmp_gt_i16_sdwa s[0:1], s22, v3 src0_sel:BYTE_0 src1_sel:DWORD
	s_and_b64 vcc, exec, s[0:1]
	s_cbranch_vccz .LBB15_1298
; %bb.1295:
	global_load_dwordx2 v[16:17], v[0:1], off
	s_mov_b64 s[0:1], 0
	s_waitcnt vmcnt(0)
	v_cvt_f64_i32_e32 v[18:19], v17
	v_cvt_f64_u32_e32 v[16:17], v16
	v_ldexp_f64 v[18:19], v[18:19], 32
	v_add_f64 v[16:17], v[18:19], v[16:17]
	s_branch .LBB15_1299
.LBB15_1296:
                                        ; implicit-def: $vgpr16_vgpr17
	s_branch .LBB15_1305
.LBB15_1297:
	s_mov_b64 s[0:1], -1
                                        ; implicit-def: $vgpr16_vgpr17
	s_branch .LBB15_1302
.LBB15_1298:
	s_mov_b64 s[0:1], -1
                                        ; implicit-def: $vgpr16_vgpr17
.LBB15_1299:
	s_andn2_b64 vcc, exec, s[0:1]
	s_cbranch_vccnz .LBB15_1301
; %bb.1300:
	global_load_dword v3, v[0:1], off
	s_waitcnt vmcnt(0)
	v_cvt_f64_i32_e32 v[16:17], v3
.LBB15_1301:
	s_mov_b64 s[0:1], 0
.LBB15_1302:
	s_andn2_b64 vcc, exec, s[0:1]
	s_cbranch_vccnz .LBB15_1304
; %bb.1303:
	global_load_sshort v3, v[0:1], off
	s_waitcnt vmcnt(0)
	v_cvt_f64_i32_e32 v[16:17], v3
.LBB15_1304:
	s_cbranch_execnz .LBB15_1310
.LBB15_1305:
	v_mov_b32_e32 v3, 0
	v_cmp_gt_i16_sdwa s[0:1], s22, v3 src0_sel:BYTE_0 src1_sel:DWORD
	s_and_b64 vcc, exec, s[0:1]
	s_cbranch_vccz .LBB15_1307
; %bb.1306:
	global_load_sbyte v3, v[0:1], off
	s_mov_b64 s[0:1], 0
	s_waitcnt vmcnt(0)
	v_cvt_f64_i32_e32 v[16:17], v3
	s_branch .LBB15_1308
.LBB15_1307:
	s_mov_b64 s[0:1], -1
                                        ; implicit-def: $vgpr16_vgpr17
.LBB15_1308:
	s_andn2_b64 vcc, exec, s[0:1]
	s_cbranch_vccnz .LBB15_1310
; %bb.1309:
	global_load_ubyte v0, v[0:1], off
	s_waitcnt vmcnt(0)
	v_cvt_f64_u32_e32 v[16:17], v0
.LBB15_1310:
.LBB15_1311:
	s_load_dwordx2 s[0:1], s[34:35], 0x160
	s_movk_i32 s4, 0xffe0
	s_waitcnt lgkmcnt(0)
	v_trunc_f64_e32 v[0:1], s[0:1]
	v_ldexp_f64 v[18:19], v[0:1], s4
	v_floor_f64_e32 v[18:19], v[18:19]
	v_fmac_f64_e32 v[0:1], 0xc1f00000, v[18:19]
	v_cvt_i32_f64_e32 v3, v[18:19]
	v_cvt_u32_f64_e32 v0, v[0:1]
	v_readfirstlane_b32 s5, v3
	v_readfirstlane_b32 s4, v0
	v_cmp_lt_i64_e64 s[0:1], s[4:5], 0
	v_cmp_gt_i64_e64 s[6:7], s[4:5], -1
	s_and_b64 vcc, exec, s[0:1]
	v_pk_mov_b32 v[0:1], 0, 0
	s_cbranch_vccnz .LBB15_1321
; %bb.1312:
	v_cmp_lt_i64_e64 s[0:1], s[4:5], 1
	v_mov_b32_e32 v0, 0
	s_and_b64 vcc, exec, s[0:1]
	v_mov_b32_e32 v1, 0x3ff00000
	s_cbranch_vccnz .LBB15_1321
; %bb.1313:
	s_cmp_lg_u64 s[4:5], 1
	s_cbranch_scc0 .LBB15_1318
; %bb.1314:
	v_mov_b32_e32 v0, 0x200
	v_mov_b32_e32 v1, 0
	v_cmp_gt_u64_e32 vcc, s[4:5], v[0:1]
	v_mov_b32_e32 v0, 0
	v_mov_b32_e32 v1, 0x7ff80000
	s_cbranch_vccnz .LBB15_1317
; %bb.1315:
	v_mov_b32_e32 v18, 0
	s_mov_b64 s[0:1], 1
	v_mov_b32_e32 v19, 0x3ff00000
	s_waitcnt vmcnt(0)
	v_pk_mov_b32 v[0:1], v[16:17], v[16:17] op_sel:[0,1]
.LBB15_1316:                            ; =>This Inner Loop Header: Depth=1
	v_cvt_f64_u32_e32 v[20:21], s1
	v_cvt_f64_u32_e32 v[22:23], s0
	v_ldexp_f64 v[20:21], v[20:21], 32
	s_add_u32 s0, s0, 1
	v_add_f64 v[20:21], v[20:21], v[22:23]
	s_addc_u32 s1, s1, 0
	v_mul_f64 v[20:21], v[18:19], v[20:21]
	s_cmp_lg_u64 s[4:5], s[0:1]
	v_pk_mov_b32 v[18:19], v[0:1], v[0:1] op_sel:[0,1]
	v_fma_f64 v[0:1], v[16:17], v[0:1], -v[20:21]
	s_cbranch_scc1 .LBB15_1316
.LBB15_1317:
	s_mov_b64 s[0:1], 0
	s_branch .LBB15_1319
.LBB15_1318:
	s_mov_b64 s[0:1], -1
                                        ; implicit-def: $vgpr0_vgpr1
.LBB15_1319:
	s_andn2_b64 vcc, exec, s[0:1]
	s_cbranch_vccnz .LBB15_1321
; %bb.1320:
	s_waitcnt vmcnt(0)
	v_pk_mov_b32 v[0:1], v[16:17], v[16:17] op_sel:[0,1]
.LBB15_1321:
	v_mov_b32_e32 v3, s11
	s_waitcnt vmcnt(0)
	v_add_co_u32_e32 v4, vcc, s10, v4
	v_addc_co_u32_e32 v5, vcc, 0, v3, vcc
	v_mov_b32_e32 v3, 11
	v_cmp_lt_i16_sdwa s[0:1], s22, v3 src0_sel:BYTE_0 src1_sel:DWORD
	s_and_b64 vcc, exec, s[0:1]
	s_cbranch_vccnz .LBB15_1328
; %bb.1322:
	v_mov_b32_e32 v3, 25
	v_cmp_gt_i16_sdwa s[0:1], s22, v3 src0_sel:BYTE_0 src1_sel:DWORD
	s_mov_b64 s[12:13], 0
	s_and_b64 vcc, exec, s[0:1]
	s_cbranch_vccz .LBB15_1330
; %bb.1323:
	v_mov_b32_e32 v3, 28
	v_cmp_gt_i16_sdwa s[0:1], s22, v3 src0_sel:BYTE_0 src1_sel:DWORD
	s_and_b64 vcc, exec, s[0:1]
	s_cbranch_vccz .LBB15_1331
; %bb.1324:
	v_mov_b32_e32 v3, 43
	v_cmp_gt_i16_sdwa s[0:1], s22, v3 src0_sel:BYTE_0 src1_sel:DWORD
	;; [unrolled: 5-line block ×3, first 2 shown]
	s_and_b64 vcc, exec, s[0:1]
	s_cbranch_vccz .LBB15_1334
; %bb.1326:
	v_mov_b32_e32 v3, 46
	v_cmp_eq_u16_sdwa s[0:1], s22, v3 src0_sel:BYTE_0 src1_sel:DWORD
	s_mov_b64 s[16:17], 0
	s_and_b64 vcc, exec, s[0:1]
	s_cbranch_vccz .LBB15_1337
; %bb.1327:
	global_load_dword v3, v[4:5], off
	s_mov_b64 s[0:1], 0
	s_mov_b64 s[14:15], -1
	s_waitcnt vmcnt(0)
	v_lshlrev_b32_e32 v3, 16, v3
	v_cvt_f64_f32_e32 v[16:17], v3
	s_branch .LBB15_1338
.LBB15_1328:
	s_mov_b64 s[14:15], 0
                                        ; implicit-def: $vgpr16_vgpr17
	s_cbranch_execnz .LBB15_1403
.LBB15_1329:
	s_andn2_b64 vcc, exec, s[14:15]
	s_cbranch_vccnz .LBB15_1736
	s_branch .LBB15_1450
.LBB15_1330:
	s_mov_b64 s[14:15], 0
	s_mov_b64 s[0:1], 0
                                        ; implicit-def: $vgpr16_vgpr17
	s_cbranch_execnz .LBB15_1367
	s_branch .LBB15_1399
.LBB15_1331:
	s_mov_b64 s[16:17], -1
	s_mov_b64 s[14:15], 0
	s_mov_b64 s[0:1], 0
                                        ; implicit-def: $vgpr16_vgpr17
	s_branch .LBB15_1348
.LBB15_1332:
	s_mov_b64 s[16:17], -1
	s_mov_b64 s[14:15], 0
	s_mov_b64 s[0:1], 0
                                        ; implicit-def: $vgpr16_vgpr17
	s_branch .LBB15_1343
.LBB15_1333:
	s_or_b64 s[2:3], s[28:29], exec
	s_trap 2
                                        ; implicit-def: $vgpr16_vgpr17
	s_cbranch_execz .LBB15_1264
	s_branch .LBB15_1265
.LBB15_1334:
	s_mov_b64 s[16:17], -1
	s_mov_b64 s[14:15], 0
	s_mov_b64 s[0:1], 0
                                        ; implicit-def: $vgpr16_vgpr17
	s_branch .LBB15_1338
.LBB15_1335:
	s_or_saveexec_b64 s[16:17], s[16:17]
                                        ; implicit-def: $sgpr18
	s_xor_b64 exec, exec, s[16:17]
	s_cbranch_execz .LBB15_1054
.LBB15_1336:
	s_mov_b32 s18, 0x42800000
	v_add_f32_e64 v3, |v2|, s18
	v_and_b32_e32 v3, 0xff, v3
	v_cmp_ne_u32_e32 vcc, 0, v3
	s_andn2_b64 s[14:15], s[14:15], exec
	s_and_b64 s[20:21], vcc, exec
	s_mov_b32 s18, 0
	s_or_b64 s[14:15], s[14:15], s[20:21]
	s_or_b64 exec, exec, s[16:17]
	v_mov_b32_e32 v6, s18
	s_and_saveexec_b64 s[16:17], s[14:15]
	s_cbranch_execnz .LBB15_1055
	s_branch .LBB15_1056
.LBB15_1337:
	s_mov_b64 s[0:1], -1
                                        ; implicit-def: $vgpr16_vgpr17
	s_mov_b64 s[14:15], 0
.LBB15_1338:
	s_and_b64 vcc, exec, s[16:17]
	s_cbranch_vccz .LBB15_1342
; %bb.1339:
	v_mov_b32_e32 v3, 44
	v_cmp_eq_u16_sdwa s[0:1], s22, v3 src0_sel:BYTE_0 src1_sel:DWORD
	s_and_b64 vcc, exec, s[0:1]
	s_cbranch_vccz .LBB15_1341
; %bb.1340:
	global_load_ubyte v3, v[4:5], off
	s_movk_i32 s14, 0xff
	v_bfrev_b32_e32 v7, 4
	v_mov_b32_e32 v9, 0x7ff80000
	v_bfrev_b32_e32 v11, 28
	s_mov_b64 s[0:1], 0
	s_waitcnt vmcnt(0)
	v_lshlrev_b32_e32 v13, 23, v3
	v_cvt_f64_f32_e32 v[16:17], v13
	v_cmp_ne_u32_e32 vcc, s14, v3
	v_cndmask_b32_e32 v7, v7, v16, vcc
	v_cndmask_b32_e32 v9, v9, v17, vcc
	v_cmp_ne_u32_e32 vcc, 0, v3
	v_cndmask_b32_e32 v17, v11, v9, vcc
	v_cndmask_b32_e32 v16, 0, v7, vcc
	s_mov_b64 s[14:15], -1
	s_branch .LBB15_1342
.LBB15_1341:
	s_mov_b64 s[0:1], -1
                                        ; implicit-def: $vgpr16_vgpr17
.LBB15_1342:
	s_mov_b64 s[16:17], 0
.LBB15_1343:
	s_and_b64 vcc, exec, s[16:17]
	s_cbranch_vccz .LBB15_1347
; %bb.1344:
	v_mov_b32_e32 v3, 29
	v_cmp_eq_u16_sdwa s[0:1], s22, v3 src0_sel:BYTE_0 src1_sel:DWORD
	s_and_b64 vcc, exec, s[0:1]
	s_cbranch_vccz .LBB15_1346
; %bb.1345:
	global_load_dwordx2 v[16:17], v[4:5], off
	s_mov_b64 s[0:1], 0
	s_mov_b64 s[14:15], -1
	s_mov_b64 s[16:17], 0
	s_waitcnt vmcnt(0)
	v_cvt_f64_u32_e32 v[18:19], v17
	v_cvt_f64_u32_e32 v[16:17], v16
	v_ldexp_f64 v[18:19], v[18:19], 32
	v_add_f64 v[16:17], v[18:19], v[16:17]
	s_branch .LBB15_1348
.LBB15_1346:
	s_mov_b64 s[0:1], -1
                                        ; implicit-def: $vgpr16_vgpr17
.LBB15_1347:
	s_mov_b64 s[16:17], 0
.LBB15_1348:
	s_and_b64 vcc, exec, s[16:17]
	s_cbranch_vccz .LBB15_1366
; %bb.1349:
	v_mov_b32_e32 v3, 27
	v_cmp_lt_i16_sdwa s[14:15], s22, v3 src0_sel:BYTE_0 src1_sel:DWORD
	s_and_b64 vcc, exec, s[14:15]
	s_cbranch_vccnz .LBB15_1352
; %bb.1350:
	v_cmp_gt_i16_sdwa s[14:15], s22, v3 src0_sel:BYTE_0 src1_sel:DWORD
	s_and_b64 vcc, exec, s[14:15]
	s_cbranch_vccz .LBB15_1353
; %bb.1351:
	global_load_dword v3, v[4:5], off
	s_mov_b64 s[14:15], 0
	s_waitcnt vmcnt(0)
	v_cvt_f64_u32_e32 v[16:17], v3
	s_branch .LBB15_1354
.LBB15_1352:
	s_mov_b64 s[14:15], -1
                                        ; implicit-def: $vgpr16_vgpr17
	s_branch .LBB15_1357
.LBB15_1353:
	s_mov_b64 s[14:15], -1
                                        ; implicit-def: $vgpr16_vgpr17
.LBB15_1354:
	s_andn2_b64 vcc, exec, s[14:15]
	s_cbranch_vccnz .LBB15_1356
; %bb.1355:
	global_load_ushort v3, v[4:5], off
	s_waitcnt vmcnt(0)
	v_cvt_f64_u32_e32 v[16:17], v3
.LBB15_1356:
	s_mov_b64 s[14:15], 0
.LBB15_1357:
	s_andn2_b64 vcc, exec, s[14:15]
	s_cbranch_vccnz .LBB15_1365
; %bb.1358:
	global_load_ubyte v3, v[4:5], off
	s_movk_i32 s14, 0x7f
                                        ; implicit-def: $sgpr16_sgpr17
	s_waitcnt vmcnt(0)
	v_cmp_lt_i16_e32 vcc, s14, v3
	s_mov_b64 s[14:15], 0
	s_and_saveexec_b64 s[18:19], vcc
	s_xor_b64 s[18:19], exec, s[18:19]
	s_cbranch_execz .LBB15_1378
; %bb.1359:
	s_movk_i32 s14, 0x80
	v_cmp_eq_u16_e32 vcc, s14, v3
	s_mov_b64 s[20:21], -1
                                        ; implicit-def: $sgpr16_sgpr17
	s_and_saveexec_b64 s[14:15], vcc
; %bb.1360:
	s_mov_b32 s17, 0x7ff80000
	s_brev_b32 s16, 4
	s_xor_b64 s[20:21], exec, -1
; %bb.1361:
	s_or_b64 exec, exec, s[14:15]
	s_and_b64 s[14:15], s[20:21], exec
	s_or_saveexec_b64 s[18:19], s[18:19]
	v_pk_mov_b32 v[16:17], s[16:17], s[16:17] op_sel:[0,1]
	s_xor_b64 exec, exec, s[18:19]
	s_cbranch_execnz .LBB15_1379
.LBB15_1362:
	s_or_b64 exec, exec, s[18:19]
	s_and_saveexec_b64 s[16:17], s[14:15]
	s_cbranch_execz .LBB15_1364
.LBB15_1363:
	v_lshlrev_b32_e32 v7, 24, v3
	v_and_b32_e32 v3, 0xffff, v3
	v_and_b32_e32 v9, 7, v3
	v_ffbh_u32_e32 v13, v9
	v_min_u32_e32 v13, 32, v13
	v_subrev_u32_e32 v15, 28, v13
	v_bfe_u32 v11, v3, 3, 4
	v_lshlrev_b32_e32 v3, v15, v3
	v_sub_u32_e32 v13, 29, v13
	v_and_b32_e32 v3, 7, v3
	v_cmp_eq_u32_e32 vcc, 0, v11
	v_cndmask_b32_e32 v11, v11, v13, vcc
	v_cndmask_b32_e32 v3, v9, v3, vcc
	v_mov_b32_e32 v9, 0x3b800000
	v_lshlrev_b32_e32 v3, 20, v3
	v_and_b32_e32 v7, 0x80000000, v7
	v_lshl_add_u32 v9, v11, 23, v9
	v_or3_b32 v3, v7, v9, v3
	v_cvt_f64_f32_e32 v[16:17], v3
.LBB15_1364:
	s_or_b64 exec, exec, s[16:17]
.LBB15_1365:
	s_mov_b64 s[14:15], -1
.LBB15_1366:
	s_branch .LBB15_1399
.LBB15_1367:
	v_mov_b32_e32 v3, 22
	v_cmp_gt_i16_sdwa s[12:13], s22, v3 src0_sel:BYTE_0 src1_sel:DWORD
	s_and_b64 vcc, exec, s[12:13]
	s_cbranch_vccz .LBB15_1377
; %bb.1368:
	v_mov_b32_e32 v3, 24
	v_cmp_lt_i16_sdwa s[12:13], s22, v3 src0_sel:BYTE_0 src1_sel:DWORD
	s_and_b64 vcc, exec, s[12:13]
	s_cbranch_vccnz .LBB15_1380
; %bb.1369:
	v_cmp_gt_i16_sdwa s[12:13], s22, v3 src0_sel:BYTE_0 src1_sel:DWORD
	s_and_b64 vcc, exec, s[12:13]
	s_cbranch_vccz .LBB15_1381
; %bb.1370:
	global_load_ubyte v3, v[4:5], off
	s_movk_i32 s12, 0x7f
                                        ; implicit-def: $sgpr14_sgpr15
	s_waitcnt vmcnt(0)
	v_cmp_lt_i16_e32 vcc, s12, v3
	s_mov_b64 s[12:13], 0
	s_and_saveexec_b64 s[16:17], vcc
	s_xor_b64 s[16:17], exec, s[16:17]
	s_cbranch_execz .LBB15_1393
; %bb.1371:
	s_movk_i32 s12, 0x80
	v_cmp_eq_u16_e32 vcc, s12, v3
	s_mov_b64 s[18:19], -1
                                        ; implicit-def: $sgpr14_sgpr15
	s_and_saveexec_b64 s[12:13], vcc
; %bb.1372:
	s_mov_b32 s15, 0x7ff80000
	s_brev_b32 s14, 4
	s_xor_b64 s[18:19], exec, -1
; %bb.1373:
	s_or_b64 exec, exec, s[12:13]
	s_and_b64 s[12:13], s[18:19], exec
	s_or_saveexec_b64 s[16:17], s[16:17]
	v_pk_mov_b32 v[16:17], s[14:15], s[14:15] op_sel:[0,1]
	s_xor_b64 exec, exec, s[16:17]
	s_cbranch_execnz .LBB15_1394
.LBB15_1374:
	s_or_b64 exec, exec, s[16:17]
	s_and_saveexec_b64 s[14:15], s[12:13]
	s_cbranch_execz .LBB15_1376
.LBB15_1375:
	v_lshlrev_b32_e32 v7, 24, v3
	v_and_b32_e32 v3, 0xffff, v3
	v_and_b32_e32 v9, 3, v3
	v_ffbh_u32_e32 v13, v9
	v_min_u32_e32 v13, 32, v13
	v_subrev_u32_e32 v15, 29, v13
	v_bfe_u32 v11, v3, 2, 5
	v_lshlrev_b32_e32 v3, v15, v3
	v_sub_u32_e32 v13, 30, v13
	v_and_b32_e32 v3, 3, v3
	v_cmp_eq_u32_e32 vcc, 0, v11
	v_cndmask_b32_e32 v11, v11, v13, vcc
	v_cndmask_b32_e32 v3, v9, v3, vcc
	v_mov_b32_e32 v9, 0x37800000
	v_lshlrev_b32_e32 v3, 21, v3
	v_and_b32_e32 v7, 0x80000000, v7
	v_lshl_add_u32 v9, v11, 23, v9
	v_or3_b32 v3, v7, v9, v3
	v_cvt_f64_f32_e32 v[16:17], v3
.LBB15_1376:
	s_or_b64 exec, exec, s[14:15]
	s_mov_b64 s[12:13], 0
	s_branch .LBB15_1382
.LBB15_1377:
	s_mov_b64 s[12:13], -1
                                        ; implicit-def: $vgpr16_vgpr17
	s_branch .LBB15_1388
.LBB15_1378:
	s_or_saveexec_b64 s[18:19], s[18:19]
	v_pk_mov_b32 v[16:17], s[16:17], s[16:17] op_sel:[0,1]
	s_xor_b64 exec, exec, s[18:19]
	s_cbranch_execz .LBB15_1362
.LBB15_1379:
	v_cmp_ne_u16_e32 vcc, 0, v3
	s_andn2_b64 s[14:15], s[14:15], exec
	s_and_b64 s[16:17], vcc, exec
	v_pk_mov_b32 v[16:17], 0, 0
	s_or_b64 s[14:15], s[14:15], s[16:17]
	s_or_b64 exec, exec, s[18:19]
	s_and_saveexec_b64 s[16:17], s[14:15]
	s_cbranch_execnz .LBB15_1363
	s_branch .LBB15_1364
.LBB15_1380:
	s_mov_b64 s[12:13], -1
                                        ; implicit-def: $vgpr16_vgpr17
	s_branch .LBB15_1385
.LBB15_1381:
	s_mov_b64 s[12:13], -1
                                        ; implicit-def: $vgpr16_vgpr17
.LBB15_1382:
	s_and_b64 vcc, exec, s[12:13]
	s_cbranch_vccz .LBB15_1384
; %bb.1383:
	global_load_ubyte v3, v[4:5], off
	s_mov_b32 s12, 0x7f800000
	s_waitcnt vmcnt(0)
	v_lshlrev_b32_e32 v3, 24, v3
	v_and_b32_e32 v7, 0x7f000000, v3
	v_ffbh_u32_e32 v9, v7
	v_min_u32_e32 v9, 32, v9
	v_sub_u32_e64 v9, v9, 4 clamp
	v_lshlrev_b32_e32 v13, v9, v7
	v_lshlrev_b32_e32 v9, 23, v9
	v_lshrrev_b32_e32 v13, 4, v13
	v_add_u32_e32 v11, 0x1000000, v7
	v_sub_u32_e32 v9, v13, v9
	v_ashrrev_i32_e32 v11, 8, v11
	v_add_u32_e32 v9, 0x3c000000, v9
	v_and_or_b32 v9, v11, s12, v9
	v_cmp_ne_u32_e32 vcc, 0, v7
	v_cndmask_b32_e32 v7, 0, v9, vcc
	s_brev_b32 s12, 1
	v_and_or_b32 v3, v3, s12, v7
	v_cvt_f64_f32_e32 v[16:17], v3
.LBB15_1384:
	s_mov_b64 s[12:13], 0
.LBB15_1385:
	s_andn2_b64 vcc, exec, s[12:13]
	s_cbranch_vccnz .LBB15_1387
; %bb.1386:
	global_load_ubyte v3, v[4:5], off
	s_movk_i32 s12, 0x7f00
	s_brev_b32 s13, 16
	s_waitcnt vmcnt(0)
	v_lshlrev_b16_e32 v7, 8, v3
	v_lshlrev_b32_e32 v3, 25, v3
	v_lshrrev_b32_e32 v9, 4, v3
	v_and_or_b32 v11, v7, s12, 0.5
	v_or_b32_e32 v9, 0x70000000, v9
	v_add_f32_e32 v11, -0.5, v11
	v_mul_f32_e32 v9, 0x7800000, v9
	v_cmp_gt_u32_e32 vcc, s13, v3
	v_bfe_i32 v7, v7, 0, 16
	v_cndmask_b32_e32 v3, v9, v11, vcc
	s_brev_b32 s12, 1
	v_and_or_b32 v3, v7, s12, v3
	v_cvt_f64_f32_e32 v[16:17], v3
.LBB15_1387:
	s_mov_b64 s[12:13], 0
	s_mov_b64 s[14:15], -1
.LBB15_1388:
	s_andn2_b64 vcc, exec, s[12:13]
	s_mov_b64 s[12:13], 0
	s_cbranch_vccnz .LBB15_1399
; %bb.1389:
	v_mov_b32_e32 v3, 14
	v_cmp_gt_i16_sdwa s[12:13], s22, v3 src0_sel:BYTE_0 src1_sel:DWORD
	s_and_b64 vcc, exec, s[12:13]
	s_cbranch_vccz .LBB15_1392
; %bb.1390:
	v_mov_b32_e32 v3, 15
	v_cmp_eq_u16_sdwa s[0:1], s22, v3 src0_sel:BYTE_0 src1_sel:DWORD
	s_and_b64 vcc, exec, s[0:1]
	s_cbranch_vccz .LBB15_1395
; %bb.1391:
	global_load_ushort v3, v[4:5], off
	s_mov_b64 s[0:1], 0
	s_mov_b64 s[14:15], -1
	s_waitcnt vmcnt(0)
	v_lshlrev_b32_e32 v3, 16, v3
	v_cvt_f64_f32_e32 v[16:17], v3
	s_branch .LBB15_1396
.LBB15_1392:
	s_mov_b64 s[16:17], -1
                                        ; implicit-def: $vgpr16_vgpr17
	s_branch .LBB15_1397
.LBB15_1393:
	s_or_saveexec_b64 s[16:17], s[16:17]
	v_pk_mov_b32 v[16:17], s[14:15], s[14:15] op_sel:[0,1]
	s_xor_b64 exec, exec, s[16:17]
	s_cbranch_execz .LBB15_1374
.LBB15_1394:
	v_cmp_ne_u16_e32 vcc, 0, v3
	s_andn2_b64 s[12:13], s[12:13], exec
	s_and_b64 s[14:15], vcc, exec
	v_pk_mov_b32 v[16:17], 0, 0
	s_or_b64 s[12:13], s[12:13], s[14:15]
	s_or_b64 exec, exec, s[16:17]
	s_and_saveexec_b64 s[14:15], s[12:13]
	s_cbranch_execnz .LBB15_1375
	s_branch .LBB15_1376
.LBB15_1395:
	s_mov_b64 s[0:1], -1
                                        ; implicit-def: $vgpr16_vgpr17
.LBB15_1396:
	s_mov_b64 s[16:17], 0
.LBB15_1397:
	s_mov_b64 s[12:13], 0
	s_and_b64 vcc, exec, s[16:17]
	s_cbranch_vccz .LBB15_1399
; %bb.1398:
	v_mov_b32_e32 v3, 11
	v_cmp_ne_u16_sdwa s[0:1], s22, v3 src0_sel:BYTE_0 src1_sel:DWORD
	s_mov_b64 s[12:13], -1
                                        ; implicit-def: $vgpr16_vgpr17
.LBB15_1399:
	s_and_b64 vcc, exec, s[0:1]
	s_cbranch_vccnz .LBB15_1472
; %bb.1400:
	s_andn2_b64 vcc, exec, s[12:13]
	s_cbranch_vccnz .LBB15_1402
.LBB15_1401:
	global_load_ubyte v3, v[4:5], off
	v_mov_b32_e32 v7, 0x3ff00000
	v_mov_b32_e32 v16, 0
	s_mov_b64 s[14:15], -1
	s_waitcnt vmcnt(0)
	v_cmp_ne_u16_e32 vcc, 0, v3
	v_cndmask_b32_e32 v17, 0, v7, vcc
.LBB15_1402:
	s_branch .LBB15_1329
.LBB15_1403:
	v_mov_b32_e32 v3, 5
	v_cmp_lt_i16_sdwa s[0:1], s22, v3 src0_sel:BYTE_0 src1_sel:DWORD
	s_and_b64 vcc, exec, s[0:1]
	s_cbranch_vccnz .LBB15_1408
; %bb.1404:
	v_mov_b32_e32 v3, 8
	v_cmp_lt_i16_sdwa s[0:1], s22, v3 src0_sel:BYTE_0 src1_sel:DWORD
	s_and_b64 vcc, exec, s[0:1]
	s_cbranch_vccnz .LBB15_1409
; %bb.1405:
	;; [unrolled: 5-line block ×3, first 2 shown]
	v_cmp_gt_i16_sdwa s[0:1], s22, v3 src0_sel:BYTE_0 src1_sel:DWORD
	s_and_b64 vcc, exec, s[0:1]
	s_cbranch_vccz .LBB15_1411
; %bb.1407:
	global_load_dwordx2 v[16:17], v[4:5], off
	s_mov_b64 s[0:1], 0
	s_branch .LBB15_1412
.LBB15_1408:
                                        ; implicit-def: $vgpr16_vgpr17
	s_branch .LBB15_1430
.LBB15_1409:
	s_mov_b64 s[0:1], -1
                                        ; implicit-def: $vgpr16_vgpr17
	s_branch .LBB15_1418
.LBB15_1410:
	s_mov_b64 s[0:1], -1
                                        ; implicit-def: $vgpr16_vgpr17
	s_branch .LBB15_1415
.LBB15_1411:
	s_mov_b64 s[0:1], -1
                                        ; implicit-def: $vgpr16_vgpr17
.LBB15_1412:
	s_andn2_b64 vcc, exec, s[0:1]
	s_cbranch_vccnz .LBB15_1414
; %bb.1413:
	global_load_dword v3, v[4:5], off
	s_waitcnt vmcnt(0)
	v_cvt_f64_f32_e32 v[16:17], v3
.LBB15_1414:
	s_mov_b64 s[0:1], 0
.LBB15_1415:
	s_andn2_b64 vcc, exec, s[0:1]
	s_cbranch_vccnz .LBB15_1417
; %bb.1416:
	global_load_dword v3, v[4:5], off
	s_waitcnt vmcnt(0)
	v_cvt_f32_f16_e32 v3, v3
	v_cvt_f64_f32_e32 v[16:17], v3
.LBB15_1417:
	s_mov_b64 s[0:1], 0
.LBB15_1418:
	s_andn2_b64 vcc, exec, s[0:1]
	s_cbranch_vccnz .LBB15_1429
; %bb.1419:
	v_mov_b32_e32 v3, 6
	v_cmp_lt_i16_sdwa s[0:1], s22, v3 src0_sel:BYTE_0 src1_sel:DWORD
	s_and_b64 vcc, exec, s[0:1]
	s_cbranch_vccnz .LBB15_1422
; %bb.1420:
	v_cmp_gt_i16_sdwa s[0:1], s22, v3 src0_sel:BYTE_0 src1_sel:DWORD
	s_and_b64 vcc, exec, s[0:1]
	s_cbranch_vccz .LBB15_1423
; %bb.1421:
	global_load_dwordx2 v[16:17], v[4:5], off
	s_mov_b64 s[0:1], 0
	s_branch .LBB15_1424
.LBB15_1422:
	s_mov_b64 s[0:1], -1
                                        ; implicit-def: $vgpr16_vgpr17
	s_branch .LBB15_1427
.LBB15_1423:
	s_mov_b64 s[0:1], -1
                                        ; implicit-def: $vgpr16_vgpr17
.LBB15_1424:
	s_andn2_b64 vcc, exec, s[0:1]
	s_cbranch_vccnz .LBB15_1426
; %bb.1425:
	global_load_dword v3, v[4:5], off
	s_waitcnt vmcnt(0)
	v_cvt_f64_f32_e32 v[16:17], v3
.LBB15_1426:
	s_mov_b64 s[0:1], 0
.LBB15_1427:
	s_andn2_b64 vcc, exec, s[0:1]
	s_cbranch_vccnz .LBB15_1429
; %bb.1428:
	global_load_ushort v3, v[4:5], off
	s_waitcnt vmcnt(0)
	v_cvt_f32_f16_e32 v3, v3
	v_cvt_f64_f32_e32 v[16:17], v3
.LBB15_1429:
	s_cbranch_execnz .LBB15_1449
.LBB15_1430:
	v_mov_b32_e32 v3, 2
	v_cmp_lt_i16_sdwa s[0:1], s22, v3 src0_sel:BYTE_0 src1_sel:DWORD
	s_and_b64 vcc, exec, s[0:1]
	s_cbranch_vccnz .LBB15_1434
; %bb.1431:
	v_mov_b32_e32 v3, 3
	v_cmp_lt_i16_sdwa s[0:1], s22, v3 src0_sel:BYTE_0 src1_sel:DWORD
	s_and_b64 vcc, exec, s[0:1]
	s_cbranch_vccnz .LBB15_1435
; %bb.1432:
	v_cmp_gt_i16_sdwa s[0:1], s22, v3 src0_sel:BYTE_0 src1_sel:DWORD
	s_and_b64 vcc, exec, s[0:1]
	s_cbranch_vccz .LBB15_1436
; %bb.1433:
	global_load_dwordx2 v[16:17], v[4:5], off
	s_mov_b64 s[0:1], 0
	s_waitcnt vmcnt(0)
	v_cvt_f64_i32_e32 v[18:19], v17
	v_cvt_f64_u32_e32 v[16:17], v16
	v_ldexp_f64 v[18:19], v[18:19], 32
	v_add_f64 v[16:17], v[18:19], v[16:17]
	s_branch .LBB15_1437
.LBB15_1434:
	s_mov_b64 s[0:1], -1
                                        ; implicit-def: $vgpr16_vgpr17
	s_branch .LBB15_1443
.LBB15_1435:
	s_mov_b64 s[0:1], -1
                                        ; implicit-def: $vgpr16_vgpr17
	s_branch .LBB15_1440
.LBB15_1436:
	s_mov_b64 s[0:1], -1
                                        ; implicit-def: $vgpr16_vgpr17
.LBB15_1437:
	s_andn2_b64 vcc, exec, s[0:1]
	s_cbranch_vccnz .LBB15_1439
; %bb.1438:
	global_load_dword v3, v[4:5], off
	s_waitcnt vmcnt(0)
	v_cvt_f64_i32_e32 v[16:17], v3
.LBB15_1439:
	s_mov_b64 s[0:1], 0
.LBB15_1440:
	s_andn2_b64 vcc, exec, s[0:1]
	s_cbranch_vccnz .LBB15_1442
; %bb.1441:
	global_load_sshort v3, v[4:5], off
	s_waitcnt vmcnt(0)
	v_cvt_f64_i32_e32 v[16:17], v3
.LBB15_1442:
	s_mov_b64 s[0:1], 0
.LBB15_1443:
	s_andn2_b64 vcc, exec, s[0:1]
	s_cbranch_vccnz .LBB15_1449
; %bb.1444:
	v_mov_b32_e32 v3, 0
	v_cmp_gt_i16_sdwa s[0:1], s22, v3 src0_sel:BYTE_0 src1_sel:DWORD
	s_and_b64 vcc, exec, s[0:1]
	s_cbranch_vccz .LBB15_1446
; %bb.1445:
	global_load_sbyte v3, v[4:5], off
	s_mov_b64 s[0:1], 0
	s_waitcnt vmcnt(0)
	v_cvt_f64_i32_e32 v[16:17], v3
	s_branch .LBB15_1447
.LBB15_1446:
	s_mov_b64 s[0:1], -1
                                        ; implicit-def: $vgpr16_vgpr17
.LBB15_1447:
	s_andn2_b64 vcc, exec, s[0:1]
	s_cbranch_vccnz .LBB15_1449
; %bb.1448:
	global_load_ubyte v3, v[4:5], off
	s_waitcnt vmcnt(0)
	v_cvt_f64_u32_e32 v[16:17], v3
.LBB15_1449:
.LBB15_1450:
	v_cndmask_b32_e64 v3, 0, 1, s[6:7]
	v_cmp_ne_u32_e64 s[0:1], 1, v3
	s_andn2_b64 vcc, exec, s[6:7]
	v_pk_mov_b32 v[4:5], 0, 0
	s_cbranch_vccnz .LBB15_1460
; %bb.1451:
	v_cmp_lt_i64_e64 s[6:7], s[4:5], 1
	v_mov_b32_e32 v4, 0
	s_and_b64 vcc, exec, s[6:7]
	v_mov_b32_e32 v5, 0x3ff00000
	s_cbranch_vccnz .LBB15_1460
; %bb.1452:
	s_cmp_lg_u64 s[4:5], 1
	s_cbranch_scc0 .LBB15_1457
; %bb.1453:
	v_mov_b32_e32 v4, 0x200
	v_mov_b32_e32 v5, 0
	v_cmp_gt_u64_e32 vcc, s[4:5], v[4:5]
	v_mov_b32_e32 v4, 0
	v_mov_b32_e32 v5, 0x7ff80000
	s_cbranch_vccnz .LBB15_1456
; %bb.1454:
	v_mov_b32_e32 v18, 0
	s_mov_b64 s[6:7], 1
	v_mov_b32_e32 v19, 0x3ff00000
	s_waitcnt vmcnt(0)
	v_pk_mov_b32 v[4:5], v[16:17], v[16:17] op_sel:[0,1]
.LBB15_1455:                            ; =>This Inner Loop Header: Depth=1
	v_cvt_f64_u32_e32 v[20:21], s7
	v_cvt_f64_u32_e32 v[22:23], s6
	v_ldexp_f64 v[20:21], v[20:21], 32
	s_add_u32 s6, s6, 1
	v_add_f64 v[20:21], v[20:21], v[22:23]
	s_addc_u32 s7, s7, 0
	v_mul_f64 v[20:21], v[18:19], v[20:21]
	s_cmp_lg_u64 s[4:5], s[6:7]
	v_pk_mov_b32 v[18:19], v[4:5], v[4:5] op_sel:[0,1]
	v_fma_f64 v[4:5], v[16:17], v[4:5], -v[20:21]
	s_cbranch_scc1 .LBB15_1455
.LBB15_1456:
	s_mov_b64 s[6:7], 0
	s_branch .LBB15_1458
.LBB15_1457:
	s_mov_b64 s[6:7], -1
                                        ; implicit-def: $vgpr4_vgpr5
.LBB15_1458:
	s_andn2_b64 vcc, exec, s[6:7]
	s_cbranch_vccnz .LBB15_1460
; %bb.1459:
	s_waitcnt vmcnt(0)
	v_pk_mov_b32 v[4:5], v[16:17], v[16:17] op_sel:[0,1]
.LBB15_1460:
	v_mov_b32_e32 v3, s11
	v_add_co_u32_e32 v8, vcc, s10, v8
	v_addc_co_u32_e32 v9, vcc, 0, v3, vcc
	v_mov_b32_e32 v3, 11
	v_cmp_lt_i16_sdwa s[6:7], s22, v3 src0_sel:BYTE_0 src1_sel:DWORD
	s_and_b64 vcc, exec, s[6:7]
	s_cbranch_vccnz .LBB15_1467
; %bb.1461:
	v_mov_b32_e32 v3, 25
	v_cmp_gt_i16_sdwa s[6:7], s22, v3 src0_sel:BYTE_0 src1_sel:DWORD
	s_mov_b64 s[12:13], 0
	s_and_b64 vcc, exec, s[6:7]
	s_cbranch_vccz .LBB15_1469
; %bb.1462:
	v_mov_b32_e32 v3, 28
	v_cmp_gt_i16_sdwa s[6:7], s22, v3 src0_sel:BYTE_0 src1_sel:DWORD
	s_and_b64 vcc, exec, s[6:7]
	s_cbranch_vccz .LBB15_1470
; %bb.1463:
	v_mov_b32_e32 v3, 43
	v_cmp_gt_i16_sdwa s[6:7], s22, v3 src0_sel:BYTE_0 src1_sel:DWORD
	s_and_b64 vcc, exec, s[6:7]
	s_cbranch_vccz .LBB15_1471
; %bb.1464:
	v_mov_b32_e32 v3, 45
	v_cmp_gt_i16_sdwa s[6:7], s22, v3 src0_sel:BYTE_0 src1_sel:DWORD
	s_and_b64 vcc, exec, s[6:7]
	s_cbranch_vccz .LBB15_1473
; %bb.1465:
	v_mov_b32_e32 v3, 46
	v_cmp_eq_u16_sdwa s[6:7], s22, v3 src0_sel:BYTE_0 src1_sel:DWORD
	s_mov_b64 s[16:17], 0
	s_and_b64 vcc, exec, s[6:7]
	s_cbranch_vccz .LBB15_1474
; %bb.1466:
	global_load_dword v3, v[8:9], off
	s_mov_b64 s[6:7], 0
	s_mov_b64 s[14:15], -1
	s_waitcnt vmcnt(0)
	v_lshlrev_b32_e32 v3, 16, v3
	v_cvt_f64_f32_e32 v[16:17], v3
	s_branch .LBB15_1475
.LBB15_1467:
	s_mov_b64 s[14:15], 0
                                        ; implicit-def: $vgpr16_vgpr17
	s_cbranch_execnz .LBB15_1541
.LBB15_1468:
	s_andn2_b64 vcc, exec, s[14:15]
	s_cbranch_vccnz .LBB15_1736
	s_branch .LBB15_1589
.LBB15_1469:
	s_mov_b64 s[16:17], -1
	s_mov_b64 s[14:15], 0
	s_mov_b64 s[6:7], 0
                                        ; implicit-def: $vgpr16_vgpr17
	s_branch .LBB15_1504
.LBB15_1470:
	s_mov_b64 s[16:17], -1
	s_mov_b64 s[14:15], 0
	s_mov_b64 s[6:7], 0
                                        ; implicit-def: $vgpr16_vgpr17
	s_branch .LBB15_1485
.LBB15_1471:
	s_mov_b64 s[16:17], -1
	s_mov_b64 s[14:15], 0
	s_mov_b64 s[6:7], 0
                                        ; implicit-def: $vgpr16_vgpr17
	s_branch .LBB15_1480
.LBB15_1472:
	s_trap 2
	s_or_b64 s[2:3], s[2:3], exec
                                        ; implicit-def: $vgpr16_vgpr17
	s_cbranch_execz .LBB15_1401
	s_branch .LBB15_1402
.LBB15_1473:
	s_mov_b64 s[16:17], -1
	s_mov_b64 s[14:15], 0
	s_mov_b64 s[6:7], 0
                                        ; implicit-def: $vgpr16_vgpr17
	s_branch .LBB15_1475
.LBB15_1474:
	s_mov_b64 s[6:7], -1
                                        ; implicit-def: $vgpr16_vgpr17
	s_mov_b64 s[14:15], 0
.LBB15_1475:
	s_and_b64 vcc, exec, s[16:17]
	s_cbranch_vccz .LBB15_1479
; %bb.1476:
	v_mov_b32_e32 v3, 44
	v_cmp_eq_u16_sdwa s[6:7], s22, v3 src0_sel:BYTE_0 src1_sel:DWORD
	s_and_b64 vcc, exec, s[6:7]
	s_cbranch_vccz .LBB15_1478
; %bb.1477:
	global_load_ubyte v3, v[8:9], off
	s_movk_i32 s14, 0xff
	v_bfrev_b32_e32 v7, 4
	v_mov_b32_e32 v11, 0x7ff80000
	v_bfrev_b32_e32 v13, 28
	s_mov_b64 s[6:7], 0
	s_waitcnt vmcnt(0)
	v_lshlrev_b32_e32 v15, 23, v3
	v_cvt_f64_f32_e32 v[16:17], v15
	v_cmp_ne_u32_e32 vcc, s14, v3
	v_cndmask_b32_e32 v7, v7, v16, vcc
	v_cndmask_b32_e32 v11, v11, v17, vcc
	v_cmp_ne_u32_e32 vcc, 0, v3
	v_cndmask_b32_e32 v17, v13, v11, vcc
	v_cndmask_b32_e32 v16, 0, v7, vcc
	s_mov_b64 s[14:15], -1
	s_branch .LBB15_1479
.LBB15_1478:
	s_mov_b64 s[6:7], -1
                                        ; implicit-def: $vgpr16_vgpr17
.LBB15_1479:
	s_mov_b64 s[16:17], 0
.LBB15_1480:
	s_and_b64 vcc, exec, s[16:17]
	s_cbranch_vccz .LBB15_1484
; %bb.1481:
	v_mov_b32_e32 v3, 29
	v_cmp_eq_u16_sdwa s[6:7], s22, v3 src0_sel:BYTE_0 src1_sel:DWORD
	s_and_b64 vcc, exec, s[6:7]
	s_cbranch_vccz .LBB15_1483
; %bb.1482:
	global_load_dwordx2 v[16:17], v[8:9], off
	s_mov_b64 s[6:7], 0
	s_mov_b64 s[14:15], -1
	s_mov_b64 s[16:17], 0
	s_waitcnt vmcnt(0)
	v_cvt_f64_u32_e32 v[18:19], v17
	v_cvt_f64_u32_e32 v[16:17], v16
	v_ldexp_f64 v[18:19], v[18:19], 32
	v_add_f64 v[16:17], v[18:19], v[16:17]
	s_branch .LBB15_1485
.LBB15_1483:
	s_mov_b64 s[6:7], -1
                                        ; implicit-def: $vgpr16_vgpr17
.LBB15_1484:
	s_mov_b64 s[16:17], 0
.LBB15_1485:
	s_and_b64 vcc, exec, s[16:17]
	s_cbranch_vccz .LBB15_1503
; %bb.1486:
	v_mov_b32_e32 v3, 27
	v_cmp_lt_i16_sdwa s[14:15], s22, v3 src0_sel:BYTE_0 src1_sel:DWORD
	s_and_b64 vcc, exec, s[14:15]
	s_cbranch_vccnz .LBB15_1489
; %bb.1487:
	v_cmp_gt_i16_sdwa s[14:15], s22, v3 src0_sel:BYTE_0 src1_sel:DWORD
	s_and_b64 vcc, exec, s[14:15]
	s_cbranch_vccz .LBB15_1490
; %bb.1488:
	global_load_dword v3, v[8:9], off
	s_mov_b64 s[14:15], 0
	s_waitcnt vmcnt(0)
	v_cvt_f64_u32_e32 v[16:17], v3
	s_branch .LBB15_1491
.LBB15_1489:
	s_mov_b64 s[14:15], -1
                                        ; implicit-def: $vgpr16_vgpr17
	s_branch .LBB15_1494
.LBB15_1490:
	s_mov_b64 s[14:15], -1
                                        ; implicit-def: $vgpr16_vgpr17
.LBB15_1491:
	s_andn2_b64 vcc, exec, s[14:15]
	s_cbranch_vccnz .LBB15_1493
; %bb.1492:
	global_load_ushort v3, v[8:9], off
	s_waitcnt vmcnt(0)
	v_cvt_f64_u32_e32 v[16:17], v3
.LBB15_1493:
	s_mov_b64 s[14:15], 0
.LBB15_1494:
	s_andn2_b64 vcc, exec, s[14:15]
	s_cbranch_vccnz .LBB15_1502
; %bb.1495:
	global_load_ubyte v3, v[8:9], off
	s_movk_i32 s14, 0x7f
                                        ; implicit-def: $sgpr16_sgpr17
	s_waitcnt vmcnt(0)
	v_cmp_lt_i16_e32 vcc, s14, v3
	s_mov_b64 s[14:15], 0
	s_and_saveexec_b64 s[18:19], vcc
	s_xor_b64 s[18:19], exec, s[18:19]
	s_cbranch_execz .LBB15_1516
; %bb.1496:
	s_movk_i32 s14, 0x80
	v_cmp_eq_u16_e32 vcc, s14, v3
	s_mov_b64 s[20:21], -1
                                        ; implicit-def: $sgpr16_sgpr17
	s_and_saveexec_b64 s[14:15], vcc
; %bb.1497:
	s_mov_b32 s17, 0x7ff80000
	s_brev_b32 s16, 4
	s_xor_b64 s[20:21], exec, -1
; %bb.1498:
	s_or_b64 exec, exec, s[14:15]
	s_and_b64 s[14:15], s[20:21], exec
	s_or_saveexec_b64 s[18:19], s[18:19]
	v_pk_mov_b32 v[16:17], s[16:17], s[16:17] op_sel:[0,1]
	s_xor_b64 exec, exec, s[18:19]
	s_cbranch_execnz .LBB15_1517
.LBB15_1499:
	s_or_b64 exec, exec, s[18:19]
	s_and_saveexec_b64 s[16:17], s[14:15]
	s_cbranch_execz .LBB15_1501
.LBB15_1500:
	v_lshlrev_b32_e32 v7, 24, v3
	v_and_b32_e32 v3, 0xffff, v3
	v_and_b32_e32 v11, 7, v3
	v_ffbh_u32_e32 v15, v11
	v_min_u32_e32 v15, 32, v15
	v_subrev_u32_e32 v16, 28, v15
	v_bfe_u32 v13, v3, 3, 4
	v_lshlrev_b32_e32 v3, v16, v3
	v_sub_u32_e32 v15, 29, v15
	v_and_b32_e32 v3, 7, v3
	v_cmp_eq_u32_e32 vcc, 0, v13
	v_cndmask_b32_e32 v13, v13, v15, vcc
	v_cndmask_b32_e32 v3, v11, v3, vcc
	v_mov_b32_e32 v11, 0x3b800000
	v_lshlrev_b32_e32 v3, 20, v3
	v_and_b32_e32 v7, 0x80000000, v7
	v_lshl_add_u32 v11, v13, 23, v11
	v_or3_b32 v3, v7, v11, v3
	v_cvt_f64_f32_e32 v[16:17], v3
.LBB15_1501:
	s_or_b64 exec, exec, s[16:17]
.LBB15_1502:
	s_mov_b64 s[14:15], -1
.LBB15_1503:
	s_mov_b64 s[16:17], 0
.LBB15_1504:
	s_and_b64 vcc, exec, s[16:17]
	s_cbranch_vccz .LBB15_1537
; %bb.1505:
	v_mov_b32_e32 v3, 22
	v_cmp_gt_i16_sdwa s[12:13], s22, v3 src0_sel:BYTE_0 src1_sel:DWORD
	s_and_b64 vcc, exec, s[12:13]
	s_cbranch_vccz .LBB15_1515
; %bb.1506:
	v_mov_b32_e32 v3, 24
	v_cmp_lt_i16_sdwa s[12:13], s22, v3 src0_sel:BYTE_0 src1_sel:DWORD
	s_and_b64 vcc, exec, s[12:13]
	s_cbranch_vccnz .LBB15_1518
; %bb.1507:
	v_cmp_gt_i16_sdwa s[12:13], s22, v3 src0_sel:BYTE_0 src1_sel:DWORD
	s_and_b64 vcc, exec, s[12:13]
	s_cbranch_vccz .LBB15_1519
; %bb.1508:
	global_load_ubyte v3, v[8:9], off
	s_movk_i32 s12, 0x7f
                                        ; implicit-def: $sgpr14_sgpr15
	s_waitcnt vmcnt(0)
	v_cmp_lt_i16_e32 vcc, s12, v3
	s_mov_b64 s[12:13], 0
	s_and_saveexec_b64 s[16:17], vcc
	s_xor_b64 s[16:17], exec, s[16:17]
	s_cbranch_execz .LBB15_1531
; %bb.1509:
	s_movk_i32 s12, 0x80
	v_cmp_eq_u16_e32 vcc, s12, v3
	s_mov_b64 s[18:19], -1
                                        ; implicit-def: $sgpr14_sgpr15
	s_and_saveexec_b64 s[12:13], vcc
; %bb.1510:
	s_mov_b32 s15, 0x7ff80000
	s_brev_b32 s14, 4
	s_xor_b64 s[18:19], exec, -1
; %bb.1511:
	s_or_b64 exec, exec, s[12:13]
	s_and_b64 s[12:13], s[18:19], exec
	s_or_saveexec_b64 s[16:17], s[16:17]
	v_pk_mov_b32 v[16:17], s[14:15], s[14:15] op_sel:[0,1]
	s_xor_b64 exec, exec, s[16:17]
	s_cbranch_execnz .LBB15_1532
.LBB15_1512:
	s_or_b64 exec, exec, s[16:17]
	s_and_saveexec_b64 s[14:15], s[12:13]
	s_cbranch_execz .LBB15_1514
.LBB15_1513:
	v_lshlrev_b32_e32 v7, 24, v3
	v_and_b32_e32 v3, 0xffff, v3
	v_and_b32_e32 v11, 3, v3
	v_ffbh_u32_e32 v15, v11
	v_min_u32_e32 v15, 32, v15
	v_subrev_u32_e32 v16, 29, v15
	v_bfe_u32 v13, v3, 2, 5
	v_lshlrev_b32_e32 v3, v16, v3
	v_sub_u32_e32 v15, 30, v15
	v_and_b32_e32 v3, 3, v3
	v_cmp_eq_u32_e32 vcc, 0, v13
	v_cndmask_b32_e32 v13, v13, v15, vcc
	v_cndmask_b32_e32 v3, v11, v3, vcc
	v_mov_b32_e32 v11, 0x37800000
	v_lshlrev_b32_e32 v3, 21, v3
	v_and_b32_e32 v7, 0x80000000, v7
	v_lshl_add_u32 v11, v13, 23, v11
	v_or3_b32 v3, v7, v11, v3
	v_cvt_f64_f32_e32 v[16:17], v3
.LBB15_1514:
	s_or_b64 exec, exec, s[14:15]
	s_mov_b64 s[12:13], 0
	s_branch .LBB15_1520
.LBB15_1515:
	s_mov_b64 s[12:13], -1
                                        ; implicit-def: $vgpr16_vgpr17
	s_branch .LBB15_1526
.LBB15_1516:
	s_or_saveexec_b64 s[18:19], s[18:19]
	v_pk_mov_b32 v[16:17], s[16:17], s[16:17] op_sel:[0,1]
	s_xor_b64 exec, exec, s[18:19]
	s_cbranch_execz .LBB15_1499
.LBB15_1517:
	v_cmp_ne_u16_e32 vcc, 0, v3
	s_andn2_b64 s[14:15], s[14:15], exec
	s_and_b64 s[16:17], vcc, exec
	v_pk_mov_b32 v[16:17], 0, 0
	s_or_b64 s[14:15], s[14:15], s[16:17]
	s_or_b64 exec, exec, s[18:19]
	s_and_saveexec_b64 s[16:17], s[14:15]
	s_cbranch_execnz .LBB15_1500
	s_branch .LBB15_1501
.LBB15_1518:
	s_mov_b64 s[12:13], -1
                                        ; implicit-def: $vgpr16_vgpr17
	s_branch .LBB15_1523
.LBB15_1519:
	s_mov_b64 s[12:13], -1
                                        ; implicit-def: $vgpr16_vgpr17
.LBB15_1520:
	s_and_b64 vcc, exec, s[12:13]
	s_cbranch_vccz .LBB15_1522
; %bb.1521:
	global_load_ubyte v3, v[8:9], off
	s_mov_b32 s12, 0x7f800000
	s_waitcnt vmcnt(0)
	v_lshlrev_b32_e32 v3, 24, v3
	v_and_b32_e32 v7, 0x7f000000, v3
	v_ffbh_u32_e32 v11, v7
	v_min_u32_e32 v11, 32, v11
	v_sub_u32_e64 v11, v11, 4 clamp
	v_lshlrev_b32_e32 v15, v11, v7
	v_lshlrev_b32_e32 v11, 23, v11
	v_lshrrev_b32_e32 v15, 4, v15
	v_add_u32_e32 v13, 0x1000000, v7
	v_sub_u32_e32 v11, v15, v11
	v_ashrrev_i32_e32 v13, 8, v13
	v_add_u32_e32 v11, 0x3c000000, v11
	v_and_or_b32 v11, v13, s12, v11
	v_cmp_ne_u32_e32 vcc, 0, v7
	v_cndmask_b32_e32 v7, 0, v11, vcc
	s_brev_b32 s12, 1
	v_and_or_b32 v3, v3, s12, v7
	v_cvt_f64_f32_e32 v[16:17], v3
.LBB15_1522:
	s_mov_b64 s[12:13], 0
.LBB15_1523:
	s_andn2_b64 vcc, exec, s[12:13]
	s_cbranch_vccnz .LBB15_1525
; %bb.1524:
	global_load_ubyte v3, v[8:9], off
	s_movk_i32 s12, 0x7f00
	s_brev_b32 s13, 16
	s_waitcnt vmcnt(0)
	v_lshlrev_b16_e32 v7, 8, v3
	v_lshlrev_b32_e32 v3, 25, v3
	v_lshrrev_b32_e32 v11, 4, v3
	v_and_or_b32 v13, v7, s12, 0.5
	v_or_b32_e32 v11, 0x70000000, v11
	v_add_f32_e32 v13, -0.5, v13
	v_mul_f32_e32 v11, 0x7800000, v11
	v_cmp_gt_u32_e32 vcc, s13, v3
	v_bfe_i32 v7, v7, 0, 16
	v_cndmask_b32_e32 v3, v11, v13, vcc
	s_brev_b32 s12, 1
	v_and_or_b32 v3, v7, s12, v3
	v_cvt_f64_f32_e32 v[16:17], v3
.LBB15_1525:
	s_mov_b64 s[12:13], 0
	s_mov_b64 s[14:15], -1
.LBB15_1526:
	s_andn2_b64 vcc, exec, s[12:13]
	s_mov_b64 s[12:13], 0
	s_cbranch_vccnz .LBB15_1537
; %bb.1527:
	v_mov_b32_e32 v3, 14
	v_cmp_gt_i16_sdwa s[12:13], s22, v3 src0_sel:BYTE_0 src1_sel:DWORD
	s_and_b64 vcc, exec, s[12:13]
	s_cbranch_vccz .LBB15_1530
; %bb.1528:
	v_mov_b32_e32 v3, 15
	v_cmp_eq_u16_sdwa s[6:7], s22, v3 src0_sel:BYTE_0 src1_sel:DWORD
	s_and_b64 vcc, exec, s[6:7]
	s_cbranch_vccz .LBB15_1533
; %bb.1529:
	global_load_ushort v3, v[8:9], off
	s_mov_b64 s[6:7], 0
	s_mov_b64 s[14:15], -1
	s_waitcnt vmcnt(0)
	v_lshlrev_b32_e32 v3, 16, v3
	v_cvt_f64_f32_e32 v[16:17], v3
	s_branch .LBB15_1534
.LBB15_1530:
	s_mov_b64 s[16:17], -1
                                        ; implicit-def: $vgpr16_vgpr17
	s_branch .LBB15_1535
.LBB15_1531:
	s_or_saveexec_b64 s[16:17], s[16:17]
	v_pk_mov_b32 v[16:17], s[14:15], s[14:15] op_sel:[0,1]
	s_xor_b64 exec, exec, s[16:17]
	s_cbranch_execz .LBB15_1512
.LBB15_1532:
	v_cmp_ne_u16_e32 vcc, 0, v3
	s_andn2_b64 s[12:13], s[12:13], exec
	s_and_b64 s[14:15], vcc, exec
	v_pk_mov_b32 v[16:17], 0, 0
	s_or_b64 s[12:13], s[12:13], s[14:15]
	s_or_b64 exec, exec, s[16:17]
	s_and_saveexec_b64 s[14:15], s[12:13]
	s_cbranch_execnz .LBB15_1513
	s_branch .LBB15_1514
.LBB15_1533:
	s_mov_b64 s[6:7], -1
                                        ; implicit-def: $vgpr16_vgpr17
.LBB15_1534:
	s_mov_b64 s[16:17], 0
.LBB15_1535:
	s_mov_b64 s[12:13], 0
	s_and_b64 vcc, exec, s[16:17]
	s_cbranch_vccz .LBB15_1537
; %bb.1536:
	v_mov_b32_e32 v3, 11
	v_cmp_ne_u16_sdwa s[6:7], s22, v3 src0_sel:BYTE_0 src1_sel:DWORD
	s_mov_b64 s[12:13], -1
                                        ; implicit-def: $vgpr16_vgpr17
.LBB15_1537:
	s_and_b64 vcc, exec, s[6:7]
	s_cbranch_vccnz .LBB15_1610
; %bb.1538:
	s_andn2_b64 vcc, exec, s[12:13]
	s_cbranch_vccnz .LBB15_1540
.LBB15_1539:
	global_load_ubyte v3, v[8:9], off
	v_mov_b32_e32 v7, 0x3ff00000
	s_waitcnt vmcnt(1)
	v_mov_b32_e32 v16, 0
	s_mov_b64 s[14:15], -1
	s_waitcnt vmcnt(0)
	v_cmp_ne_u16_e32 vcc, 0, v3
	v_cndmask_b32_e32 v17, 0, v7, vcc
.LBB15_1540:
	s_branch .LBB15_1468
.LBB15_1541:
	v_mov_b32_e32 v3, 5
	v_cmp_lt_i16_sdwa s[6:7], s22, v3 src0_sel:BYTE_0 src1_sel:DWORD
	s_and_b64 vcc, exec, s[6:7]
	s_cbranch_vccnz .LBB15_1546
; %bb.1542:
	v_mov_b32_e32 v3, 8
	v_cmp_lt_i16_sdwa s[6:7], s22, v3 src0_sel:BYTE_0 src1_sel:DWORD
	s_and_b64 vcc, exec, s[6:7]
	s_cbranch_vccnz .LBB15_1547
; %bb.1543:
	;; [unrolled: 5-line block ×3, first 2 shown]
	v_cmp_gt_i16_sdwa s[6:7], s22, v3 src0_sel:BYTE_0 src1_sel:DWORD
	s_and_b64 vcc, exec, s[6:7]
	s_cbranch_vccz .LBB15_1549
; %bb.1545:
	global_load_dwordx2 v[16:17], v[8:9], off
	s_mov_b64 s[6:7], 0
	s_branch .LBB15_1550
.LBB15_1546:
	s_mov_b64 s[6:7], -1
                                        ; implicit-def: $vgpr16_vgpr17
	s_branch .LBB15_1568
.LBB15_1547:
	s_mov_b64 s[6:7], -1
                                        ; implicit-def: $vgpr16_vgpr17
	s_branch .LBB15_1556
.LBB15_1548:
	s_mov_b64 s[6:7], -1
                                        ; implicit-def: $vgpr16_vgpr17
	s_branch .LBB15_1553
.LBB15_1549:
	s_mov_b64 s[6:7], -1
                                        ; implicit-def: $vgpr16_vgpr17
.LBB15_1550:
	s_andn2_b64 vcc, exec, s[6:7]
	s_cbranch_vccnz .LBB15_1552
; %bb.1551:
	global_load_dword v3, v[8:9], off
	s_waitcnt vmcnt(0)
	v_cvt_f64_f32_e32 v[16:17], v3
.LBB15_1552:
	s_mov_b64 s[6:7], 0
.LBB15_1553:
	s_andn2_b64 vcc, exec, s[6:7]
	s_cbranch_vccnz .LBB15_1555
; %bb.1554:
	global_load_dword v3, v[8:9], off
	s_waitcnt vmcnt(0)
	v_cvt_f32_f16_e32 v3, v3
	v_cvt_f64_f32_e32 v[16:17], v3
.LBB15_1555:
	s_mov_b64 s[6:7], 0
.LBB15_1556:
	s_andn2_b64 vcc, exec, s[6:7]
	s_cbranch_vccnz .LBB15_1567
; %bb.1557:
	v_mov_b32_e32 v3, 6
	v_cmp_lt_i16_sdwa s[6:7], s22, v3 src0_sel:BYTE_0 src1_sel:DWORD
	s_and_b64 vcc, exec, s[6:7]
	s_cbranch_vccnz .LBB15_1560
; %bb.1558:
	v_cmp_gt_i16_sdwa s[6:7], s22, v3 src0_sel:BYTE_0 src1_sel:DWORD
	s_and_b64 vcc, exec, s[6:7]
	s_cbranch_vccz .LBB15_1561
; %bb.1559:
	global_load_dwordx2 v[16:17], v[8:9], off
	s_mov_b64 s[6:7], 0
	s_branch .LBB15_1562
.LBB15_1560:
	s_mov_b64 s[6:7], -1
                                        ; implicit-def: $vgpr16_vgpr17
	s_branch .LBB15_1565
.LBB15_1561:
	s_mov_b64 s[6:7], -1
                                        ; implicit-def: $vgpr16_vgpr17
.LBB15_1562:
	s_andn2_b64 vcc, exec, s[6:7]
	s_cbranch_vccnz .LBB15_1564
; %bb.1563:
	global_load_dword v3, v[8:9], off
	s_waitcnt vmcnt(0)
	v_cvt_f64_f32_e32 v[16:17], v3
.LBB15_1564:
	s_mov_b64 s[6:7], 0
.LBB15_1565:
	s_andn2_b64 vcc, exec, s[6:7]
	s_cbranch_vccnz .LBB15_1567
; %bb.1566:
	global_load_ushort v3, v[8:9], off
	s_waitcnt vmcnt(0)
	v_cvt_f32_f16_e32 v3, v3
	v_cvt_f64_f32_e32 v[16:17], v3
.LBB15_1567:
	s_mov_b64 s[6:7], 0
.LBB15_1568:
	s_andn2_b64 vcc, exec, s[6:7]
	s_cbranch_vccnz .LBB15_1588
; %bb.1569:
	v_mov_b32_e32 v3, 2
	v_cmp_lt_i16_sdwa s[6:7], s22, v3 src0_sel:BYTE_0 src1_sel:DWORD
	s_and_b64 vcc, exec, s[6:7]
	s_cbranch_vccnz .LBB15_1573
; %bb.1570:
	v_mov_b32_e32 v3, 3
	v_cmp_lt_i16_sdwa s[6:7], s22, v3 src0_sel:BYTE_0 src1_sel:DWORD
	s_and_b64 vcc, exec, s[6:7]
	s_cbranch_vccnz .LBB15_1574
; %bb.1571:
	v_cmp_gt_i16_sdwa s[6:7], s22, v3 src0_sel:BYTE_0 src1_sel:DWORD
	s_and_b64 vcc, exec, s[6:7]
	s_cbranch_vccz .LBB15_1575
; %bb.1572:
	global_load_dwordx2 v[16:17], v[8:9], off
	s_mov_b64 s[6:7], 0
	s_waitcnt vmcnt(0)
	v_cvt_f64_i32_e32 v[18:19], v17
	v_cvt_f64_u32_e32 v[16:17], v16
	v_ldexp_f64 v[18:19], v[18:19], 32
	v_add_f64 v[16:17], v[18:19], v[16:17]
	s_branch .LBB15_1576
.LBB15_1573:
	s_mov_b64 s[6:7], -1
                                        ; implicit-def: $vgpr16_vgpr17
	s_branch .LBB15_1582
.LBB15_1574:
	s_mov_b64 s[6:7], -1
                                        ; implicit-def: $vgpr16_vgpr17
	s_branch .LBB15_1579
.LBB15_1575:
	s_mov_b64 s[6:7], -1
                                        ; implicit-def: $vgpr16_vgpr17
.LBB15_1576:
	s_andn2_b64 vcc, exec, s[6:7]
	s_cbranch_vccnz .LBB15_1578
; %bb.1577:
	global_load_dword v3, v[8:9], off
	s_waitcnt vmcnt(0)
	v_cvt_f64_i32_e32 v[16:17], v3
.LBB15_1578:
	s_mov_b64 s[6:7], 0
.LBB15_1579:
	s_andn2_b64 vcc, exec, s[6:7]
	s_cbranch_vccnz .LBB15_1581
; %bb.1580:
	global_load_sshort v3, v[8:9], off
	s_waitcnt vmcnt(0)
	v_cvt_f64_i32_e32 v[16:17], v3
.LBB15_1581:
	s_mov_b64 s[6:7], 0
.LBB15_1582:
	s_andn2_b64 vcc, exec, s[6:7]
	s_cbranch_vccnz .LBB15_1588
; %bb.1583:
	v_mov_b32_e32 v3, 0
	v_cmp_gt_i16_sdwa s[6:7], s22, v3 src0_sel:BYTE_0 src1_sel:DWORD
	s_and_b64 vcc, exec, s[6:7]
	s_cbranch_vccz .LBB15_1585
; %bb.1584:
	global_load_sbyte v3, v[8:9], off
	s_mov_b64 s[6:7], 0
	s_waitcnt vmcnt(0)
	v_cvt_f64_i32_e32 v[16:17], v3
	s_branch .LBB15_1586
.LBB15_1585:
	s_mov_b64 s[6:7], -1
                                        ; implicit-def: $vgpr16_vgpr17
.LBB15_1586:
	s_andn2_b64 vcc, exec, s[6:7]
	s_cbranch_vccnz .LBB15_1588
; %bb.1587:
	global_load_ubyte v3, v[8:9], off
	s_waitcnt vmcnt(0)
	v_cvt_f64_u32_e32 v[16:17], v3
.LBB15_1588:
.LBB15_1589:
	s_and_b64 vcc, exec, s[0:1]
	v_pk_mov_b32 v[8:9], 0, 0
	s_cbranch_vccnz .LBB15_1599
; %bb.1590:
	v_cmp_lt_i64_e64 s[6:7], s[4:5], 1
	v_mov_b32_e32 v8, 0
	s_and_b64 vcc, exec, s[6:7]
	v_mov_b32_e32 v9, 0x3ff00000
	s_cbranch_vccnz .LBB15_1599
; %bb.1591:
	s_cmp_lg_u64 s[4:5], 1
	s_cbranch_scc0 .LBB15_1596
; %bb.1592:
	v_mov_b32_e32 v8, 0x200
	v_mov_b32_e32 v9, 0
	v_cmp_gt_u64_e32 vcc, s[4:5], v[8:9]
	v_mov_b32_e32 v8, 0
	v_mov_b32_e32 v9, 0x7ff80000
	s_cbranch_vccnz .LBB15_1595
; %bb.1593:
	v_mov_b32_e32 v18, 0
	s_mov_b64 s[6:7], 1
	v_mov_b32_e32 v19, 0x3ff00000
	s_waitcnt vmcnt(0)
	v_pk_mov_b32 v[8:9], v[16:17], v[16:17] op_sel:[0,1]
.LBB15_1594:                            ; =>This Inner Loop Header: Depth=1
	v_cvt_f64_u32_e32 v[20:21], s7
	v_cvt_f64_u32_e32 v[22:23], s6
	v_ldexp_f64 v[20:21], v[20:21], 32
	s_add_u32 s6, s6, 1
	v_add_f64 v[20:21], v[20:21], v[22:23]
	s_addc_u32 s7, s7, 0
	v_mul_f64 v[20:21], v[18:19], v[20:21]
	s_cmp_lg_u64 s[4:5], s[6:7]
	v_pk_mov_b32 v[18:19], v[8:9], v[8:9] op_sel:[0,1]
	v_fma_f64 v[8:9], v[16:17], v[8:9], -v[20:21]
	s_cbranch_scc1 .LBB15_1594
.LBB15_1595:
	s_mov_b64 s[6:7], 0
	s_branch .LBB15_1597
.LBB15_1596:
	s_mov_b64 s[6:7], -1
                                        ; implicit-def: $vgpr8_vgpr9
.LBB15_1597:
	s_andn2_b64 vcc, exec, s[6:7]
	s_cbranch_vccnz .LBB15_1599
; %bb.1598:
	s_waitcnt vmcnt(0)
	v_pk_mov_b32 v[8:9], v[16:17], v[16:17] op_sel:[0,1]
.LBB15_1599:
	v_mov_b32_e32 v3, s11
	v_add_co_u32_e32 v12, vcc, s10, v12
	v_addc_co_u32_e32 v13, vcc, 0, v3, vcc
	v_mov_b32_e32 v3, 11
	v_cmp_lt_i16_sdwa s[6:7], s22, v3 src0_sel:BYTE_0 src1_sel:DWORD
	s_and_b64 vcc, exec, s[6:7]
	s_cbranch_vccnz .LBB15_1606
; %bb.1600:
	v_mov_b32_e32 v3, 25
	v_cmp_gt_i16_sdwa s[6:7], s22, v3 src0_sel:BYTE_0 src1_sel:DWORD
	s_mov_b64 s[10:11], 0
	s_and_b64 vcc, exec, s[6:7]
	s_cbranch_vccz .LBB15_1607
; %bb.1601:
	v_mov_b32_e32 v3, 28
	v_cmp_gt_i16_sdwa s[6:7], s22, v3 src0_sel:BYTE_0 src1_sel:DWORD
	s_and_b64 vcc, exec, s[6:7]
	s_cbranch_vccz .LBB15_1608
; %bb.1602:
	v_mov_b32_e32 v3, 43
	v_cmp_gt_i16_sdwa s[6:7], s22, v3 src0_sel:BYTE_0 src1_sel:DWORD
	;; [unrolled: 5-line block ×3, first 2 shown]
	s_and_b64 vcc, exec, s[6:7]
	s_cbranch_vccz .LBB15_1611
; %bb.1604:
	v_mov_b32_e32 v3, 46
	v_cmp_eq_u16_sdwa s[6:7], s22, v3 src0_sel:BYTE_0 src1_sel:DWORD
	s_mov_b64 s[14:15], 0
	s_and_b64 vcc, exec, s[6:7]
	s_cbranch_vccz .LBB15_1612
; %bb.1605:
	global_load_dword v3, v[12:13], off
	s_mov_b64 s[6:7], 0
	s_mov_b64 s[12:13], -1
	s_waitcnt vmcnt(0)
	v_lshlrev_b32_e32 v3, 16, v3
	v_cvt_f64_f32_e32 v[16:17], v3
	s_branch .LBB15_1613
.LBB15_1606:
	s_mov_b64 s[6:7], -1
	s_mov_b64 s[12:13], 0
                                        ; implicit-def: $vgpr16_vgpr17
	s_branch .LBB15_1679
.LBB15_1607:
	s_mov_b64 s[14:15], -1
	s_mov_b64 s[12:13], 0
	s_mov_b64 s[6:7], 0
                                        ; implicit-def: $vgpr16_vgpr17
	s_branch .LBB15_1642
.LBB15_1608:
	s_mov_b64 s[14:15], -1
	s_mov_b64 s[12:13], 0
	s_mov_b64 s[6:7], 0
                                        ; implicit-def: $vgpr16_vgpr17
	s_branch .LBB15_1623
.LBB15_1609:
	s_mov_b64 s[14:15], -1
	s_mov_b64 s[12:13], 0
	s_mov_b64 s[6:7], 0
                                        ; implicit-def: $vgpr16_vgpr17
	s_branch .LBB15_1618
.LBB15_1610:
	s_trap 2
	s_or_b64 s[2:3], s[2:3], exec
                                        ; implicit-def: $vgpr16_vgpr17
	s_cbranch_execz .LBB15_1539
	s_branch .LBB15_1540
.LBB15_1611:
	s_mov_b64 s[14:15], -1
	s_mov_b64 s[12:13], 0
	s_mov_b64 s[6:7], 0
                                        ; implicit-def: $vgpr16_vgpr17
	s_branch .LBB15_1613
.LBB15_1612:
	s_mov_b64 s[6:7], -1
                                        ; implicit-def: $vgpr16_vgpr17
	s_mov_b64 s[12:13], 0
.LBB15_1613:
	s_and_b64 vcc, exec, s[14:15]
	s_cbranch_vccz .LBB15_1617
; %bb.1614:
	v_mov_b32_e32 v3, 44
	v_cmp_eq_u16_sdwa s[6:7], s22, v3 src0_sel:BYTE_0 src1_sel:DWORD
	s_and_b64 vcc, exec, s[6:7]
	s_cbranch_vccz .LBB15_1616
; %bb.1615:
	global_load_ubyte v3, v[12:13], off
	s_movk_i32 s12, 0xff
	v_bfrev_b32_e32 v7, 4
	v_mov_b32_e32 v11, 0x7ff80000
	v_bfrev_b32_e32 v15, 28
	s_mov_b64 s[6:7], 0
	s_waitcnt vmcnt(0)
	v_lshlrev_b32_e32 v16, 23, v3
	v_cvt_f64_f32_e32 v[16:17], v16
	v_cmp_ne_u32_e32 vcc, s12, v3
	v_cndmask_b32_e32 v7, v7, v16, vcc
	v_cndmask_b32_e32 v11, v11, v17, vcc
	v_cmp_ne_u32_e32 vcc, 0, v3
	v_cndmask_b32_e32 v17, v15, v11, vcc
	v_cndmask_b32_e32 v16, 0, v7, vcc
	s_mov_b64 s[12:13], -1
	s_branch .LBB15_1617
.LBB15_1616:
	s_mov_b64 s[6:7], -1
                                        ; implicit-def: $vgpr16_vgpr17
.LBB15_1617:
	s_mov_b64 s[14:15], 0
.LBB15_1618:
	s_and_b64 vcc, exec, s[14:15]
	s_cbranch_vccz .LBB15_1622
; %bb.1619:
	v_mov_b32_e32 v3, 29
	v_cmp_eq_u16_sdwa s[6:7], s22, v3 src0_sel:BYTE_0 src1_sel:DWORD
	s_and_b64 vcc, exec, s[6:7]
	s_cbranch_vccz .LBB15_1621
; %bb.1620:
	global_load_dwordx2 v[16:17], v[12:13], off
	s_mov_b64 s[6:7], 0
	s_mov_b64 s[12:13], -1
	s_mov_b64 s[14:15], 0
	s_waitcnt vmcnt(0)
	v_cvt_f64_u32_e32 v[18:19], v17
	v_cvt_f64_u32_e32 v[16:17], v16
	v_ldexp_f64 v[18:19], v[18:19], 32
	v_add_f64 v[16:17], v[18:19], v[16:17]
	s_branch .LBB15_1623
.LBB15_1621:
	s_mov_b64 s[6:7], -1
                                        ; implicit-def: $vgpr16_vgpr17
.LBB15_1622:
	s_mov_b64 s[14:15], 0
.LBB15_1623:
	s_and_b64 vcc, exec, s[14:15]
	s_cbranch_vccz .LBB15_1641
; %bb.1624:
	v_mov_b32_e32 v3, 27
	v_cmp_lt_i16_sdwa s[12:13], s22, v3 src0_sel:BYTE_0 src1_sel:DWORD
	s_and_b64 vcc, exec, s[12:13]
	s_cbranch_vccnz .LBB15_1627
; %bb.1625:
	v_cmp_gt_i16_sdwa s[12:13], s22, v3 src0_sel:BYTE_0 src1_sel:DWORD
	s_and_b64 vcc, exec, s[12:13]
	s_cbranch_vccz .LBB15_1628
; %bb.1626:
	global_load_dword v3, v[12:13], off
	s_mov_b64 s[12:13], 0
	s_waitcnt vmcnt(0)
	v_cvt_f64_u32_e32 v[16:17], v3
	s_branch .LBB15_1629
.LBB15_1627:
	s_mov_b64 s[12:13], -1
                                        ; implicit-def: $vgpr16_vgpr17
	s_branch .LBB15_1632
.LBB15_1628:
	s_mov_b64 s[12:13], -1
                                        ; implicit-def: $vgpr16_vgpr17
.LBB15_1629:
	s_andn2_b64 vcc, exec, s[12:13]
	s_cbranch_vccnz .LBB15_1631
; %bb.1630:
	global_load_ushort v3, v[12:13], off
	s_waitcnt vmcnt(0)
	v_cvt_f64_u32_e32 v[16:17], v3
.LBB15_1631:
	s_mov_b64 s[12:13], 0
.LBB15_1632:
	s_andn2_b64 vcc, exec, s[12:13]
	s_cbranch_vccnz .LBB15_1640
; %bb.1633:
	global_load_ubyte v3, v[12:13], off
	s_movk_i32 s12, 0x7f
                                        ; implicit-def: $sgpr14_sgpr15
	s_waitcnt vmcnt(0)
	v_cmp_lt_i16_e32 vcc, s12, v3
	s_mov_b64 s[12:13], 0
	s_and_saveexec_b64 s[16:17], vcc
	s_xor_b64 s[16:17], exec, s[16:17]
	s_cbranch_execz .LBB15_1654
; %bb.1634:
	s_movk_i32 s12, 0x80
	v_cmp_eq_u16_e32 vcc, s12, v3
	s_mov_b64 s[18:19], -1
                                        ; implicit-def: $sgpr14_sgpr15
	s_and_saveexec_b64 s[12:13], vcc
; %bb.1635:
	s_mov_b32 s15, 0x7ff80000
	s_brev_b32 s14, 4
	s_xor_b64 s[18:19], exec, -1
; %bb.1636:
	s_or_b64 exec, exec, s[12:13]
	s_and_b64 s[12:13], s[18:19], exec
	s_or_saveexec_b64 s[16:17], s[16:17]
	v_pk_mov_b32 v[16:17], s[14:15], s[14:15] op_sel:[0,1]
	s_xor_b64 exec, exec, s[16:17]
	s_cbranch_execnz .LBB15_1655
.LBB15_1637:
	s_or_b64 exec, exec, s[16:17]
	s_and_saveexec_b64 s[14:15], s[12:13]
	s_cbranch_execz .LBB15_1639
.LBB15_1638:
	v_lshlrev_b32_e32 v7, 24, v3
	v_and_b32_e32 v3, 0xffff, v3
	v_and_b32_e32 v11, 7, v3
	v_ffbh_u32_e32 v16, v11
	v_min_u32_e32 v16, 32, v16
	v_subrev_u32_e32 v17, 28, v16
	v_bfe_u32 v15, v3, 3, 4
	v_lshlrev_b32_e32 v3, v17, v3
	v_sub_u32_e32 v16, 29, v16
	v_and_b32_e32 v3, 7, v3
	v_cmp_eq_u32_e32 vcc, 0, v15
	v_cndmask_b32_e32 v15, v15, v16, vcc
	v_cndmask_b32_e32 v3, v11, v3, vcc
	v_mov_b32_e32 v11, 0x3b800000
	v_lshlrev_b32_e32 v3, 20, v3
	v_and_b32_e32 v7, 0x80000000, v7
	v_lshl_add_u32 v11, v15, 23, v11
	v_or3_b32 v3, v7, v11, v3
	v_cvt_f64_f32_e32 v[16:17], v3
.LBB15_1639:
	s_or_b64 exec, exec, s[14:15]
.LBB15_1640:
	s_mov_b64 s[12:13], -1
.LBB15_1641:
	s_mov_b64 s[14:15], 0
.LBB15_1642:
	s_and_b64 vcc, exec, s[14:15]
	s_cbranch_vccz .LBB15_1675
; %bb.1643:
	v_mov_b32_e32 v3, 22
	v_cmp_gt_i16_sdwa s[10:11], s22, v3 src0_sel:BYTE_0 src1_sel:DWORD
	s_and_b64 vcc, exec, s[10:11]
	s_cbranch_vccz .LBB15_1653
; %bb.1644:
	v_mov_b32_e32 v3, 24
	v_cmp_lt_i16_sdwa s[10:11], s22, v3 src0_sel:BYTE_0 src1_sel:DWORD
	s_and_b64 vcc, exec, s[10:11]
	s_cbranch_vccnz .LBB15_1656
; %bb.1645:
	v_cmp_gt_i16_sdwa s[10:11], s22, v3 src0_sel:BYTE_0 src1_sel:DWORD
	s_and_b64 vcc, exec, s[10:11]
	s_cbranch_vccz .LBB15_1657
; %bb.1646:
	global_load_ubyte v3, v[12:13], off
	s_movk_i32 s10, 0x7f
                                        ; implicit-def: $sgpr12_sgpr13
	s_waitcnt vmcnt(0)
	v_cmp_lt_i16_e32 vcc, s10, v3
	s_mov_b64 s[10:11], 0
	s_and_saveexec_b64 s[14:15], vcc
	s_xor_b64 s[14:15], exec, s[14:15]
	s_cbranch_execz .LBB15_1669
; %bb.1647:
	s_movk_i32 s10, 0x80
	v_cmp_eq_u16_e32 vcc, s10, v3
	s_mov_b64 s[16:17], -1
                                        ; implicit-def: $sgpr12_sgpr13
	s_and_saveexec_b64 s[10:11], vcc
; %bb.1648:
	s_mov_b32 s13, 0x7ff80000
	s_brev_b32 s12, 4
	s_xor_b64 s[16:17], exec, -1
; %bb.1649:
	s_or_b64 exec, exec, s[10:11]
	s_and_b64 s[10:11], s[16:17], exec
	s_or_saveexec_b64 s[14:15], s[14:15]
	v_pk_mov_b32 v[16:17], s[12:13], s[12:13] op_sel:[0,1]
	s_xor_b64 exec, exec, s[14:15]
	s_cbranch_execnz .LBB15_1670
.LBB15_1650:
	s_or_b64 exec, exec, s[14:15]
	s_and_saveexec_b64 s[12:13], s[10:11]
	s_cbranch_execz .LBB15_1652
.LBB15_1651:
	v_lshlrev_b32_e32 v7, 24, v3
	v_and_b32_e32 v3, 0xffff, v3
	v_and_b32_e32 v11, 3, v3
	v_ffbh_u32_e32 v16, v11
	v_min_u32_e32 v16, 32, v16
	v_subrev_u32_e32 v17, 29, v16
	v_bfe_u32 v15, v3, 2, 5
	v_lshlrev_b32_e32 v3, v17, v3
	v_sub_u32_e32 v16, 30, v16
	v_and_b32_e32 v3, 3, v3
	v_cmp_eq_u32_e32 vcc, 0, v15
	v_cndmask_b32_e32 v15, v15, v16, vcc
	v_cndmask_b32_e32 v3, v11, v3, vcc
	v_mov_b32_e32 v11, 0x37800000
	v_lshlrev_b32_e32 v3, 21, v3
	v_and_b32_e32 v7, 0x80000000, v7
	v_lshl_add_u32 v11, v15, 23, v11
	v_or3_b32 v3, v7, v11, v3
	v_cvt_f64_f32_e32 v[16:17], v3
.LBB15_1652:
	s_or_b64 exec, exec, s[12:13]
	s_mov_b64 s[10:11], 0
	s_branch .LBB15_1658
.LBB15_1653:
	s_mov_b64 s[10:11], -1
                                        ; implicit-def: $vgpr16_vgpr17
	s_branch .LBB15_1664
.LBB15_1654:
	s_or_saveexec_b64 s[16:17], s[16:17]
	v_pk_mov_b32 v[16:17], s[14:15], s[14:15] op_sel:[0,1]
	s_xor_b64 exec, exec, s[16:17]
	s_cbranch_execz .LBB15_1637
.LBB15_1655:
	v_cmp_ne_u16_e32 vcc, 0, v3
	s_andn2_b64 s[12:13], s[12:13], exec
	s_and_b64 s[14:15], vcc, exec
	v_pk_mov_b32 v[16:17], 0, 0
	s_or_b64 s[12:13], s[12:13], s[14:15]
	s_or_b64 exec, exec, s[16:17]
	s_and_saveexec_b64 s[14:15], s[12:13]
	s_cbranch_execnz .LBB15_1638
	s_branch .LBB15_1639
.LBB15_1656:
	s_mov_b64 s[10:11], -1
                                        ; implicit-def: $vgpr16_vgpr17
	s_branch .LBB15_1661
.LBB15_1657:
	s_mov_b64 s[10:11], -1
                                        ; implicit-def: $vgpr16_vgpr17
.LBB15_1658:
	s_and_b64 vcc, exec, s[10:11]
	s_cbranch_vccz .LBB15_1660
; %bb.1659:
	global_load_ubyte v3, v[12:13], off
	s_mov_b32 s10, 0x7f800000
	s_waitcnt vmcnt(0)
	v_lshlrev_b32_e32 v3, 24, v3
	v_and_b32_e32 v7, 0x7f000000, v3
	v_ffbh_u32_e32 v11, v7
	v_min_u32_e32 v11, 32, v11
	v_sub_u32_e64 v11, v11, 4 clamp
	v_lshlrev_b32_e32 v16, v11, v7
	v_lshlrev_b32_e32 v11, 23, v11
	v_lshrrev_b32_e32 v16, 4, v16
	v_add_u32_e32 v15, 0x1000000, v7
	v_sub_u32_e32 v11, v16, v11
	v_ashrrev_i32_e32 v15, 8, v15
	v_add_u32_e32 v11, 0x3c000000, v11
	v_and_or_b32 v11, v15, s10, v11
	v_cmp_ne_u32_e32 vcc, 0, v7
	v_cndmask_b32_e32 v7, 0, v11, vcc
	s_brev_b32 s10, 1
	v_and_or_b32 v3, v3, s10, v7
	v_cvt_f64_f32_e32 v[16:17], v3
.LBB15_1660:
	s_mov_b64 s[10:11], 0
.LBB15_1661:
	s_andn2_b64 vcc, exec, s[10:11]
	s_cbranch_vccnz .LBB15_1663
; %bb.1662:
	global_load_ubyte v3, v[12:13], off
	s_movk_i32 s10, 0x7f00
	s_brev_b32 s11, 16
	s_waitcnt vmcnt(0)
	v_lshlrev_b16_e32 v7, 8, v3
	v_lshlrev_b32_e32 v3, 25, v3
	v_lshrrev_b32_e32 v11, 4, v3
	v_and_or_b32 v15, v7, s10, 0.5
	v_or_b32_e32 v11, 0x70000000, v11
	v_add_f32_e32 v15, -0.5, v15
	v_mul_f32_e32 v11, 0x7800000, v11
	v_cmp_gt_u32_e32 vcc, s11, v3
	v_bfe_i32 v7, v7, 0, 16
	v_cndmask_b32_e32 v3, v11, v15, vcc
	s_brev_b32 s10, 1
	v_and_or_b32 v3, v7, s10, v3
	v_cvt_f64_f32_e32 v[16:17], v3
.LBB15_1663:
	s_mov_b64 s[10:11], 0
	s_mov_b64 s[12:13], -1
.LBB15_1664:
	s_andn2_b64 vcc, exec, s[10:11]
	s_mov_b64 s[10:11], 0
	s_cbranch_vccnz .LBB15_1675
; %bb.1665:
	v_mov_b32_e32 v3, 14
	v_cmp_gt_i16_sdwa s[10:11], s22, v3 src0_sel:BYTE_0 src1_sel:DWORD
	s_and_b64 vcc, exec, s[10:11]
	s_cbranch_vccz .LBB15_1668
; %bb.1666:
	v_mov_b32_e32 v3, 15
	v_cmp_eq_u16_sdwa s[6:7], s22, v3 src0_sel:BYTE_0 src1_sel:DWORD
	s_and_b64 vcc, exec, s[6:7]
	s_cbranch_vccz .LBB15_1671
; %bb.1667:
	global_load_ushort v3, v[12:13], off
	s_mov_b64 s[6:7], 0
	s_mov_b64 s[12:13], -1
	s_waitcnt vmcnt(0)
	v_lshlrev_b32_e32 v3, 16, v3
	v_cvt_f64_f32_e32 v[16:17], v3
	s_branch .LBB15_1672
.LBB15_1668:
	s_mov_b64 s[14:15], -1
                                        ; implicit-def: $vgpr16_vgpr17
	s_branch .LBB15_1673
.LBB15_1669:
	s_or_saveexec_b64 s[14:15], s[14:15]
	v_pk_mov_b32 v[16:17], s[12:13], s[12:13] op_sel:[0,1]
	s_xor_b64 exec, exec, s[14:15]
	s_cbranch_execz .LBB15_1650
.LBB15_1670:
	v_cmp_ne_u16_e32 vcc, 0, v3
	s_andn2_b64 s[10:11], s[10:11], exec
	s_and_b64 s[12:13], vcc, exec
	v_pk_mov_b32 v[16:17], 0, 0
	s_or_b64 s[10:11], s[10:11], s[12:13]
	s_or_b64 exec, exec, s[14:15]
	s_and_saveexec_b64 s[12:13], s[10:11]
	s_cbranch_execnz .LBB15_1651
	s_branch .LBB15_1652
.LBB15_1671:
	s_mov_b64 s[6:7], -1
                                        ; implicit-def: $vgpr16_vgpr17
.LBB15_1672:
	s_mov_b64 s[14:15], 0
.LBB15_1673:
	s_mov_b64 s[10:11], 0
	s_and_b64 vcc, exec, s[14:15]
	s_cbranch_vccz .LBB15_1675
; %bb.1674:
	v_mov_b32_e32 v3, 11
	v_cmp_ne_u16_sdwa s[6:7], s22, v3 src0_sel:BYTE_0 src1_sel:DWORD
	s_mov_b64 s[10:11], -1
                                        ; implicit-def: $vgpr16_vgpr17
.LBB15_1675:
	s_and_b64 vcc, exec, s[6:7]
	s_cbranch_vccnz .LBB15_1795
; %bb.1676:
	s_andn2_b64 vcc, exec, s[10:11]
	s_cbranch_vccnz .LBB15_1678
.LBB15_1677:
	global_load_ubyte v3, v[12:13], off
	v_mov_b32_e32 v7, 0x3ff00000
	s_waitcnt vmcnt(1)
	v_mov_b32_e32 v16, 0
	s_mov_b64 s[12:13], -1
	s_waitcnt vmcnt(0)
	v_cmp_ne_u16_e32 vcc, 0, v3
	v_cndmask_b32_e32 v17, 0, v7, vcc
.LBB15_1678:
	s_mov_b64 s[6:7], 0
.LBB15_1679:
	s_and_b64 vcc, exec, s[6:7]
	s_cbranch_vccz .LBB15_1728
; %bb.1680:
	v_mov_b32_e32 v3, 5
	v_cmp_lt_i16_sdwa s[6:7], s22, v3 src0_sel:BYTE_0 src1_sel:DWORD
	s_and_b64 vcc, exec, s[6:7]
	s_cbranch_vccnz .LBB15_1685
; %bb.1681:
	v_mov_b32_e32 v3, 8
	v_cmp_lt_i16_sdwa s[6:7], s22, v3 src0_sel:BYTE_0 src1_sel:DWORD
	s_and_b64 vcc, exec, s[6:7]
	s_cbranch_vccnz .LBB15_1686
	;; [unrolled: 5-line block ×3, first 2 shown]
; %bb.1683:
	v_cmp_gt_i16_sdwa s[6:7], s22, v3 src0_sel:BYTE_0 src1_sel:DWORD
	s_and_b64 vcc, exec, s[6:7]
	s_cbranch_vccz .LBB15_1688
; %bb.1684:
	global_load_dwordx2 v[16:17], v[12:13], off
	s_mov_b64 s[6:7], 0
	s_branch .LBB15_1689
.LBB15_1685:
	s_mov_b64 s[6:7], -1
                                        ; implicit-def: $vgpr16_vgpr17
	s_branch .LBB15_1707
.LBB15_1686:
	s_mov_b64 s[6:7], -1
                                        ; implicit-def: $vgpr16_vgpr17
	s_branch .LBB15_1695
.LBB15_1687:
	s_mov_b64 s[6:7], -1
                                        ; implicit-def: $vgpr16_vgpr17
	s_branch .LBB15_1692
.LBB15_1688:
	s_mov_b64 s[6:7], -1
                                        ; implicit-def: $vgpr16_vgpr17
.LBB15_1689:
	s_andn2_b64 vcc, exec, s[6:7]
	s_cbranch_vccnz .LBB15_1691
; %bb.1690:
	global_load_dword v3, v[12:13], off
	s_waitcnt vmcnt(0)
	v_cvt_f64_f32_e32 v[16:17], v3
.LBB15_1691:
	s_mov_b64 s[6:7], 0
.LBB15_1692:
	s_andn2_b64 vcc, exec, s[6:7]
	s_cbranch_vccnz .LBB15_1694
; %bb.1693:
	global_load_dword v3, v[12:13], off
	s_waitcnt vmcnt(0)
	v_cvt_f32_f16_e32 v3, v3
	v_cvt_f64_f32_e32 v[16:17], v3
.LBB15_1694:
	s_mov_b64 s[6:7], 0
.LBB15_1695:
	s_andn2_b64 vcc, exec, s[6:7]
	s_cbranch_vccnz .LBB15_1706
; %bb.1696:
	v_mov_b32_e32 v3, 6
	v_cmp_lt_i16_sdwa s[6:7], s22, v3 src0_sel:BYTE_0 src1_sel:DWORD
	s_and_b64 vcc, exec, s[6:7]
	s_cbranch_vccnz .LBB15_1699
; %bb.1697:
	v_cmp_gt_i16_sdwa s[6:7], s22, v3 src0_sel:BYTE_0 src1_sel:DWORD
	s_and_b64 vcc, exec, s[6:7]
	s_cbranch_vccz .LBB15_1700
; %bb.1698:
	global_load_dwordx2 v[16:17], v[12:13], off
	s_mov_b64 s[6:7], 0
	s_branch .LBB15_1701
.LBB15_1699:
	s_mov_b64 s[6:7], -1
                                        ; implicit-def: $vgpr16_vgpr17
	s_branch .LBB15_1704
.LBB15_1700:
	s_mov_b64 s[6:7], -1
                                        ; implicit-def: $vgpr16_vgpr17
.LBB15_1701:
	s_andn2_b64 vcc, exec, s[6:7]
	s_cbranch_vccnz .LBB15_1703
; %bb.1702:
	global_load_dword v3, v[12:13], off
	s_waitcnt vmcnt(0)
	v_cvt_f64_f32_e32 v[16:17], v3
.LBB15_1703:
	s_mov_b64 s[6:7], 0
.LBB15_1704:
	s_andn2_b64 vcc, exec, s[6:7]
	s_cbranch_vccnz .LBB15_1706
; %bb.1705:
	global_load_ushort v3, v[12:13], off
	s_waitcnt vmcnt(0)
	v_cvt_f32_f16_e32 v3, v3
	v_cvt_f64_f32_e32 v[16:17], v3
.LBB15_1706:
	s_mov_b64 s[6:7], 0
.LBB15_1707:
	s_andn2_b64 vcc, exec, s[6:7]
	s_cbranch_vccnz .LBB15_1727
; %bb.1708:
	v_mov_b32_e32 v3, 2
	v_cmp_lt_i16_sdwa s[6:7], s22, v3 src0_sel:BYTE_0 src1_sel:DWORD
	s_and_b64 vcc, exec, s[6:7]
	s_cbranch_vccnz .LBB15_1712
; %bb.1709:
	v_mov_b32_e32 v3, 3
	v_cmp_lt_i16_sdwa s[6:7], s22, v3 src0_sel:BYTE_0 src1_sel:DWORD
	s_and_b64 vcc, exec, s[6:7]
	s_cbranch_vccnz .LBB15_1713
; %bb.1710:
	v_cmp_gt_i16_sdwa s[6:7], s22, v3 src0_sel:BYTE_0 src1_sel:DWORD
	s_and_b64 vcc, exec, s[6:7]
	s_cbranch_vccz .LBB15_1714
; %bb.1711:
	global_load_dwordx2 v[16:17], v[12:13], off
	s_mov_b64 s[6:7], 0
	s_waitcnt vmcnt(0)
	v_cvt_f64_i32_e32 v[18:19], v17
	v_cvt_f64_u32_e32 v[16:17], v16
	v_ldexp_f64 v[18:19], v[18:19], 32
	v_add_f64 v[16:17], v[18:19], v[16:17]
	s_branch .LBB15_1715
.LBB15_1712:
	s_mov_b64 s[6:7], -1
                                        ; implicit-def: $vgpr16_vgpr17
	s_branch .LBB15_1721
.LBB15_1713:
	s_mov_b64 s[6:7], -1
                                        ; implicit-def: $vgpr16_vgpr17
	s_branch .LBB15_1718
.LBB15_1714:
	s_mov_b64 s[6:7], -1
                                        ; implicit-def: $vgpr16_vgpr17
.LBB15_1715:
	s_andn2_b64 vcc, exec, s[6:7]
	s_cbranch_vccnz .LBB15_1717
; %bb.1716:
	global_load_dword v3, v[12:13], off
	s_waitcnt vmcnt(0)
	v_cvt_f64_i32_e32 v[16:17], v3
.LBB15_1717:
	s_mov_b64 s[6:7], 0
.LBB15_1718:
	s_andn2_b64 vcc, exec, s[6:7]
	s_cbranch_vccnz .LBB15_1720
; %bb.1719:
	global_load_sshort v3, v[12:13], off
	s_waitcnt vmcnt(0)
	v_cvt_f64_i32_e32 v[16:17], v3
.LBB15_1720:
	s_mov_b64 s[6:7], 0
.LBB15_1721:
	s_andn2_b64 vcc, exec, s[6:7]
	s_cbranch_vccnz .LBB15_1727
; %bb.1722:
	v_mov_b32_e32 v3, 0
	v_cmp_gt_i16_sdwa s[6:7], s22, v3 src0_sel:BYTE_0 src1_sel:DWORD
	s_and_b64 vcc, exec, s[6:7]
	s_cbranch_vccz .LBB15_1724
; %bb.1723:
	global_load_sbyte v3, v[12:13], off
	s_mov_b64 s[6:7], 0
	s_waitcnt vmcnt(0)
	v_cvt_f64_i32_e32 v[16:17], v3
	s_branch .LBB15_1725
.LBB15_1724:
	s_mov_b64 s[6:7], -1
                                        ; implicit-def: $vgpr16_vgpr17
.LBB15_1725:
	s_andn2_b64 vcc, exec, s[6:7]
	s_cbranch_vccnz .LBB15_1727
; %bb.1726:
	global_load_ubyte v3, v[12:13], off
	s_waitcnt vmcnt(0)
	v_cvt_f64_u32_e32 v[16:17], v3
.LBB15_1727:
	s_mov_b64 s[12:13], -1
.LBB15_1728:
	s_andn2_b64 vcc, exec, s[12:13]
	s_cbranch_vccnz .LBB15_1736
; %bb.1729:
	s_and_b64 vcc, exec, s[0:1]
	v_pk_mov_b32 v[12:13], 0, 0
	s_cbranch_vccnz .LBB15_1785
; %bb.1730:
	v_cmp_lt_i64_e64 s[0:1], s[4:5], 1
	v_mov_b32_e32 v12, 0
	s_and_b64 vcc, exec, s[0:1]
	v_mov_b32_e32 v13, 0x3ff00000
	s_cbranch_vccnz .LBB15_1785
; %bb.1731:
	s_cmp_lg_u64 s[4:5], 1
	s_cbranch_scc0 .LBB15_1782
; %bb.1732:
	v_mov_b32_e32 v12, 0x200
	v_mov_b32_e32 v13, 0
	v_cmp_gt_u64_e32 vcc, s[4:5], v[12:13]
	v_mov_b32_e32 v12, 0
	v_mov_b32_e32 v13, 0x7ff80000
	s_cbranch_vccnz .LBB15_1735
; %bb.1733:
	v_mov_b32_e32 v18, 0
	s_mov_b64 s[0:1], 1
	v_mov_b32_e32 v19, 0x3ff00000
	s_waitcnt vmcnt(0)
	v_pk_mov_b32 v[12:13], v[16:17], v[16:17] op_sel:[0,1]
.LBB15_1734:                            ; =>This Inner Loop Header: Depth=1
	v_cvt_f64_u32_e32 v[20:21], s1
	v_cvt_f64_u32_e32 v[22:23], s0
	v_ldexp_f64 v[20:21], v[20:21], 32
	s_add_u32 s0, s0, 1
	v_add_f64 v[20:21], v[20:21], v[22:23]
	s_addc_u32 s1, s1, 0
	v_mul_f64 v[20:21], v[18:19], v[20:21]
	s_cmp_lg_u64 s[4:5], s[0:1]
	v_pk_mov_b32 v[18:19], v[12:13], v[12:13] op_sel:[0,1]
	v_fma_f64 v[12:13], v[16:17], v[12:13], -v[20:21]
	s_cbranch_scc1 .LBB15_1734
.LBB15_1735:
	s_mov_b64 s[0:1], 0
	s_branch .LBB15_1783
.LBB15_1736:
	s_mov_b64 s[0:1], 0
                                        ; implicit-def: $vgpr0_vgpr1
                                        ; implicit-def: $sgpr16
                                        ; implicit-def: $vgpr12_vgpr13
.LBB15_1737:
	s_mov_b64 s[4:5], 0
.LBB15_1738:
	s_and_b64 s[6:7], s[4:5], exec
	s_andn2_b64 s[4:5], s[28:29], exec
	s_and_b64 s[2:3], s[2:3], exec
	s_and_b64 s[0:1], s[0:1], exec
	s_or_b64 s[28:29], s[4:5], s[2:3]
.LBB15_1739:
	s_or_b64 exec, exec, s[30:31]
	s_and_saveexec_b64 s[2:3], s[28:29]
	s_cbranch_execz .LBB15_1742
; %bb.1740:
	; divergent unreachable
	s_or_b64 exec, exec, s[2:3]
	s_and_saveexec_b64 s[2:3], s[6:7]
	s_xor_b64 s[2:3], exec, s[2:3]
	s_cbranch_execnz .LBB15_1743
.LBB15_1741:
	s_or_b64 exec, exec, s[2:3]
	s_and_saveexec_b64 s[2:3], s[0:1]
	s_cbranch_execnz .LBB15_1744
	s_branch .LBB15_1781
.LBB15_1742:
	s_or_b64 exec, exec, s[2:3]
	s_and_saveexec_b64 s[2:3], s[6:7]
	s_xor_b64 s[2:3], exec, s[2:3]
	s_cbranch_execz .LBB15_1741
.LBB15_1743:
	v_cmp_neq_f64_e32 vcc, 0, v[12:13]
	v_cndmask_b32_e64 v2, 0, 1, vcc
	global_store_byte v[0:1], v2, off
	s_or_b64 exec, exec, s[2:3]
	s_and_saveexec_b64 s[2:3], s[0:1]
	s_cbranch_execz .LBB15_1781
.LBB15_1744:
	v_cmp_lt_i16_e64 s[2:3], s16, 5
	s_mov_b64 s[0:1], -1
	s_and_b64 vcc, exec, s[2:3]
	s_cbranch_vccnz .LBB15_1765
; %bb.1745:
	v_cmp_lt_i16_e64 s[2:3], s16, 8
	s_and_b64 vcc, exec, s[2:3]
	s_cbranch_vccnz .LBB15_1755
; %bb.1746:
	v_cmp_lt_i16_e64 s[2:3], s16, 9
	s_and_b64 vcc, exec, s[2:3]
	s_cbranch_vccnz .LBB15_1752
; %bb.1747:
	v_cmp_gt_i16_e64 s[2:3], s16, 9
	s_and_b64 vcc, exec, s[2:3]
	s_cbranch_vccz .LBB15_1749
; %bb.1748:
	v_mov_b32_e32 v14, 0
	v_mov_b32_e32 v15, v14
	global_store_dwordx4 v[0:1], v[12:15], off
	s_mov_b64 s[0:1], 0
.LBB15_1749:
	s_andn2_b64 vcc, exec, s[0:1]
	s_cbranch_vccnz .LBB15_1751
; %bb.1750:
	v_cvt_f32_f64_e32 v2, v[12:13]
	v_mov_b32_e32 v3, 0
	global_store_dwordx2 v[0:1], v[2:3], off
.LBB15_1751:
	s_mov_b64 s[0:1], 0
.LBB15_1752:
	s_andn2_b64 vcc, exec, s[0:1]
	s_cbranch_vccnz .LBB15_1754
; %bb.1753:
	v_cvt_f32_f64_e32 v2, v[12:13]
	v_cvt_f16_f32_e32 v2, v2
	global_store_dword v[0:1], v2, off
.LBB15_1754:
	s_mov_b64 s[0:1], 0
.LBB15_1755:
	s_andn2_b64 vcc, exec, s[0:1]
	s_cbranch_vccnz .LBB15_1764
; %bb.1756:
	v_cmp_lt_i16_e64 s[2:3], s16, 6
	s_mov_b64 s[0:1], -1
	s_and_b64 vcc, exec, s[2:3]
	s_cbranch_vccnz .LBB15_1762
; %bb.1757:
	v_cmp_gt_i16_e64 s[2:3], s16, 6
	s_and_b64 vcc, exec, s[2:3]
	s_cbranch_vccz .LBB15_1759
; %bb.1758:
	global_store_dwordx2 v[0:1], v[12:13], off
	s_mov_b64 s[0:1], 0
.LBB15_1759:
	s_andn2_b64 vcc, exec, s[0:1]
	s_cbranch_vccnz .LBB15_1761
; %bb.1760:
	v_cvt_f32_f64_e32 v2, v[12:13]
	global_store_dword v[0:1], v2, off
.LBB15_1761:
	s_mov_b64 s[0:1], 0
.LBB15_1762:
	s_andn2_b64 vcc, exec, s[0:1]
	s_cbranch_vccnz .LBB15_1764
; %bb.1763:
	v_cvt_f32_f64_e32 v2, v[12:13]
	v_cvt_f16_f32_e32 v2, v2
	global_store_short v[0:1], v2, off
.LBB15_1764:
	s_mov_b64 s[0:1], 0
.LBB15_1765:
	s_andn2_b64 vcc, exec, s[0:1]
	s_cbranch_vccnz .LBB15_1781
; %bb.1766:
	v_cmp_lt_i16_e64 s[2:3], s16, 2
	s_mov_b64 s[0:1], -1
	s_and_b64 vcc, exec, s[2:3]
	s_cbranch_vccnz .LBB15_1776
; %bb.1767:
	v_cmp_lt_i16_e64 s[2:3], s16, 3
	s_and_b64 vcc, exec, s[2:3]
	s_cbranch_vccnz .LBB15_1773
; %bb.1768:
	v_cmp_gt_i16_e64 s[2:3], s16, 3
	s_and_b64 vcc, exec, s[2:3]
	s_cbranch_vccz .LBB15_1770
; %bb.1769:
	v_trunc_f64_e32 v[2:3], v[12:13]
	s_movk_i32 s0, 0xffe0
	s_waitcnt vmcnt(0)
	v_ldexp_f64 v[4:5], v[2:3], s0
	v_floor_f64_e32 v[4:5], v[4:5]
	v_fmac_f64_e32 v[2:3], 0xc1f00000, v[4:5]
	v_cvt_i32_f64_e32 v7, v[4:5]
	v_cvt_u32_f64_e32 v6, v[2:3]
	global_store_dwordx2 v[0:1], v[6:7], off
	s_mov_b64 s[0:1], 0
.LBB15_1770:
	s_andn2_b64 vcc, exec, s[0:1]
	s_cbranch_vccnz .LBB15_1772
; %bb.1771:
	v_cvt_i32_f64_e32 v2, v[12:13]
	global_store_dword v[0:1], v2, off
.LBB15_1772:
	s_mov_b64 s[0:1], 0
.LBB15_1773:
	s_andn2_b64 vcc, exec, s[0:1]
	s_cbranch_vccnz .LBB15_1775
; %bb.1774:
	v_cvt_i32_f64_e32 v2, v[12:13]
	global_store_short v[0:1], v2, off
.LBB15_1775:
	s_mov_b64 s[0:1], 0
.LBB15_1776:
	s_andn2_b64 vcc, exec, s[0:1]
	s_cbranch_vccnz .LBB15_1781
; %bb.1777:
	v_cmp_gt_i16_e64 s[2:3], s16, 0
	s_mov_b64 s[0:1], -1
	s_and_b64 vcc, exec, s[2:3]
	s_cbranch_vccz .LBB15_1779
; %bb.1778:
	v_cvt_i32_f64_e32 v2, v[12:13]
	global_store_byte v[0:1], v2, off
	s_mov_b64 s[0:1], 0
.LBB15_1779:
	s_andn2_b64 vcc, exec, s[0:1]
	s_cbranch_vccnz .LBB15_1781
; %bb.1780:
	v_trunc_f64_e32 v[2:3], v[12:13]
	s_movk_i32 s0, 0xffe0
	s_waitcnt vmcnt(0)
	v_ldexp_f64 v[4:5], v[2:3], s0
	v_floor_f64_e32 v[4:5], v[4:5]
	v_fmac_f64_e32 v[2:3], 0xc1f00000, v[4:5]
	v_cvt_u32_f64_e32 v2, v[2:3]
	global_store_byte v[0:1], v2, off
	s_endpgm
.LBB15_1781:
	s_endpgm
.LBB15_1782:
	s_mov_b64 s[0:1], -1
                                        ; implicit-def: $vgpr12_vgpr13
.LBB15_1783:
	s_andn2_b64 vcc, exec, s[0:1]
	s_cbranch_vccnz .LBB15_1785
; %bb.1784:
	s_waitcnt vmcnt(0)
	v_pk_mov_b32 v[12:13], v[16:17], v[16:17] op_sel:[0,1]
.LBB15_1785:
	s_load_dword s0, s[34:35], 0x168
	v_mov_b32_e32 v3, s9
	s_waitcnt vmcnt(0)
	v_add_co_u32_e32 v16, vcc, s8, v2
	v_addc_co_u32_e32 v17, vcc, 0, v3, vcc
	s_waitcnt lgkmcnt(0)
	s_and_b32 s16, s0, 0xff
	v_cmp_lt_i16_e64 s[4:5], s16, 11
	s_and_b64 vcc, exec, s[4:5]
	s_cbranch_vccnz .LBB15_1792
; %bb.1786:
	v_cmp_gt_i16_e64 s[0:1], s16, 25
	s_mov_b64 s[12:13], -1
	s_mov_b64 s[6:7], 0
	s_and_b64 vcc, exec, s[0:1]
	s_mov_b64 s[10:11], 0
	s_mov_b64 s[0:1], 0
	s_cbranch_vccz .LBB15_1824
; %bb.1787:
	v_cmp_gt_i16_e64 s[0:1], s16, 28
	s_and_b64 vcc, exec, s[0:1]
	s_cbranch_vccz .LBB15_1793
; %bb.1788:
	v_cmp_gt_i16_e64 s[0:1], s16, 43
	s_and_b64 vcc, exec, s[0:1]
	;; [unrolled: 4-line block ×3, first 2 shown]
	s_cbranch_vccz .LBB15_1796
; %bb.1790:
	v_cmp_eq_u16_e64 s[10:11], s16, 46
	s_mov_b64 s[0:1], -1
	s_mov_b64 s[12:13], 0
	s_and_b64 vcc, exec, s[10:11]
	s_mov_b64 s[10:11], 0
	s_cbranch_vccz .LBB15_1797
; %bb.1791:
	v_cvt_f32_f64_e32 v2, v[0:1]
	v_bfe_u32 v3, v2, 16, 1
	s_movk_i32 s0, 0x7fff
	v_add3_u32 v3, v2, v3, s0
	v_lshrrev_b32_e32 v3, 16, v3
	v_mov_b32_e32 v7, 0x7fc0
	v_cmp_o_f32_e32 vcc, v2, v2
	v_cndmask_b32_e32 v2, v7, v3, vcc
	global_store_dword v[16:17], v2, off
	s_mov_b64 s[0:1], 0
	s_mov_b64 s[10:11], -1
	s_branch .LBB15_1797
.LBB15_1792:
	s_mov_b64 s[0:1], -1
	s_mov_b64 s[10:11], 0
	s_branch .LBB15_1868
.LBB15_1793:
	s_mov_b64 s[0:1], 0
	s_branch .LBB15_1807
.LBB15_1794:
	s_mov_b64 s[0:1], 0
	s_branch .LBB15_1803
.LBB15_1795:
	s_trap 2
	s_or_b64 s[2:3], s[2:3], exec
                                        ; implicit-def: $vgpr16_vgpr17
	s_cbranch_execz .LBB15_1677
	s_branch .LBB15_1678
.LBB15_1796:
	s_mov_b64 s[0:1], 0
.LBB15_1797:
	s_and_b64 vcc, exec, s[12:13]
	s_cbranch_vccz .LBB15_1802
; %bb.1798:
	v_cmp_eq_u16_e64 s[12:13], s16, 44
	s_mov_b64 s[0:1], -1
	s_and_b64 vcc, exec, s[12:13]
	s_cbranch_vccz .LBB15_1802
; %bb.1799:
	v_cvt_f32_f64_e32 v2, v[0:1]
	v_bfe_u32 v3, v2, 23, 8
	s_movk_i32 s0, 0xff
	v_cmp_ne_u32_e32 vcc, s0, v3
	v_mov_b32_e32 v7, 0xff
	s_and_saveexec_b64 s[10:11], vcc
; %bb.1800:
	s_mov_b32 s0, 0x3fffff
	v_lshrrev_b32_e32 v7, 23, v2
	v_and_b32_e32 v11, 0x400000, v2
	v_and_or_b32 v2, v2, s0, v3
	v_cmp_ne_u32_e32 vcc, 0, v11
	v_cmp_ne_u32_e64 s[0:1], 0, v2
	s_and_b64 s[0:1], vcc, s[0:1]
	v_cndmask_b32_e64 v2, 0, 1, s[0:1]
	v_add_u32_e32 v7, v7, v2
; %bb.1801:
	s_or_b64 exec, exec, s[10:11]
	s_mov_b64 s[0:1], 0
	s_mov_b64 s[10:11], -1
	global_store_byte v[16:17], v7, off
.LBB15_1802:
	s_mov_b64 s[12:13], 0
.LBB15_1803:
	s_and_b64 vcc, exec, s[12:13]
	s_cbranch_vccz .LBB15_1806
; %bb.1804:
	v_cmp_eq_u16_e64 s[12:13], s16, 29
	s_mov_b64 s[0:1], -1
	s_and_b64 vcc, exec, s[12:13]
	s_cbranch_vccz .LBB15_1806
; %bb.1805:
	v_trunc_f64_e32 v[2:3], v[0:1]
	s_movk_i32 s0, 0xffe0
	v_ldexp_f64 v[18:19], v[2:3], s0
	v_floor_f64_e32 v[18:19], v[18:19]
	v_fmac_f64_e32 v[2:3], 0xc1f00000, v[18:19]
	v_cvt_u32_f64_e32 v21, v[18:19]
	v_cvt_u32_f64_e32 v20, v[2:3]
	global_store_dwordx2 v[16:17], v[20:21], off
	s_mov_b64 s[0:1], 0
	s_mov_b64 s[10:11], -1
.LBB15_1806:
	s_mov_b64 s[12:13], 0
.LBB15_1807:
	s_and_b64 vcc, exec, s[12:13]
	s_cbranch_vccz .LBB15_1823
; %bb.1808:
	v_cmp_lt_i16_e64 s[12:13], s16, 27
	s_mov_b64 s[10:11], -1
	s_and_b64 vcc, exec, s[12:13]
	s_cbranch_vccnz .LBB15_1814
; %bb.1809:
	v_cmp_gt_i16_e64 s[12:13], s16, 27
	s_and_b64 vcc, exec, s[12:13]
	v_cvt_u32_f64_e32 v2, v[0:1]
	s_cbranch_vccz .LBB15_1811
; %bb.1810:
	s_mov_b64 s[10:11], 0
	global_store_dword v[16:17], v2, off
.LBB15_1811:
	s_andn2_b64 vcc, exec, s[10:11]
	s_cbranch_vccnz .LBB15_1813
; %bb.1812:
	global_store_short v[16:17], v2, off
.LBB15_1813:
	s_mov_b64 s[10:11], 0
.LBB15_1814:
	s_andn2_b64 vcc, exec, s[10:11]
	s_cbranch_vccnz .LBB15_1822
; %bb.1815:
	v_cvt_f32_f64_e32 v2, v[0:1]
	v_and_b32_e32 v3, 0x7fffffff, v2
	s_mov_b32 s10, 0x43800000
	v_cmp_gt_u32_e32 vcc, s10, v3
	v_mov_b32_e32 v7, 0x80
	s_and_saveexec_b64 s[10:11], vcc
	s_cbranch_execz .LBB15_1821
; %bb.1816:
	s_mov_b32 s12, 0x3bffffff
	v_cmp_lt_u32_e32 vcc, s12, v3
	s_mov_b64 s[12:13], 0
                                        ; implicit-def: $vgpr3
	s_and_saveexec_b64 s[14:15], vcc
	s_xor_b64 s[14:15], exec, s[14:15]
	s_cbranch_execz .LBB15_1917
; %bb.1817:
	v_bfe_u32 v3, v2, 20, 1
	s_mov_b32 s17, 0x487ffff
	v_add3_u32 v3, v2, v3, s17
	s_mov_b64 s[12:13], exec
	v_lshrrev_b32_e32 v3, 20, v3
	s_or_saveexec_b64 s[14:15], s[14:15]
                                        ; implicit-def: $sgpr17
	s_xor_b64 exec, exec, s[14:15]
	s_cbranch_execnz .LBB15_1918
.LBB15_1818:
	s_or_b64 exec, exec, s[14:15]
	v_mov_b32_e32 v7, s17
	s_and_saveexec_b64 s[14:15], s[12:13]
.LBB15_1819:
	v_lshrrev_b32_e32 v2, 24, v2
	s_movk_i32 s12, 0x80
	v_and_or_b32 v7, v2, s12, v3
.LBB15_1820:
	s_or_b64 exec, exec, s[14:15]
.LBB15_1821:
	s_or_b64 exec, exec, s[10:11]
	global_store_byte v[16:17], v7, off
.LBB15_1822:
	s_mov_b64 s[10:11], -1
.LBB15_1823:
	s_mov_b64 s[12:13], 0
.LBB15_1824:
	s_and_b64 vcc, exec, s[12:13]
	s_cbranch_vccz .LBB15_1864
; %bb.1825:
	v_cmp_gt_i16_e64 s[12:13], s16, 22
	s_mov_b64 s[6:7], -1
	s_and_b64 vcc, exec, s[12:13]
	s_cbranch_vccz .LBB15_1857
; %bb.1826:
	v_cmp_lt_i16_e64 s[10:11], s16, 24
	s_and_b64 vcc, exec, s[10:11]
	s_cbranch_vccnz .LBB15_1846
; %bb.1827:
	v_cmp_gt_i16_e64 s[10:11], s16, 24
	s_and_b64 vcc, exec, s[10:11]
	s_cbranch_vccz .LBB15_1835
; %bb.1828:
	v_cvt_f32_f64_e32 v2, v[0:1]
	v_and_b32_e32 v3, 0x7fffffff, v2
	s_mov_b32 s6, 0x47800000
	v_cmp_gt_u32_e32 vcc, s6, v3
	v_mov_b32_e32 v7, 0x80
	s_and_saveexec_b64 s[6:7], vcc
	s_cbranch_execz .LBB15_1834
; %bb.1829:
	s_mov_b32 s10, 0x37ffffff
	v_cmp_lt_u32_e32 vcc, s10, v3
	s_mov_b64 s[10:11], 0
                                        ; implicit-def: $vgpr3
	s_and_saveexec_b64 s[12:13], vcc
	s_xor_b64 s[12:13], exec, s[12:13]
	s_cbranch_execz .LBB15_1921
; %bb.1830:
	v_bfe_u32 v3, v2, 21, 1
	s_mov_b32 s14, 0x88fffff
	v_add3_u32 v3, v2, v3, s14
	s_mov_b64 s[10:11], exec
	v_lshrrev_b32_e32 v3, 21, v3
	s_or_saveexec_b64 s[12:13], s[12:13]
                                        ; implicit-def: $sgpr14
	s_xor_b64 exec, exec, s[12:13]
	s_cbranch_execnz .LBB15_1922
.LBB15_1831:
	s_or_b64 exec, exec, s[12:13]
	v_mov_b32_e32 v7, s14
	s_and_saveexec_b64 s[12:13], s[10:11]
.LBB15_1832:
	v_lshrrev_b32_e32 v2, 24, v2
	s_movk_i32 s10, 0x80
	v_and_or_b32 v7, v2, s10, v3
.LBB15_1833:
	s_or_b64 exec, exec, s[12:13]
.LBB15_1834:
	s_or_b64 exec, exec, s[6:7]
	s_mov_b64 s[6:7], 0
	global_store_byte v[16:17], v7, off
.LBB15_1835:
	s_and_b64 vcc, exec, s[6:7]
	s_cbranch_vccz .LBB15_1845
; %bb.1836:
	v_cvt_f32_f64_e32 v2, v[0:1]
	v_and_b32_e32 v7, 0x7fffffff, v2
	s_mov_b32 s6, 0x43f00000
	v_cmp_gt_u32_e32 vcc, s6, v7
                                        ; implicit-def: $vgpr3
	s_and_saveexec_b64 s[6:7], vcc
	s_xor_b64 s[6:7], exec, s[6:7]
	s_cbranch_execz .LBB15_1842
; %bb.1837:
	s_mov_b32 s10, 0x3c7fffff
	v_cmp_lt_u32_e32 vcc, s10, v7
                                        ; implicit-def: $vgpr3
	s_and_saveexec_b64 s[10:11], vcc
	s_xor_b64 s[10:11], exec, s[10:11]
; %bb.1838:
	v_bfe_u32 v3, v2, 20, 1
	s_mov_b32 s12, 0x407ffff
	v_add3_u32 v3, v2, v3, s12
	v_lshrrev_b32_e32 v7, 20, v3
	v_and_b32_e32 v3, 0xff00000, v3
	s_mov_b32 s12, 0x7f00000
	v_mov_b32_e32 v11, 0x7e
	v_cmp_ne_u32_e32 vcc, s12, v3
	v_cndmask_b32_e32 v3, v11, v7, vcc
; %bb.1839:
	s_andn2_saveexec_b64 s[10:11], s[10:11]
; %bb.1840:
	s_mov_b32 s12, 0x46800000
	v_add_f32_e64 v3, |v2|, s12
; %bb.1841:
	s_or_b64 exec, exec, s[10:11]
                                        ; implicit-def: $vgpr7
.LBB15_1842:
	s_andn2_saveexec_b64 s[6:7], s[6:7]
; %bb.1843:
	s_mov_b32 s10, 0x7f800000
	v_mov_b32_e32 v3, 0x7e
	v_mov_b32_e32 v11, 0x7f
	v_cmp_lt_u32_e32 vcc, s10, v7
	v_cndmask_b32_e32 v3, v3, v11, vcc
; %bb.1844:
	s_or_b64 exec, exec, s[6:7]
	v_lshrrev_b32_e32 v2, 24, v2
	s_movk_i32 s6, 0x80
	v_and_or_b32 v2, v2, s6, v3
	global_store_byte v[16:17], v2, off
.LBB15_1845:
	s_mov_b64 s[6:7], 0
.LBB15_1846:
	s_andn2_b64 vcc, exec, s[6:7]
	s_cbranch_vccnz .LBB15_1856
; %bb.1847:
	v_cvt_f32_f64_e32 v2, v[0:1]
	v_and_b32_e32 v7, 0x7fffffff, v2
	s_mov_b32 s6, 0x47800000
	v_cmp_gt_u32_e32 vcc, s6, v7
                                        ; implicit-def: $vgpr3
	s_and_saveexec_b64 s[6:7], vcc
	s_xor_b64 s[6:7], exec, s[6:7]
	s_cbranch_execz .LBB15_1853
; %bb.1848:
	s_mov_b32 s10, 0x387fffff
	v_cmp_lt_u32_e32 vcc, s10, v7
                                        ; implicit-def: $vgpr3
	s_and_saveexec_b64 s[10:11], vcc
	s_xor_b64 s[10:11], exec, s[10:11]
; %bb.1849:
	v_bfe_u32 v3, v2, 21, 1
	s_mov_b32 s12, 0x80fffff
	v_add3_u32 v3, v2, v3, s12
	v_lshrrev_b32_e32 v3, 21, v3
; %bb.1850:
	s_andn2_saveexec_b64 s[10:11], s[10:11]
; %bb.1851:
	s_mov_b32 s12, 0x43000000
	v_add_f32_e64 v3, |v2|, s12
; %bb.1852:
	s_or_b64 exec, exec, s[10:11]
                                        ; implicit-def: $vgpr7
.LBB15_1853:
	s_andn2_saveexec_b64 s[6:7], s[6:7]
; %bb.1854:
	s_mov_b32 s10, 0x7f800000
	v_mov_b32_e32 v3, 0x7c
	v_mov_b32_e32 v11, 0x7f
	v_cmp_lt_u32_e32 vcc, s10, v7
	v_cndmask_b32_e32 v3, v3, v11, vcc
; %bb.1855:
	s_or_b64 exec, exec, s[6:7]
	v_lshrrev_b32_e32 v2, 24, v2
	s_movk_i32 s6, 0x80
	v_and_or_b32 v2, v2, s6, v3
	global_store_byte v[16:17], v2, off
.LBB15_1856:
	s_mov_b64 s[6:7], 0
	s_mov_b64 s[10:11], -1
.LBB15_1857:
	s_andn2_b64 vcc, exec, s[6:7]
	s_mov_b64 s[6:7], 0
	s_cbranch_vccnz .LBB15_1864
; %bb.1858:
	v_cmp_gt_i16_e64 s[6:7], s16, 14
	s_mov_b64 s[12:13], -1
	s_and_b64 vcc, exec, s[6:7]
	s_cbranch_vccz .LBB15_1862
; %bb.1859:
	v_cmp_eq_u16_e64 s[6:7], s16, 15
	s_mov_b64 s[0:1], -1
	s_and_b64 vcc, exec, s[6:7]
	s_cbranch_vccz .LBB15_1861
; %bb.1860:
	v_cvt_f32_f64_e32 v2, v[0:1]
	v_bfe_u32 v3, v2, 16, 1
	s_movk_i32 s0, 0x7fff
	v_add3_u32 v3, v2, v3, s0
	v_lshrrev_b32_e32 v3, 16, v3
	v_mov_b32_e32 v7, 0x7fc0
	v_cmp_o_f32_e32 vcc, v2, v2
	v_cndmask_b32_e32 v2, v7, v3, vcc
	global_store_short v[16:17], v2, off
	s_mov_b64 s[0:1], 0
	s_mov_b64 s[10:11], -1
.LBB15_1861:
	s_mov_b64 s[12:13], 0
.LBB15_1862:
	s_mov_b64 s[6:7], 0
	s_and_b64 vcc, exec, s[12:13]
	s_cbranch_vccz .LBB15_1864
; %bb.1863:
	v_cmp_ne_u16_e64 s[0:1], s16, 11
	s_mov_b64 s[6:7], -1
.LBB15_1864:
	s_and_b64 vcc, exec, s[0:1]
	s_cbranch_vccnz .LBB15_1920
; %bb.1865:
	s_andn2_b64 vcc, exec, s[6:7]
	s_cbranch_vccnz .LBB15_1867
.LBB15_1866:
	v_cmp_neq_f64_e32 vcc, 0, v[0:1]
	v_cndmask_b32_e64 v2, 0, 1, vcc
	s_mov_b64 s[10:11], -1
	global_store_byte v[16:17], v2, off
.LBB15_1867:
	s_mov_b64 s[0:1], 0
.LBB15_1868:
	s_and_b64 vcc, exec, s[0:1]
	s_cbranch_vccz .LBB15_1907
; %bb.1869:
	v_cmp_lt_i16_e64 s[6:7], s16, 5
	s_mov_b64 s[0:1], -1
	s_and_b64 vcc, exec, s[6:7]
	s_cbranch_vccnz .LBB15_1890
; %bb.1870:
	v_cmp_lt_i16_e64 s[6:7], s16, 8
	s_and_b64 vcc, exec, s[6:7]
	s_cbranch_vccnz .LBB15_1880
; %bb.1871:
	v_cmp_lt_i16_e64 s[6:7], s16, 9
	s_and_b64 vcc, exec, s[6:7]
	s_cbranch_vccnz .LBB15_1877
; %bb.1872:
	v_cmp_gt_i16_e64 s[6:7], s16, 9
	s_and_b64 vcc, exec, s[6:7]
	s_cbranch_vccz .LBB15_1874
; %bb.1873:
	v_mov_b32_e32 v2, 0
	v_mov_b32_e32 v3, v2
	global_store_dwordx4 v[16:17], v[0:3], off
	s_mov_b64 s[0:1], 0
.LBB15_1874:
	s_andn2_b64 vcc, exec, s[0:1]
	s_cbranch_vccnz .LBB15_1876
; %bb.1875:
	v_cvt_f32_f64_e32 v2, v[0:1]
	v_mov_b32_e32 v3, 0
	global_store_dwordx2 v[16:17], v[2:3], off
.LBB15_1876:
	s_mov_b64 s[0:1], 0
.LBB15_1877:
	s_andn2_b64 vcc, exec, s[0:1]
	s_cbranch_vccnz .LBB15_1879
; %bb.1878:
	v_cvt_f32_f64_e32 v2, v[0:1]
	v_cvt_f16_f32_e32 v2, v2
	global_store_dword v[16:17], v2, off
.LBB15_1879:
	s_mov_b64 s[0:1], 0
.LBB15_1880:
	s_andn2_b64 vcc, exec, s[0:1]
	s_cbranch_vccnz .LBB15_1889
; %bb.1881:
	v_cmp_lt_i16_e64 s[6:7], s16, 6
	s_mov_b64 s[0:1], -1
	s_and_b64 vcc, exec, s[6:7]
	s_cbranch_vccnz .LBB15_1887
; %bb.1882:
	v_cmp_gt_i16_e64 s[6:7], s16, 6
	s_and_b64 vcc, exec, s[6:7]
	s_cbranch_vccz .LBB15_1884
; %bb.1883:
	global_store_dwordx2 v[16:17], v[0:1], off
	s_mov_b64 s[0:1], 0
.LBB15_1884:
	s_andn2_b64 vcc, exec, s[0:1]
	s_cbranch_vccnz .LBB15_1886
; %bb.1885:
	v_cvt_f32_f64_e32 v2, v[0:1]
	global_store_dword v[16:17], v2, off
.LBB15_1886:
	s_mov_b64 s[0:1], 0
.LBB15_1887:
	s_andn2_b64 vcc, exec, s[0:1]
	s_cbranch_vccnz .LBB15_1889
; %bb.1888:
	v_cvt_f32_f64_e32 v2, v[0:1]
	v_cvt_f16_f32_e32 v2, v2
	global_store_short v[16:17], v2, off
.LBB15_1889:
	s_mov_b64 s[0:1], 0
.LBB15_1890:
	s_andn2_b64 vcc, exec, s[0:1]
	s_cbranch_vccnz .LBB15_1906
; %bb.1891:
	v_cmp_lt_i16_e64 s[6:7], s16, 2
	s_mov_b64 s[0:1], -1
	s_and_b64 vcc, exec, s[6:7]
	s_cbranch_vccnz .LBB15_1901
; %bb.1892:
	v_cmp_lt_i16_e64 s[6:7], s16, 3
	s_and_b64 vcc, exec, s[6:7]
	s_cbranch_vccnz .LBB15_1898
; %bb.1893:
	v_cmp_gt_i16_e64 s[6:7], s16, 3
	s_and_b64 vcc, exec, s[6:7]
	s_cbranch_vccz .LBB15_1895
; %bb.1894:
	v_trunc_f64_e32 v[2:3], v[0:1]
	s_movk_i32 s0, 0xffe0
	v_ldexp_f64 v[18:19], v[2:3], s0
	v_floor_f64_e32 v[18:19], v[18:19]
	v_fmac_f64_e32 v[2:3], 0xc1f00000, v[18:19]
	v_cvt_i32_f64_e32 v21, v[18:19]
	v_cvt_u32_f64_e32 v20, v[2:3]
	global_store_dwordx2 v[16:17], v[20:21], off
	s_mov_b64 s[0:1], 0
.LBB15_1895:
	s_andn2_b64 vcc, exec, s[0:1]
	s_cbranch_vccnz .LBB15_1897
; %bb.1896:
	v_cvt_i32_f64_e32 v2, v[0:1]
	global_store_dword v[16:17], v2, off
.LBB15_1897:
	s_mov_b64 s[0:1], 0
.LBB15_1898:
	s_andn2_b64 vcc, exec, s[0:1]
	s_cbranch_vccnz .LBB15_1900
; %bb.1899:
	v_cvt_i32_f64_e32 v2, v[0:1]
	global_store_short v[16:17], v2, off
.LBB15_1900:
	s_mov_b64 s[0:1], 0
.LBB15_1901:
	s_andn2_b64 vcc, exec, s[0:1]
	s_cbranch_vccnz .LBB15_1906
; %bb.1902:
	v_cmp_gt_i16_e64 s[6:7], s16, 0
	s_mov_b64 s[0:1], -1
	s_and_b64 vcc, exec, s[6:7]
	s_cbranch_vccz .LBB15_1904
; %bb.1903:
	v_cvt_i32_f64_e32 v2, v[0:1]
	global_store_byte v[16:17], v2, off
	s_mov_b64 s[0:1], 0
.LBB15_1904:
	s_andn2_b64 vcc, exec, s[0:1]
	s_cbranch_vccnz .LBB15_1906
; %bb.1905:
	v_trunc_f64_e32 v[0:1], v[0:1]
	s_movk_i32 s0, 0xffe0
	v_ldexp_f64 v[2:3], v[0:1], s0
	v_floor_f64_e32 v[2:3], v[2:3]
	v_fmac_f64_e32 v[0:1], 0xc1f00000, v[2:3]
	v_cvt_u32_f64_e32 v0, v[0:1]
	global_store_byte v[16:17], v0, off
.LBB15_1906:
	s_mov_b64 s[10:11], -1
.LBB15_1907:
	s_andn2_b64 vcc, exec, s[10:11]
	s_cbranch_vccnz .LBB15_2170
; %bb.1908:
	v_mov_b32_e32 v1, s9
	v_add_co_u32_e32 v0, vcc, s8, v6
	v_addc_co_u32_e32 v1, vcc, 0, v1, vcc
	s_and_b64 vcc, exec, s[4:5]
	s_cbranch_vccnz .LBB15_1915
; %bb.1909:
	v_cmp_gt_i16_e64 s[0:1], s16, 25
	s_mov_b64 s[12:13], -1
	s_mov_b64 s[6:7], 0
	s_and_b64 vcc, exec, s[0:1]
	s_mov_b64 s[10:11], 0
	s_mov_b64 s[0:1], 0
	s_cbranch_vccz .LBB15_1951
; %bb.1910:
	v_cmp_gt_i16_e64 s[0:1], s16, 28
	s_and_b64 vcc, exec, s[0:1]
	s_cbranch_vccz .LBB15_1916
; %bb.1911:
	v_cmp_gt_i16_e64 s[0:1], s16, 43
	s_and_b64 vcc, exec, s[0:1]
	;; [unrolled: 4-line block ×3, first 2 shown]
	s_cbranch_vccz .LBB15_1923
; %bb.1913:
	v_cmp_eq_u16_e64 s[10:11], s16, 46
	s_mov_b64 s[0:1], -1
	s_mov_b64 s[12:13], 0
	s_and_b64 vcc, exec, s[10:11]
	s_mov_b64 s[10:11], 0
	s_cbranch_vccz .LBB15_1924
; %bb.1914:
	v_cvt_f32_f64_e32 v2, v[4:5]
	v_bfe_u32 v3, v2, 16, 1
	s_movk_i32 s0, 0x7fff
	v_add3_u32 v3, v2, v3, s0
	v_lshrrev_b32_e32 v3, 16, v3
	v_mov_b32_e32 v6, 0x7fc0
	v_cmp_o_f32_e32 vcc, v2, v2
	v_cndmask_b32_e32 v2, v6, v3, vcc
	global_store_dword v[0:1], v2, off
	s_mov_b64 s[0:1], 0
	s_mov_b64 s[10:11], -1
	s_branch .LBB15_1924
.LBB15_1915:
	s_mov_b64 s[0:1], -1
	s_mov_b64 s[10:11], 0
	s_branch .LBB15_1995
.LBB15_1916:
	s_mov_b64 s[0:1], 0
	s_branch .LBB15_1934
.LBB15_1917:
	s_or_saveexec_b64 s[14:15], s[14:15]
                                        ; implicit-def: $sgpr17
	s_xor_b64 exec, exec, s[14:15]
	s_cbranch_execz .LBB15_1818
.LBB15_1918:
	s_mov_b32 s17, 0x46000000
	v_add_f32_e64 v3, |v2|, s17
	v_and_b32_e32 v3, 0xff, v3
	v_cmp_ne_u32_e32 vcc, 0, v3
	s_andn2_b64 s[12:13], s[12:13], exec
	s_and_b64 s[18:19], vcc, exec
	s_mov_b32 s17, 0
	s_or_b64 s[12:13], s[12:13], s[18:19]
	s_or_b64 exec, exec, s[14:15]
	v_mov_b32_e32 v7, s17
	s_and_saveexec_b64 s[14:15], s[12:13]
	s_cbranch_execnz .LBB15_1819
	s_branch .LBB15_1820
.LBB15_1919:
	s_mov_b64 s[0:1], 0
	s_branch .LBB15_1930
.LBB15_1920:
	s_trap 2
	s_or_b64 s[2:3], s[2:3], exec
	s_cbranch_execz .LBB15_1866
	s_branch .LBB15_1867
.LBB15_1921:
	s_or_saveexec_b64 s[12:13], s[12:13]
                                        ; implicit-def: $sgpr14
	s_xor_b64 exec, exec, s[12:13]
	s_cbranch_execz .LBB15_1831
.LBB15_1922:
	s_mov_b32 s14, 0x42800000
	v_add_f32_e64 v3, |v2|, s14
	v_and_b32_e32 v3, 0xff, v3
	v_cmp_ne_u32_e32 vcc, 0, v3
	s_andn2_b64 s[10:11], s[10:11], exec
	s_and_b64 s[18:19], vcc, exec
	s_mov_b32 s14, 0
	s_or_b64 s[10:11], s[10:11], s[18:19]
	s_or_b64 exec, exec, s[12:13]
	v_mov_b32_e32 v7, s14
	s_and_saveexec_b64 s[12:13], s[10:11]
	s_cbranch_execnz .LBB15_1832
	s_branch .LBB15_1833
.LBB15_1923:
	s_mov_b64 s[0:1], 0
.LBB15_1924:
	s_and_b64 vcc, exec, s[12:13]
	s_cbranch_vccz .LBB15_1929
; %bb.1925:
	v_cmp_eq_u16_e64 s[12:13], s16, 44
	s_mov_b64 s[0:1], -1
	s_and_b64 vcc, exec, s[12:13]
	s_cbranch_vccz .LBB15_1929
; %bb.1926:
	v_cvt_f32_f64_e32 v2, v[4:5]
	v_bfe_u32 v3, v2, 23, 8
	s_movk_i32 s0, 0xff
	v_cmp_ne_u32_e32 vcc, s0, v3
	v_mov_b32_e32 v6, 0xff
	s_and_saveexec_b64 s[10:11], vcc
; %bb.1927:
	s_mov_b32 s0, 0x3fffff
	v_lshrrev_b32_e32 v6, 23, v2
	v_and_b32_e32 v7, 0x400000, v2
	v_and_or_b32 v2, v2, s0, v3
	v_cmp_ne_u32_e32 vcc, 0, v7
	v_cmp_ne_u32_e64 s[0:1], 0, v2
	s_and_b64 s[0:1], vcc, s[0:1]
	v_cndmask_b32_e64 v2, 0, 1, s[0:1]
	v_add_u32_e32 v6, v6, v2
; %bb.1928:
	s_or_b64 exec, exec, s[10:11]
	s_mov_b64 s[0:1], 0
	s_mov_b64 s[10:11], -1
	global_store_byte v[0:1], v6, off
.LBB15_1929:
	s_mov_b64 s[12:13], 0
.LBB15_1930:
	s_and_b64 vcc, exec, s[12:13]
	s_cbranch_vccz .LBB15_1933
; %bb.1931:
	v_cmp_eq_u16_e64 s[12:13], s16, 29
	s_mov_b64 s[0:1], -1
	s_and_b64 vcc, exec, s[12:13]
	s_cbranch_vccz .LBB15_1933
; %bb.1932:
	v_trunc_f64_e32 v[2:3], v[4:5]
	s_movk_i32 s0, 0xffe0
	v_ldexp_f64 v[6:7], v[2:3], s0
	v_floor_f64_e32 v[6:7], v[6:7]
	v_fmac_f64_e32 v[2:3], 0xc1f00000, v[6:7]
	v_cvt_u32_f64_e32 v17, v[6:7]
	v_cvt_u32_f64_e32 v16, v[2:3]
	global_store_dwordx2 v[0:1], v[16:17], off
	s_mov_b64 s[0:1], 0
	s_mov_b64 s[10:11], -1
.LBB15_1933:
	s_mov_b64 s[12:13], 0
.LBB15_1934:
	s_and_b64 vcc, exec, s[12:13]
	s_cbranch_vccz .LBB15_1950
; %bb.1935:
	v_cmp_lt_i16_e64 s[12:13], s16, 27
	s_mov_b64 s[10:11], -1
	s_and_b64 vcc, exec, s[12:13]
	s_cbranch_vccnz .LBB15_1941
; %bb.1936:
	v_cmp_gt_i16_e64 s[12:13], s16, 27
	s_and_b64 vcc, exec, s[12:13]
	s_cbranch_vccz .LBB15_1938
; %bb.1937:
	v_cvt_u32_f64_e32 v2, v[4:5]
	s_mov_b64 s[10:11], 0
	global_store_dword v[0:1], v2, off
.LBB15_1938:
	s_andn2_b64 vcc, exec, s[10:11]
	s_cbranch_vccnz .LBB15_1940
; %bb.1939:
	v_cvt_u32_f64_e32 v2, v[4:5]
	global_store_short v[0:1], v2, off
.LBB15_1940:
	s_mov_b64 s[10:11], 0
.LBB15_1941:
	s_andn2_b64 vcc, exec, s[10:11]
	s_cbranch_vccnz .LBB15_1949
; %bb.1942:
	v_cvt_f32_f64_e32 v2, v[4:5]
	v_and_b32_e32 v3, 0x7fffffff, v2
	s_mov_b32 s10, 0x43800000
	v_cmp_gt_u32_e32 vcc, s10, v3
	v_mov_b32_e32 v6, 0x80
	s_and_saveexec_b64 s[10:11], vcc
	s_cbranch_execz .LBB15_1948
; %bb.1943:
	s_mov_b32 s12, 0x3bffffff
	v_cmp_lt_u32_e32 vcc, s12, v3
	s_mov_b64 s[12:13], 0
                                        ; implicit-def: $vgpr3
	s_and_saveexec_b64 s[14:15], vcc
	s_xor_b64 s[14:15], exec, s[14:15]
	s_cbranch_execz .LBB15_2044
; %bb.1944:
	v_bfe_u32 v3, v2, 20, 1
	s_mov_b32 s17, 0x487ffff
	v_add3_u32 v3, v2, v3, s17
	s_mov_b64 s[12:13], exec
	v_lshrrev_b32_e32 v3, 20, v3
	s_or_saveexec_b64 s[14:15], s[14:15]
                                        ; implicit-def: $sgpr17
	s_xor_b64 exec, exec, s[14:15]
	s_cbranch_execnz .LBB15_2045
.LBB15_1945:
	s_or_b64 exec, exec, s[14:15]
	v_mov_b32_e32 v6, s17
	s_and_saveexec_b64 s[14:15], s[12:13]
.LBB15_1946:
	v_lshrrev_b32_e32 v2, 24, v2
	s_movk_i32 s12, 0x80
	v_and_or_b32 v6, v2, s12, v3
.LBB15_1947:
	s_or_b64 exec, exec, s[14:15]
.LBB15_1948:
	s_or_b64 exec, exec, s[10:11]
	global_store_byte v[0:1], v6, off
.LBB15_1949:
	s_mov_b64 s[10:11], -1
.LBB15_1950:
	s_mov_b64 s[12:13], 0
.LBB15_1951:
	s_and_b64 vcc, exec, s[12:13]
	s_cbranch_vccz .LBB15_1991
; %bb.1952:
	v_cmp_gt_i16_e64 s[12:13], s16, 22
	s_mov_b64 s[6:7], -1
	s_and_b64 vcc, exec, s[12:13]
	s_cbranch_vccz .LBB15_1984
; %bb.1953:
	v_cmp_lt_i16_e64 s[10:11], s16, 24
	s_and_b64 vcc, exec, s[10:11]
	s_cbranch_vccnz .LBB15_1973
; %bb.1954:
	v_cmp_gt_i16_e64 s[10:11], s16, 24
	s_and_b64 vcc, exec, s[10:11]
	s_cbranch_vccz .LBB15_1962
; %bb.1955:
	v_cvt_f32_f64_e32 v2, v[4:5]
	v_and_b32_e32 v3, 0x7fffffff, v2
	s_mov_b32 s6, 0x47800000
	v_cmp_gt_u32_e32 vcc, s6, v3
	v_mov_b32_e32 v6, 0x80
	s_and_saveexec_b64 s[6:7], vcc
	s_cbranch_execz .LBB15_1961
; %bb.1956:
	s_mov_b32 s10, 0x37ffffff
	v_cmp_lt_u32_e32 vcc, s10, v3
	s_mov_b64 s[10:11], 0
                                        ; implicit-def: $vgpr3
	s_and_saveexec_b64 s[12:13], vcc
	s_xor_b64 s[12:13], exec, s[12:13]
	s_cbranch_execz .LBB15_2048
; %bb.1957:
	v_bfe_u32 v3, v2, 21, 1
	s_mov_b32 s14, 0x88fffff
	v_add3_u32 v3, v2, v3, s14
	s_mov_b64 s[10:11], exec
	v_lshrrev_b32_e32 v3, 21, v3
	s_or_saveexec_b64 s[12:13], s[12:13]
                                        ; implicit-def: $sgpr14
	s_xor_b64 exec, exec, s[12:13]
	s_cbranch_execnz .LBB15_2049
.LBB15_1958:
	s_or_b64 exec, exec, s[12:13]
	v_mov_b32_e32 v6, s14
	s_and_saveexec_b64 s[12:13], s[10:11]
.LBB15_1959:
	v_lshrrev_b32_e32 v2, 24, v2
	s_movk_i32 s10, 0x80
	v_and_or_b32 v6, v2, s10, v3
.LBB15_1960:
	s_or_b64 exec, exec, s[12:13]
.LBB15_1961:
	s_or_b64 exec, exec, s[6:7]
	s_mov_b64 s[6:7], 0
	global_store_byte v[0:1], v6, off
.LBB15_1962:
	s_and_b64 vcc, exec, s[6:7]
	s_cbranch_vccz .LBB15_1972
; %bb.1963:
	v_cvt_f32_f64_e32 v2, v[4:5]
	v_and_b32_e32 v6, 0x7fffffff, v2
	s_mov_b32 s6, 0x43f00000
	v_cmp_gt_u32_e32 vcc, s6, v6
                                        ; implicit-def: $vgpr3
	s_and_saveexec_b64 s[6:7], vcc
	s_xor_b64 s[6:7], exec, s[6:7]
	s_cbranch_execz .LBB15_1969
; %bb.1964:
	s_mov_b32 s10, 0x3c7fffff
	v_cmp_lt_u32_e32 vcc, s10, v6
                                        ; implicit-def: $vgpr3
	s_and_saveexec_b64 s[10:11], vcc
	s_xor_b64 s[10:11], exec, s[10:11]
; %bb.1965:
	v_bfe_u32 v3, v2, 20, 1
	s_mov_b32 s12, 0x407ffff
	v_add3_u32 v3, v2, v3, s12
	v_lshrrev_b32_e32 v6, 20, v3
	v_and_b32_e32 v3, 0xff00000, v3
	s_mov_b32 s12, 0x7f00000
	v_mov_b32_e32 v7, 0x7e
	v_cmp_ne_u32_e32 vcc, s12, v3
	v_cndmask_b32_e32 v3, v7, v6, vcc
; %bb.1966:
	s_andn2_saveexec_b64 s[10:11], s[10:11]
; %bb.1967:
	s_mov_b32 s12, 0x46800000
	v_add_f32_e64 v3, |v2|, s12
; %bb.1968:
	s_or_b64 exec, exec, s[10:11]
                                        ; implicit-def: $vgpr6
.LBB15_1969:
	s_andn2_saveexec_b64 s[6:7], s[6:7]
; %bb.1970:
	s_mov_b32 s10, 0x7f800000
	v_mov_b32_e32 v3, 0x7e
	v_mov_b32_e32 v7, 0x7f
	v_cmp_lt_u32_e32 vcc, s10, v6
	v_cndmask_b32_e32 v3, v3, v7, vcc
; %bb.1971:
	s_or_b64 exec, exec, s[6:7]
	v_lshrrev_b32_e32 v2, 24, v2
	s_movk_i32 s6, 0x80
	v_and_or_b32 v2, v2, s6, v3
	global_store_byte v[0:1], v2, off
.LBB15_1972:
	s_mov_b64 s[6:7], 0
.LBB15_1973:
	s_andn2_b64 vcc, exec, s[6:7]
	s_cbranch_vccnz .LBB15_1983
; %bb.1974:
	v_cvt_f32_f64_e32 v2, v[4:5]
	v_and_b32_e32 v6, 0x7fffffff, v2
	s_mov_b32 s6, 0x47800000
	v_cmp_gt_u32_e32 vcc, s6, v6
                                        ; implicit-def: $vgpr3
	s_and_saveexec_b64 s[6:7], vcc
	s_xor_b64 s[6:7], exec, s[6:7]
	s_cbranch_execz .LBB15_1980
; %bb.1975:
	s_mov_b32 s10, 0x387fffff
	v_cmp_lt_u32_e32 vcc, s10, v6
                                        ; implicit-def: $vgpr3
	s_and_saveexec_b64 s[10:11], vcc
	s_xor_b64 s[10:11], exec, s[10:11]
; %bb.1976:
	v_bfe_u32 v3, v2, 21, 1
	s_mov_b32 s12, 0x80fffff
	v_add3_u32 v3, v2, v3, s12
	v_lshrrev_b32_e32 v3, 21, v3
; %bb.1977:
	s_andn2_saveexec_b64 s[10:11], s[10:11]
; %bb.1978:
	s_mov_b32 s12, 0x43000000
	v_add_f32_e64 v3, |v2|, s12
; %bb.1979:
	s_or_b64 exec, exec, s[10:11]
                                        ; implicit-def: $vgpr6
.LBB15_1980:
	s_andn2_saveexec_b64 s[6:7], s[6:7]
; %bb.1981:
	s_mov_b32 s10, 0x7f800000
	v_mov_b32_e32 v3, 0x7c
	v_mov_b32_e32 v7, 0x7f
	v_cmp_lt_u32_e32 vcc, s10, v6
	v_cndmask_b32_e32 v3, v3, v7, vcc
; %bb.1982:
	s_or_b64 exec, exec, s[6:7]
	v_lshrrev_b32_e32 v2, 24, v2
	s_movk_i32 s6, 0x80
	v_and_or_b32 v2, v2, s6, v3
	global_store_byte v[0:1], v2, off
.LBB15_1983:
	s_mov_b64 s[6:7], 0
	s_mov_b64 s[10:11], -1
.LBB15_1984:
	s_andn2_b64 vcc, exec, s[6:7]
	s_mov_b64 s[6:7], 0
	s_cbranch_vccnz .LBB15_1991
; %bb.1985:
	v_cmp_gt_i16_e64 s[6:7], s16, 14
	s_mov_b64 s[12:13], -1
	s_and_b64 vcc, exec, s[6:7]
	s_cbranch_vccz .LBB15_1989
; %bb.1986:
	v_cmp_eq_u16_e64 s[6:7], s16, 15
	s_mov_b64 s[0:1], -1
	s_and_b64 vcc, exec, s[6:7]
	s_cbranch_vccz .LBB15_1988
; %bb.1987:
	v_cvt_f32_f64_e32 v2, v[4:5]
	v_bfe_u32 v3, v2, 16, 1
	s_movk_i32 s0, 0x7fff
	v_add3_u32 v3, v2, v3, s0
	v_lshrrev_b32_e32 v3, 16, v3
	v_mov_b32_e32 v6, 0x7fc0
	v_cmp_o_f32_e32 vcc, v2, v2
	v_cndmask_b32_e32 v2, v6, v3, vcc
	global_store_short v[0:1], v2, off
	s_mov_b64 s[0:1], 0
	s_mov_b64 s[10:11], -1
.LBB15_1988:
	s_mov_b64 s[12:13], 0
.LBB15_1989:
	s_mov_b64 s[6:7], 0
	s_and_b64 vcc, exec, s[12:13]
	s_cbranch_vccz .LBB15_1991
; %bb.1990:
	v_cmp_ne_u16_e64 s[0:1], s16, 11
	s_mov_b64 s[6:7], -1
.LBB15_1991:
	s_and_b64 vcc, exec, s[0:1]
	s_cbranch_vccnz .LBB15_2047
; %bb.1992:
	s_andn2_b64 vcc, exec, s[6:7]
	s_cbranch_vccnz .LBB15_1994
.LBB15_1993:
	v_cmp_neq_f64_e32 vcc, 0, v[4:5]
	v_cndmask_b32_e64 v2, 0, 1, vcc
	s_mov_b64 s[10:11], -1
	global_store_byte v[0:1], v2, off
.LBB15_1994:
	s_mov_b64 s[0:1], 0
.LBB15_1995:
	s_and_b64 vcc, exec, s[0:1]
	s_cbranch_vccz .LBB15_2034
; %bb.1996:
	v_cmp_lt_i16_e64 s[6:7], s16, 5
	s_mov_b64 s[0:1], -1
	s_and_b64 vcc, exec, s[6:7]
	s_cbranch_vccnz .LBB15_2017
; %bb.1997:
	v_cmp_lt_i16_e64 s[6:7], s16, 8
	s_and_b64 vcc, exec, s[6:7]
	s_cbranch_vccnz .LBB15_2007
; %bb.1998:
	v_cmp_lt_i16_e64 s[6:7], s16, 9
	s_and_b64 vcc, exec, s[6:7]
	s_cbranch_vccnz .LBB15_2004
; %bb.1999:
	v_cmp_gt_i16_e64 s[6:7], s16, 9
	s_and_b64 vcc, exec, s[6:7]
	s_cbranch_vccz .LBB15_2001
; %bb.2000:
	v_mov_b32_e32 v6, 0
	v_mov_b32_e32 v7, v6
	global_store_dwordx4 v[0:1], v[4:7], off
	s_mov_b64 s[0:1], 0
.LBB15_2001:
	s_andn2_b64 vcc, exec, s[0:1]
	s_cbranch_vccnz .LBB15_2003
; %bb.2002:
	v_cvt_f32_f64_e32 v2, v[4:5]
	v_mov_b32_e32 v3, 0
	global_store_dwordx2 v[0:1], v[2:3], off
.LBB15_2003:
	s_mov_b64 s[0:1], 0
.LBB15_2004:
	s_andn2_b64 vcc, exec, s[0:1]
	s_cbranch_vccnz .LBB15_2006
; %bb.2005:
	v_cvt_f32_f64_e32 v2, v[4:5]
	v_cvt_f16_f32_e32 v2, v2
	global_store_dword v[0:1], v2, off
.LBB15_2006:
	s_mov_b64 s[0:1], 0
.LBB15_2007:
	s_andn2_b64 vcc, exec, s[0:1]
	s_cbranch_vccnz .LBB15_2016
; %bb.2008:
	v_cmp_lt_i16_e64 s[6:7], s16, 6
	s_mov_b64 s[0:1], -1
	s_and_b64 vcc, exec, s[6:7]
	s_cbranch_vccnz .LBB15_2014
; %bb.2009:
	v_cmp_gt_i16_e64 s[6:7], s16, 6
	s_and_b64 vcc, exec, s[6:7]
	s_cbranch_vccz .LBB15_2011
; %bb.2010:
	global_store_dwordx2 v[0:1], v[4:5], off
	s_mov_b64 s[0:1], 0
.LBB15_2011:
	s_andn2_b64 vcc, exec, s[0:1]
	s_cbranch_vccnz .LBB15_2013
; %bb.2012:
	v_cvt_f32_f64_e32 v2, v[4:5]
	global_store_dword v[0:1], v2, off
.LBB15_2013:
	s_mov_b64 s[0:1], 0
.LBB15_2014:
	s_andn2_b64 vcc, exec, s[0:1]
	s_cbranch_vccnz .LBB15_2016
; %bb.2015:
	v_cvt_f32_f64_e32 v2, v[4:5]
	v_cvt_f16_f32_e32 v2, v2
	global_store_short v[0:1], v2, off
.LBB15_2016:
	s_mov_b64 s[0:1], 0
.LBB15_2017:
	s_andn2_b64 vcc, exec, s[0:1]
	s_cbranch_vccnz .LBB15_2033
; %bb.2018:
	v_cmp_lt_i16_e64 s[6:7], s16, 2
	s_mov_b64 s[0:1], -1
	s_and_b64 vcc, exec, s[6:7]
	s_cbranch_vccnz .LBB15_2028
; %bb.2019:
	v_cmp_lt_i16_e64 s[6:7], s16, 3
	s_and_b64 vcc, exec, s[6:7]
	s_cbranch_vccnz .LBB15_2025
; %bb.2020:
	v_cmp_gt_i16_e64 s[6:7], s16, 3
	s_and_b64 vcc, exec, s[6:7]
	s_cbranch_vccz .LBB15_2022
; %bb.2021:
	v_trunc_f64_e32 v[2:3], v[4:5]
	s_movk_i32 s0, 0xffe0
	v_ldexp_f64 v[6:7], v[2:3], s0
	v_floor_f64_e32 v[6:7], v[6:7]
	v_fmac_f64_e32 v[2:3], 0xc1f00000, v[6:7]
	v_cvt_i32_f64_e32 v17, v[6:7]
	v_cvt_u32_f64_e32 v16, v[2:3]
	global_store_dwordx2 v[0:1], v[16:17], off
	s_mov_b64 s[0:1], 0
.LBB15_2022:
	s_andn2_b64 vcc, exec, s[0:1]
	s_cbranch_vccnz .LBB15_2024
; %bb.2023:
	v_cvt_i32_f64_e32 v2, v[4:5]
	global_store_dword v[0:1], v2, off
.LBB15_2024:
	s_mov_b64 s[0:1], 0
.LBB15_2025:
	s_andn2_b64 vcc, exec, s[0:1]
	s_cbranch_vccnz .LBB15_2027
; %bb.2026:
	v_cvt_i32_f64_e32 v2, v[4:5]
	global_store_short v[0:1], v2, off
.LBB15_2027:
	s_mov_b64 s[0:1], 0
.LBB15_2028:
	s_andn2_b64 vcc, exec, s[0:1]
	s_cbranch_vccnz .LBB15_2033
; %bb.2029:
	v_cmp_gt_i16_e64 s[6:7], s16, 0
	s_mov_b64 s[0:1], -1
	s_and_b64 vcc, exec, s[6:7]
	s_cbranch_vccz .LBB15_2031
; %bb.2030:
	v_cvt_i32_f64_e32 v2, v[4:5]
	global_store_byte v[0:1], v2, off
	s_mov_b64 s[0:1], 0
.LBB15_2031:
	s_andn2_b64 vcc, exec, s[0:1]
	s_cbranch_vccnz .LBB15_2033
; %bb.2032:
	v_trunc_f64_e32 v[2:3], v[4:5]
	s_movk_i32 s0, 0xffe0
	v_ldexp_f64 v[4:5], v[2:3], s0
	v_floor_f64_e32 v[4:5], v[4:5]
	v_fmac_f64_e32 v[2:3], 0xc1f00000, v[4:5]
	v_cvt_u32_f64_e32 v2, v[2:3]
	global_store_byte v[0:1], v2, off
.LBB15_2033:
	s_mov_b64 s[10:11], -1
.LBB15_2034:
	s_andn2_b64 vcc, exec, s[10:11]
	s_cbranch_vccnz .LBB15_2170
; %bb.2035:
	v_mov_b32_e32 v1, s9
	v_add_co_u32_e32 v0, vcc, s8, v10
	v_addc_co_u32_e32 v1, vcc, 0, v1, vcc
	s_and_b64 vcc, exec, s[4:5]
	s_cbranch_vccnz .LBB15_2042
; %bb.2036:
	v_cmp_gt_i16_e64 s[0:1], s16, 25
	s_mov_b64 s[12:13], -1
	s_mov_b64 s[6:7], 0
	s_and_b64 vcc, exec, s[0:1]
	s_mov_b64 s[10:11], 0
	s_mov_b64 s[0:1], 0
	s_cbranch_vccz .LBB15_2078
; %bb.2037:
	v_cmp_gt_i16_e64 s[0:1], s16, 28
	s_and_b64 vcc, exec, s[0:1]
	s_cbranch_vccz .LBB15_2043
; %bb.2038:
	v_cmp_gt_i16_e64 s[0:1], s16, 43
	s_and_b64 vcc, exec, s[0:1]
	;; [unrolled: 4-line block ×3, first 2 shown]
	s_cbranch_vccz .LBB15_2050
; %bb.2040:
	v_cmp_eq_u16_e64 s[10:11], s16, 46
	s_mov_b64 s[0:1], -1
	s_mov_b64 s[12:13], 0
	s_and_b64 vcc, exec, s[10:11]
	s_mov_b64 s[10:11], 0
	s_cbranch_vccz .LBB15_2051
; %bb.2041:
	v_cvt_f32_f64_e32 v2, v[8:9]
	v_bfe_u32 v3, v2, 16, 1
	s_movk_i32 s0, 0x7fff
	v_add3_u32 v3, v2, v3, s0
	v_lshrrev_b32_e32 v3, 16, v3
	v_mov_b32_e32 v4, 0x7fc0
	v_cmp_o_f32_e32 vcc, v2, v2
	v_cndmask_b32_e32 v2, v4, v3, vcc
	global_store_dword v[0:1], v2, off
	s_mov_b64 s[0:1], 0
	s_mov_b64 s[10:11], -1
	s_branch .LBB15_2051
.LBB15_2042:
	s_mov_b64 s[0:1], -1
	s_mov_b64 s[10:11], 0
	s_branch .LBB15_2122
.LBB15_2043:
	s_mov_b64 s[0:1], 0
	s_branch .LBB15_2061
.LBB15_2044:
	s_or_saveexec_b64 s[14:15], s[14:15]
                                        ; implicit-def: $sgpr17
	s_xor_b64 exec, exec, s[14:15]
	s_cbranch_execz .LBB15_1945
.LBB15_2045:
	s_mov_b32 s17, 0x46000000
	v_add_f32_e64 v3, |v2|, s17
	v_and_b32_e32 v3, 0xff, v3
	v_cmp_ne_u32_e32 vcc, 0, v3
	s_andn2_b64 s[12:13], s[12:13], exec
	s_and_b64 s[18:19], vcc, exec
	s_mov_b32 s17, 0
	s_or_b64 s[12:13], s[12:13], s[18:19]
	s_or_b64 exec, exec, s[14:15]
	v_mov_b32_e32 v6, s17
	s_and_saveexec_b64 s[14:15], s[12:13]
	s_cbranch_execnz .LBB15_1946
	s_branch .LBB15_1947
.LBB15_2046:
	s_mov_b64 s[0:1], 0
	s_branch .LBB15_2057
.LBB15_2047:
	s_trap 2
	s_or_b64 s[2:3], s[2:3], exec
	s_cbranch_execz .LBB15_1993
	s_branch .LBB15_1994
.LBB15_2048:
	s_or_saveexec_b64 s[12:13], s[12:13]
                                        ; implicit-def: $sgpr14
	s_xor_b64 exec, exec, s[12:13]
	s_cbranch_execz .LBB15_1958
.LBB15_2049:
	s_mov_b32 s14, 0x42800000
	v_add_f32_e64 v3, |v2|, s14
	v_and_b32_e32 v3, 0xff, v3
	v_cmp_ne_u32_e32 vcc, 0, v3
	s_andn2_b64 s[10:11], s[10:11], exec
	s_and_b64 s[18:19], vcc, exec
	s_mov_b32 s14, 0
	s_or_b64 s[10:11], s[10:11], s[18:19]
	s_or_b64 exec, exec, s[12:13]
	v_mov_b32_e32 v6, s14
	s_and_saveexec_b64 s[12:13], s[10:11]
	s_cbranch_execnz .LBB15_1959
	s_branch .LBB15_1960
.LBB15_2050:
	s_mov_b64 s[0:1], 0
.LBB15_2051:
	s_and_b64 vcc, exec, s[12:13]
	s_cbranch_vccz .LBB15_2056
; %bb.2052:
	v_cmp_eq_u16_e64 s[12:13], s16, 44
	s_mov_b64 s[0:1], -1
	s_and_b64 vcc, exec, s[12:13]
	s_cbranch_vccz .LBB15_2056
; %bb.2053:
	v_cvt_f32_f64_e32 v2, v[8:9]
	v_bfe_u32 v3, v2, 23, 8
	s_movk_i32 s0, 0xff
	v_cmp_ne_u32_e32 vcc, s0, v3
	v_mov_b32_e32 v4, 0xff
	s_and_saveexec_b64 s[10:11], vcc
; %bb.2054:
	s_mov_b32 s0, 0x3fffff
	v_lshrrev_b32_e32 v4, 23, v2
	v_and_b32_e32 v5, 0x400000, v2
	v_and_or_b32 v2, v2, s0, v3
	v_cmp_ne_u32_e32 vcc, 0, v5
	v_cmp_ne_u32_e64 s[0:1], 0, v2
	s_and_b64 s[0:1], vcc, s[0:1]
	v_cndmask_b32_e64 v2, 0, 1, s[0:1]
	v_add_u32_e32 v4, v4, v2
; %bb.2055:
	s_or_b64 exec, exec, s[10:11]
	s_mov_b64 s[0:1], 0
	s_mov_b64 s[10:11], -1
	global_store_byte v[0:1], v4, off
.LBB15_2056:
	s_mov_b64 s[12:13], 0
.LBB15_2057:
	s_and_b64 vcc, exec, s[12:13]
	s_cbranch_vccz .LBB15_2060
; %bb.2058:
	v_cmp_eq_u16_e64 s[12:13], s16, 29
	s_mov_b64 s[0:1], -1
	s_and_b64 vcc, exec, s[12:13]
	s_cbranch_vccz .LBB15_2060
; %bb.2059:
	v_trunc_f64_e32 v[2:3], v[8:9]
	s_movk_i32 s0, 0xffe0
	v_ldexp_f64 v[4:5], v[2:3], s0
	v_floor_f64_e32 v[4:5], v[4:5]
	v_fmac_f64_e32 v[2:3], 0xc1f00000, v[4:5]
	v_cvt_u32_f64_e32 v7, v[4:5]
	v_cvt_u32_f64_e32 v6, v[2:3]
	global_store_dwordx2 v[0:1], v[6:7], off
	s_mov_b64 s[0:1], 0
	s_mov_b64 s[10:11], -1
.LBB15_2060:
	s_mov_b64 s[12:13], 0
.LBB15_2061:
	s_and_b64 vcc, exec, s[12:13]
	s_cbranch_vccz .LBB15_2077
; %bb.2062:
	v_cmp_lt_i16_e64 s[12:13], s16, 27
	s_mov_b64 s[10:11], -1
	s_and_b64 vcc, exec, s[12:13]
	s_cbranch_vccnz .LBB15_2068
; %bb.2063:
	v_cmp_gt_i16_e64 s[12:13], s16, 27
	s_and_b64 vcc, exec, s[12:13]
	v_cvt_u32_f64_e32 v2, v[8:9]
	s_cbranch_vccz .LBB15_2065
; %bb.2064:
	s_mov_b64 s[10:11], 0
	global_store_dword v[0:1], v2, off
.LBB15_2065:
	s_andn2_b64 vcc, exec, s[10:11]
	s_cbranch_vccnz .LBB15_2067
; %bb.2066:
	global_store_short v[0:1], v2, off
.LBB15_2067:
	s_mov_b64 s[10:11], 0
.LBB15_2068:
	s_andn2_b64 vcc, exec, s[10:11]
	s_cbranch_vccnz .LBB15_2076
; %bb.2069:
	v_cvt_f32_f64_e32 v2, v[8:9]
	v_and_b32_e32 v3, 0x7fffffff, v2
	s_mov_b32 s10, 0x43800000
	v_cmp_gt_u32_e32 vcc, s10, v3
	v_mov_b32_e32 v4, 0x80
	s_and_saveexec_b64 s[10:11], vcc
	s_cbranch_execz .LBB15_2075
; %bb.2070:
	s_mov_b32 s12, 0x3bffffff
	v_cmp_lt_u32_e32 vcc, s12, v3
	s_mov_b64 s[12:13], 0
                                        ; implicit-def: $vgpr3
	s_and_saveexec_b64 s[14:15], vcc
	s_xor_b64 s[14:15], exec, s[14:15]
	s_cbranch_execz .LBB15_2173
; %bb.2071:
	v_bfe_u32 v3, v2, 20, 1
	s_mov_b32 s17, 0x487ffff
	v_add3_u32 v3, v2, v3, s17
	s_mov_b64 s[12:13], exec
	v_lshrrev_b32_e32 v3, 20, v3
	s_or_saveexec_b64 s[14:15], s[14:15]
                                        ; implicit-def: $sgpr17
	s_xor_b64 exec, exec, s[14:15]
	s_cbranch_execnz .LBB15_2174
.LBB15_2072:
	s_or_b64 exec, exec, s[14:15]
	v_mov_b32_e32 v4, s17
	s_and_saveexec_b64 s[14:15], s[12:13]
.LBB15_2073:
	v_lshrrev_b32_e32 v2, 24, v2
	s_movk_i32 s12, 0x80
	v_and_or_b32 v4, v2, s12, v3
.LBB15_2074:
	s_or_b64 exec, exec, s[14:15]
.LBB15_2075:
	s_or_b64 exec, exec, s[10:11]
	global_store_byte v[0:1], v4, off
.LBB15_2076:
	s_mov_b64 s[10:11], -1
.LBB15_2077:
	s_mov_b64 s[12:13], 0
.LBB15_2078:
	s_and_b64 vcc, exec, s[12:13]
	s_cbranch_vccz .LBB15_2118
; %bb.2079:
	v_cmp_gt_i16_e64 s[12:13], s16, 22
	s_mov_b64 s[6:7], -1
	s_and_b64 vcc, exec, s[12:13]
	s_cbranch_vccz .LBB15_2111
; %bb.2080:
	v_cmp_lt_i16_e64 s[10:11], s16, 24
	s_and_b64 vcc, exec, s[10:11]
	s_cbranch_vccnz .LBB15_2100
; %bb.2081:
	v_cmp_gt_i16_e64 s[10:11], s16, 24
	s_and_b64 vcc, exec, s[10:11]
	s_cbranch_vccz .LBB15_2089
; %bb.2082:
	v_cvt_f32_f64_e32 v2, v[8:9]
	v_and_b32_e32 v3, 0x7fffffff, v2
	s_mov_b32 s6, 0x47800000
	v_cmp_gt_u32_e32 vcc, s6, v3
	v_mov_b32_e32 v4, 0x80
	s_and_saveexec_b64 s[6:7], vcc
	s_cbranch_execz .LBB15_2088
; %bb.2083:
	s_mov_b32 s10, 0x37ffffff
	v_cmp_lt_u32_e32 vcc, s10, v3
	s_mov_b64 s[10:11], 0
                                        ; implicit-def: $vgpr3
	s_and_saveexec_b64 s[12:13], vcc
	s_xor_b64 s[12:13], exec, s[12:13]
	s_cbranch_execz .LBB15_2177
; %bb.2084:
	v_bfe_u32 v3, v2, 21, 1
	s_mov_b32 s14, 0x88fffff
	v_add3_u32 v3, v2, v3, s14
	s_mov_b64 s[10:11], exec
	v_lshrrev_b32_e32 v3, 21, v3
	s_or_saveexec_b64 s[12:13], s[12:13]
                                        ; implicit-def: $sgpr14
	s_xor_b64 exec, exec, s[12:13]
	s_cbranch_execnz .LBB15_2178
.LBB15_2085:
	s_or_b64 exec, exec, s[12:13]
	v_mov_b32_e32 v4, s14
	s_and_saveexec_b64 s[12:13], s[10:11]
.LBB15_2086:
	v_lshrrev_b32_e32 v2, 24, v2
	s_movk_i32 s10, 0x80
	v_and_or_b32 v4, v2, s10, v3
.LBB15_2087:
	s_or_b64 exec, exec, s[12:13]
.LBB15_2088:
	s_or_b64 exec, exec, s[6:7]
	s_mov_b64 s[6:7], 0
	global_store_byte v[0:1], v4, off
.LBB15_2089:
	s_and_b64 vcc, exec, s[6:7]
	s_cbranch_vccz .LBB15_2099
; %bb.2090:
	v_cvt_f32_f64_e32 v2, v[8:9]
	v_and_b32_e32 v4, 0x7fffffff, v2
	s_mov_b32 s6, 0x43f00000
	v_cmp_gt_u32_e32 vcc, s6, v4
                                        ; implicit-def: $vgpr3
	s_and_saveexec_b64 s[6:7], vcc
	s_xor_b64 s[6:7], exec, s[6:7]
	s_cbranch_execz .LBB15_2096
; %bb.2091:
	s_mov_b32 s10, 0x3c7fffff
	v_cmp_lt_u32_e32 vcc, s10, v4
                                        ; implicit-def: $vgpr3
	s_and_saveexec_b64 s[10:11], vcc
	s_xor_b64 s[10:11], exec, s[10:11]
; %bb.2092:
	v_bfe_u32 v3, v2, 20, 1
	s_mov_b32 s12, 0x407ffff
	v_add3_u32 v3, v2, v3, s12
	v_lshrrev_b32_e32 v4, 20, v3
	v_and_b32_e32 v3, 0xff00000, v3
	s_mov_b32 s12, 0x7f00000
	v_mov_b32_e32 v5, 0x7e
	v_cmp_ne_u32_e32 vcc, s12, v3
	v_cndmask_b32_e32 v3, v5, v4, vcc
; %bb.2093:
	s_andn2_saveexec_b64 s[10:11], s[10:11]
; %bb.2094:
	s_mov_b32 s12, 0x46800000
	v_add_f32_e64 v3, |v2|, s12
; %bb.2095:
	s_or_b64 exec, exec, s[10:11]
                                        ; implicit-def: $vgpr4
.LBB15_2096:
	s_andn2_saveexec_b64 s[6:7], s[6:7]
; %bb.2097:
	s_mov_b32 s10, 0x7f800000
	v_mov_b32_e32 v3, 0x7e
	v_mov_b32_e32 v5, 0x7f
	v_cmp_lt_u32_e32 vcc, s10, v4
	v_cndmask_b32_e32 v3, v3, v5, vcc
; %bb.2098:
	s_or_b64 exec, exec, s[6:7]
	v_lshrrev_b32_e32 v2, 24, v2
	s_movk_i32 s6, 0x80
	v_and_or_b32 v2, v2, s6, v3
	global_store_byte v[0:1], v2, off
.LBB15_2099:
	s_mov_b64 s[6:7], 0
.LBB15_2100:
	s_andn2_b64 vcc, exec, s[6:7]
	s_cbranch_vccnz .LBB15_2110
; %bb.2101:
	v_cvt_f32_f64_e32 v2, v[8:9]
	v_and_b32_e32 v4, 0x7fffffff, v2
	s_mov_b32 s6, 0x47800000
	v_cmp_gt_u32_e32 vcc, s6, v4
                                        ; implicit-def: $vgpr3
	s_and_saveexec_b64 s[6:7], vcc
	s_xor_b64 s[6:7], exec, s[6:7]
	s_cbranch_execz .LBB15_2107
; %bb.2102:
	s_mov_b32 s10, 0x387fffff
	v_cmp_lt_u32_e32 vcc, s10, v4
                                        ; implicit-def: $vgpr3
	s_and_saveexec_b64 s[10:11], vcc
	s_xor_b64 s[10:11], exec, s[10:11]
; %bb.2103:
	v_bfe_u32 v3, v2, 21, 1
	s_mov_b32 s12, 0x80fffff
	v_add3_u32 v3, v2, v3, s12
	v_lshrrev_b32_e32 v3, 21, v3
; %bb.2104:
	s_andn2_saveexec_b64 s[10:11], s[10:11]
; %bb.2105:
	s_mov_b32 s12, 0x43000000
	v_add_f32_e64 v3, |v2|, s12
; %bb.2106:
	s_or_b64 exec, exec, s[10:11]
                                        ; implicit-def: $vgpr4
.LBB15_2107:
	s_andn2_saveexec_b64 s[6:7], s[6:7]
; %bb.2108:
	s_mov_b32 s10, 0x7f800000
	v_mov_b32_e32 v3, 0x7c
	v_mov_b32_e32 v5, 0x7f
	v_cmp_lt_u32_e32 vcc, s10, v4
	v_cndmask_b32_e32 v3, v3, v5, vcc
; %bb.2109:
	s_or_b64 exec, exec, s[6:7]
	v_lshrrev_b32_e32 v2, 24, v2
	s_movk_i32 s6, 0x80
	v_and_or_b32 v2, v2, s6, v3
	global_store_byte v[0:1], v2, off
.LBB15_2110:
	s_mov_b64 s[6:7], 0
	s_mov_b64 s[10:11], -1
.LBB15_2111:
	s_andn2_b64 vcc, exec, s[6:7]
	s_mov_b64 s[6:7], 0
	s_cbranch_vccnz .LBB15_2118
; %bb.2112:
	v_cmp_gt_i16_e64 s[6:7], s16, 14
	s_mov_b64 s[12:13], -1
	s_and_b64 vcc, exec, s[6:7]
	s_cbranch_vccz .LBB15_2116
; %bb.2113:
	v_cmp_eq_u16_e64 s[6:7], s16, 15
	s_mov_b64 s[0:1], -1
	s_and_b64 vcc, exec, s[6:7]
	s_cbranch_vccz .LBB15_2115
; %bb.2114:
	v_cvt_f32_f64_e32 v2, v[8:9]
	v_bfe_u32 v3, v2, 16, 1
	s_movk_i32 s0, 0x7fff
	v_add3_u32 v3, v2, v3, s0
	v_lshrrev_b32_e32 v3, 16, v3
	v_mov_b32_e32 v4, 0x7fc0
	v_cmp_o_f32_e32 vcc, v2, v2
	v_cndmask_b32_e32 v2, v4, v3, vcc
	global_store_short v[0:1], v2, off
	s_mov_b64 s[0:1], 0
	s_mov_b64 s[10:11], -1
.LBB15_2115:
	s_mov_b64 s[12:13], 0
.LBB15_2116:
	s_mov_b64 s[6:7], 0
	s_and_b64 vcc, exec, s[12:13]
	s_cbranch_vccz .LBB15_2118
; %bb.2117:
	v_cmp_ne_u16_e64 s[0:1], s16, 11
	s_mov_b64 s[6:7], -1
.LBB15_2118:
	s_and_b64 vcc, exec, s[0:1]
	s_cbranch_vccnz .LBB15_2176
; %bb.2119:
	s_andn2_b64 vcc, exec, s[6:7]
	s_cbranch_vccnz .LBB15_2121
.LBB15_2120:
	v_cmp_neq_f64_e32 vcc, 0, v[8:9]
	v_cndmask_b32_e64 v2, 0, 1, vcc
	s_mov_b64 s[10:11], -1
	global_store_byte v[0:1], v2, off
.LBB15_2121:
	s_mov_b64 s[0:1], 0
.LBB15_2122:
	s_and_b64 vcc, exec, s[0:1]
	s_cbranch_vccz .LBB15_2161
; %bb.2123:
	v_cmp_lt_i16_e64 s[6:7], s16, 5
	s_mov_b64 s[0:1], -1
	s_and_b64 vcc, exec, s[6:7]
	s_cbranch_vccnz .LBB15_2144
; %bb.2124:
	v_cmp_lt_i16_e64 s[6:7], s16, 8
	s_and_b64 vcc, exec, s[6:7]
	s_cbranch_vccnz .LBB15_2134
; %bb.2125:
	v_cmp_lt_i16_e64 s[6:7], s16, 9
	s_and_b64 vcc, exec, s[6:7]
	s_cbranch_vccnz .LBB15_2131
; %bb.2126:
	v_cmp_gt_i16_e64 s[6:7], s16, 9
	s_and_b64 vcc, exec, s[6:7]
	s_cbranch_vccz .LBB15_2128
; %bb.2127:
	v_mov_b32_e32 v10, 0
	v_mov_b32_e32 v11, v10
	global_store_dwordx4 v[0:1], v[8:11], off
	s_mov_b64 s[0:1], 0
.LBB15_2128:
	s_andn2_b64 vcc, exec, s[0:1]
	s_cbranch_vccnz .LBB15_2130
; %bb.2129:
	v_cvt_f32_f64_e32 v2, v[8:9]
	v_mov_b32_e32 v3, 0
	global_store_dwordx2 v[0:1], v[2:3], off
.LBB15_2130:
	s_mov_b64 s[0:1], 0
.LBB15_2131:
	s_andn2_b64 vcc, exec, s[0:1]
	s_cbranch_vccnz .LBB15_2133
; %bb.2132:
	v_cvt_f32_f64_e32 v2, v[8:9]
	v_cvt_f16_f32_e32 v2, v2
	global_store_dword v[0:1], v2, off
.LBB15_2133:
	s_mov_b64 s[0:1], 0
.LBB15_2134:
	s_andn2_b64 vcc, exec, s[0:1]
	s_cbranch_vccnz .LBB15_2143
; %bb.2135:
	v_cmp_lt_i16_e64 s[6:7], s16, 6
	s_mov_b64 s[0:1], -1
	s_and_b64 vcc, exec, s[6:7]
	s_cbranch_vccnz .LBB15_2141
; %bb.2136:
	v_cmp_gt_i16_e64 s[6:7], s16, 6
	s_and_b64 vcc, exec, s[6:7]
	s_cbranch_vccz .LBB15_2138
; %bb.2137:
	global_store_dwordx2 v[0:1], v[8:9], off
	s_mov_b64 s[0:1], 0
.LBB15_2138:
	s_andn2_b64 vcc, exec, s[0:1]
	s_cbranch_vccnz .LBB15_2140
; %bb.2139:
	v_cvt_f32_f64_e32 v2, v[8:9]
	global_store_dword v[0:1], v2, off
.LBB15_2140:
	s_mov_b64 s[0:1], 0
.LBB15_2141:
	s_andn2_b64 vcc, exec, s[0:1]
	s_cbranch_vccnz .LBB15_2143
; %bb.2142:
	v_cvt_f32_f64_e32 v2, v[8:9]
	v_cvt_f16_f32_e32 v2, v2
	global_store_short v[0:1], v2, off
.LBB15_2143:
	s_mov_b64 s[0:1], 0
.LBB15_2144:
	s_andn2_b64 vcc, exec, s[0:1]
	s_cbranch_vccnz .LBB15_2160
; %bb.2145:
	v_cmp_lt_i16_e64 s[6:7], s16, 2
	s_mov_b64 s[0:1], -1
	s_and_b64 vcc, exec, s[6:7]
	s_cbranch_vccnz .LBB15_2155
; %bb.2146:
	v_cmp_lt_i16_e64 s[6:7], s16, 3
	s_and_b64 vcc, exec, s[6:7]
	s_cbranch_vccnz .LBB15_2152
; %bb.2147:
	v_cmp_gt_i16_e64 s[6:7], s16, 3
	s_and_b64 vcc, exec, s[6:7]
	s_cbranch_vccz .LBB15_2149
; %bb.2148:
	v_trunc_f64_e32 v[2:3], v[8:9]
	s_movk_i32 s0, 0xffe0
	v_ldexp_f64 v[4:5], v[2:3], s0
	v_floor_f64_e32 v[4:5], v[4:5]
	v_fmac_f64_e32 v[2:3], 0xc1f00000, v[4:5]
	v_cvt_i32_f64_e32 v7, v[4:5]
	v_cvt_u32_f64_e32 v6, v[2:3]
	global_store_dwordx2 v[0:1], v[6:7], off
	s_mov_b64 s[0:1], 0
.LBB15_2149:
	s_andn2_b64 vcc, exec, s[0:1]
	s_cbranch_vccnz .LBB15_2151
; %bb.2150:
	v_cvt_i32_f64_e32 v2, v[8:9]
	global_store_dword v[0:1], v2, off
.LBB15_2151:
	s_mov_b64 s[0:1], 0
.LBB15_2152:
	s_andn2_b64 vcc, exec, s[0:1]
	s_cbranch_vccnz .LBB15_2154
; %bb.2153:
	v_cvt_i32_f64_e32 v2, v[8:9]
	global_store_short v[0:1], v2, off
.LBB15_2154:
	s_mov_b64 s[0:1], 0
.LBB15_2155:
	s_andn2_b64 vcc, exec, s[0:1]
	s_cbranch_vccnz .LBB15_2160
; %bb.2156:
	v_cmp_gt_i16_e64 s[6:7], s16, 0
	s_mov_b64 s[0:1], -1
	s_and_b64 vcc, exec, s[6:7]
	s_cbranch_vccz .LBB15_2158
; %bb.2157:
	v_cvt_i32_f64_e32 v2, v[8:9]
	global_store_byte v[0:1], v2, off
	s_mov_b64 s[0:1], 0
.LBB15_2158:
	s_andn2_b64 vcc, exec, s[0:1]
	s_cbranch_vccnz .LBB15_2160
; %bb.2159:
	v_trunc_f64_e32 v[2:3], v[8:9]
	s_movk_i32 s0, 0xffe0
	v_ldexp_f64 v[4:5], v[2:3], s0
	v_floor_f64_e32 v[4:5], v[4:5]
	v_fmac_f64_e32 v[2:3], 0xc1f00000, v[4:5]
	v_cvt_u32_f64_e32 v2, v[2:3]
	global_store_byte v[0:1], v2, off
.LBB15_2160:
	s_mov_b64 s[10:11], -1
.LBB15_2161:
	s_andn2_b64 vcc, exec, s[10:11]
	s_cbranch_vccnz .LBB15_2170
; %bb.2162:
	v_mov_b32_e32 v1, s9
	v_add_co_u32_e32 v0, vcc, s8, v14
	v_addc_co_u32_e32 v1, vcc, 0, v1, vcc
	s_and_b64 vcc, exec, s[4:5]
	s_cbranch_vccnz .LBB15_2171
; %bb.2163:
	v_cmp_gt_i16_e64 s[0:1], s16, 25
	s_mov_b64 s[6:7], -1
	s_mov_b64 s[4:5], 0
	s_and_b64 vcc, exec, s[0:1]
	s_mov_b64 s[0:1], 0
	s_cbranch_vccz .LBB15_2206
; %bb.2164:
	v_cmp_gt_i16_e64 s[0:1], s16, 28
	s_and_b64 vcc, exec, s[0:1]
	s_cbranch_vccz .LBB15_2172
; %bb.2165:
	v_cmp_gt_i16_e64 s[0:1], s16, 43
	s_and_b64 vcc, exec, s[0:1]
	;; [unrolled: 4-line block ×3, first 2 shown]
	s_cbranch_vccz .LBB15_2179
; %bb.2167:
	v_cmp_eq_u16_e64 s[6:7], s16, 46
	s_mov_b64 s[0:1], -1
	s_and_b64 vcc, exec, s[6:7]
	s_cbranch_vccz .LBB15_2169
; %bb.2168:
	v_cvt_f32_f64_e32 v2, v[12:13]
	v_bfe_u32 v3, v2, 16, 1
	s_movk_i32 s0, 0x7fff
	v_add3_u32 v3, v2, v3, s0
	v_lshrrev_b32_e32 v3, 16, v3
	v_mov_b32_e32 v4, 0x7fc0
	v_cmp_o_f32_e32 vcc, v2, v2
	v_cndmask_b32_e32 v2, v4, v3, vcc
	global_store_dword v[0:1], v2, off
	s_mov_b64 s[0:1], 0
.LBB15_2169:
	s_mov_b64 s[6:7], 0
	s_branch .LBB15_2180
.LBB15_2170:
	s_mov_b64 s[0:1], 0
                                        ; implicit-def: $vgpr0_vgpr1
                                        ; implicit-def: $sgpr16
	s_branch .LBB15_1737
.LBB15_2171:
	s_mov_b64 s[4:5], 0
	s_mov_b64 s[0:1], -1
	s_branch .LBB15_1738
.LBB15_2172:
	s_mov_b64 s[0:1], 0
	s_branch .LBB15_2190
.LBB15_2173:
	s_or_saveexec_b64 s[14:15], s[14:15]
                                        ; implicit-def: $sgpr17
	s_xor_b64 exec, exec, s[14:15]
	s_cbranch_execz .LBB15_2072
.LBB15_2174:
	s_mov_b32 s17, 0x46000000
	v_add_f32_e64 v3, |v2|, s17
	v_and_b32_e32 v3, 0xff, v3
	v_cmp_ne_u32_e32 vcc, 0, v3
	s_andn2_b64 s[12:13], s[12:13], exec
	s_and_b64 s[18:19], vcc, exec
	s_mov_b32 s17, 0
	s_or_b64 s[12:13], s[12:13], s[18:19]
	s_or_b64 exec, exec, s[14:15]
	v_mov_b32_e32 v4, s17
	s_and_saveexec_b64 s[14:15], s[12:13]
	s_cbranch_execnz .LBB15_2073
	s_branch .LBB15_2074
.LBB15_2175:
	s_mov_b64 s[0:1], 0
	s_branch .LBB15_2186
.LBB15_2176:
	s_trap 2
	s_or_b64 s[2:3], s[2:3], exec
	s_cbranch_execz .LBB15_2120
	s_branch .LBB15_2121
.LBB15_2177:
	s_or_saveexec_b64 s[12:13], s[12:13]
                                        ; implicit-def: $sgpr14
	s_xor_b64 exec, exec, s[12:13]
	s_cbranch_execz .LBB15_2085
.LBB15_2178:
	s_mov_b32 s14, 0x42800000
	v_add_f32_e64 v3, |v2|, s14
	v_and_b32_e32 v3, 0xff, v3
	v_cmp_ne_u32_e32 vcc, 0, v3
	s_andn2_b64 s[10:11], s[10:11], exec
	s_and_b64 s[18:19], vcc, exec
	s_mov_b32 s14, 0
	s_or_b64 s[10:11], s[10:11], s[18:19]
	s_or_b64 exec, exec, s[12:13]
	v_mov_b32_e32 v4, s14
	s_and_saveexec_b64 s[12:13], s[10:11]
	s_cbranch_execnz .LBB15_2086
	s_branch .LBB15_2087
.LBB15_2179:
	s_mov_b64 s[0:1], 0
.LBB15_2180:
	s_and_b64 vcc, exec, s[6:7]
	s_cbranch_vccz .LBB15_2185
; %bb.2181:
	v_cmp_eq_u16_e64 s[6:7], s16, 44
	s_mov_b64 s[0:1], -1
	s_and_b64 vcc, exec, s[6:7]
	s_cbranch_vccz .LBB15_2185
; %bb.2182:
	v_cvt_f32_f64_e32 v2, v[12:13]
	v_bfe_u32 v3, v2, 23, 8
	s_movk_i32 s0, 0xff
	v_cmp_ne_u32_e32 vcc, s0, v3
	v_mov_b32_e32 v4, 0xff
	s_and_saveexec_b64 s[6:7], vcc
; %bb.2183:
	s_mov_b32 s0, 0x3fffff
	v_lshrrev_b32_e32 v4, 23, v2
	v_and_b32_e32 v5, 0x400000, v2
	v_and_or_b32 v2, v2, s0, v3
	v_cmp_ne_u32_e32 vcc, 0, v5
	v_cmp_ne_u32_e64 s[0:1], 0, v2
	s_and_b64 s[0:1], vcc, s[0:1]
	v_cndmask_b32_e64 v2, 0, 1, s[0:1]
	v_add_u32_e32 v4, v4, v2
; %bb.2184:
	s_or_b64 exec, exec, s[6:7]
	s_mov_b64 s[0:1], 0
	global_store_byte v[0:1], v4, off
.LBB15_2185:
	s_mov_b64 s[6:7], 0
.LBB15_2186:
	s_and_b64 vcc, exec, s[6:7]
	s_cbranch_vccz .LBB15_2189
; %bb.2187:
	v_cmp_eq_u16_e64 s[6:7], s16, 29
	s_mov_b64 s[0:1], -1
	s_and_b64 vcc, exec, s[6:7]
	s_cbranch_vccz .LBB15_2189
; %bb.2188:
	v_trunc_f64_e32 v[2:3], v[12:13]
	s_movk_i32 s0, 0xffe0
	v_ldexp_f64 v[4:5], v[2:3], s0
	v_floor_f64_e32 v[4:5], v[4:5]
	v_fmac_f64_e32 v[2:3], 0xc1f00000, v[4:5]
	v_cvt_u32_f64_e32 v7, v[4:5]
	v_cvt_u32_f64_e32 v6, v[2:3]
	global_store_dwordx2 v[0:1], v[6:7], off
	s_mov_b64 s[0:1], 0
.LBB15_2189:
	s_mov_b64 s[6:7], 0
.LBB15_2190:
	s_and_b64 vcc, exec, s[6:7]
	s_cbranch_vccz .LBB15_2205
; %bb.2191:
	v_cmp_lt_i16_e64 s[8:9], s16, 27
	s_mov_b64 s[6:7], -1
	s_and_b64 vcc, exec, s[8:9]
	s_cbranch_vccnz .LBB15_2197
; %bb.2192:
	v_cmp_gt_i16_e64 s[8:9], s16, 27
	s_and_b64 vcc, exec, s[8:9]
	s_cbranch_vccz .LBB15_2194
; %bb.2193:
	v_cvt_u32_f64_e32 v2, v[12:13]
	global_store_dword v[0:1], v2, off
	s_mov_b64 s[6:7], 0
.LBB15_2194:
	s_andn2_b64 vcc, exec, s[6:7]
	s_cbranch_vccnz .LBB15_2196
; %bb.2195:
	v_cvt_u32_f64_e32 v2, v[12:13]
	global_store_short v[0:1], v2, off
.LBB15_2196:
	s_mov_b64 s[6:7], 0
.LBB15_2197:
	s_andn2_b64 vcc, exec, s[6:7]
	s_cbranch_vccnz .LBB15_2205
; %bb.2198:
	v_cvt_f32_f64_e32 v2, v[12:13]
	v_and_b32_e32 v3, 0x7fffffff, v2
	s_mov_b32 s6, 0x43800000
	v_cmp_gt_u32_e32 vcc, s6, v3
	v_mov_b32_e32 v4, 0x80
	s_and_saveexec_b64 s[6:7], vcc
	s_cbranch_execz .LBB15_2204
; %bb.2199:
	s_mov_b32 s8, 0x3bffffff
	v_cmp_lt_u32_e32 vcc, s8, v3
	s_mov_b64 s[8:9], 0
                                        ; implicit-def: $vgpr3
	s_and_saveexec_b64 s[10:11], vcc
	s_xor_b64 s[10:11], exec, s[10:11]
	s_cbranch_execz .LBB15_2248
; %bb.2200:
	v_bfe_u32 v3, v2, 20, 1
	s_mov_b32 s12, 0x487ffff
	v_add3_u32 v3, v2, v3, s12
	s_mov_b64 s[8:9], exec
	v_lshrrev_b32_e32 v3, 20, v3
	s_or_saveexec_b64 s[10:11], s[10:11]
                                        ; implicit-def: $sgpr12
	s_xor_b64 exec, exec, s[10:11]
	s_cbranch_execnz .LBB15_2249
.LBB15_2201:
	s_or_b64 exec, exec, s[10:11]
	v_mov_b32_e32 v4, s12
	s_and_saveexec_b64 s[10:11], s[8:9]
.LBB15_2202:
	v_lshrrev_b32_e32 v2, 24, v2
	s_movk_i32 s8, 0x80
	v_and_or_b32 v4, v2, s8, v3
.LBB15_2203:
	s_or_b64 exec, exec, s[10:11]
.LBB15_2204:
	s_or_b64 exec, exec, s[6:7]
	global_store_byte v[0:1], v4, off
.LBB15_2205:
	s_mov_b64 s[6:7], 0
.LBB15_2206:
	s_and_b64 vcc, exec, s[6:7]
	s_cbranch_vccz .LBB15_2246
; %bb.2207:
	v_cmp_gt_i16_e64 s[6:7], s16, 22
	s_mov_b64 s[4:5], -1
	s_and_b64 vcc, exec, s[6:7]
	s_cbranch_vccz .LBB15_2239
; %bb.2208:
	v_cmp_lt_i16_e64 s[6:7], s16, 24
	s_and_b64 vcc, exec, s[6:7]
	s_cbranch_vccnz .LBB15_2228
; %bb.2209:
	v_cmp_gt_i16_e64 s[6:7], s16, 24
	s_and_b64 vcc, exec, s[6:7]
	s_cbranch_vccz .LBB15_2217
; %bb.2210:
	v_cvt_f32_f64_e32 v2, v[12:13]
	v_and_b32_e32 v3, 0x7fffffff, v2
	s_mov_b32 s4, 0x47800000
	v_cmp_gt_u32_e32 vcc, s4, v3
	v_mov_b32_e32 v4, 0x80
	s_and_saveexec_b64 s[4:5], vcc
	s_cbranch_execz .LBB15_2216
; %bb.2211:
	s_mov_b32 s6, 0x37ffffff
	v_cmp_lt_u32_e32 vcc, s6, v3
	s_mov_b64 s[6:7], 0
                                        ; implicit-def: $vgpr3
	s_and_saveexec_b64 s[8:9], vcc
	s_xor_b64 s[8:9], exec, s[8:9]
	s_cbranch_execz .LBB15_2251
; %bb.2212:
	v_bfe_u32 v3, v2, 21, 1
	s_mov_b32 s10, 0x88fffff
	v_add3_u32 v3, v2, v3, s10
	s_mov_b64 s[6:7], exec
	v_lshrrev_b32_e32 v3, 21, v3
	s_or_saveexec_b64 s[8:9], s[8:9]
                                        ; implicit-def: $sgpr10
	s_xor_b64 exec, exec, s[8:9]
	s_cbranch_execnz .LBB15_2252
.LBB15_2213:
	s_or_b64 exec, exec, s[8:9]
	v_mov_b32_e32 v4, s10
	s_and_saveexec_b64 s[8:9], s[6:7]
.LBB15_2214:
	v_lshrrev_b32_e32 v2, 24, v2
	s_movk_i32 s6, 0x80
	v_and_or_b32 v4, v2, s6, v3
.LBB15_2215:
	s_or_b64 exec, exec, s[8:9]
.LBB15_2216:
	s_or_b64 exec, exec, s[4:5]
	s_mov_b64 s[4:5], 0
	global_store_byte v[0:1], v4, off
.LBB15_2217:
	s_and_b64 vcc, exec, s[4:5]
	s_cbranch_vccz .LBB15_2227
; %bb.2218:
	v_cvt_f32_f64_e32 v2, v[12:13]
	v_and_b32_e32 v4, 0x7fffffff, v2
	s_mov_b32 s4, 0x43f00000
	v_cmp_gt_u32_e32 vcc, s4, v4
                                        ; implicit-def: $vgpr3
	s_and_saveexec_b64 s[4:5], vcc
	s_xor_b64 s[4:5], exec, s[4:5]
	s_cbranch_execz .LBB15_2224
; %bb.2219:
	s_mov_b32 s6, 0x3c7fffff
	v_cmp_lt_u32_e32 vcc, s6, v4
                                        ; implicit-def: $vgpr3
	s_and_saveexec_b64 s[6:7], vcc
	s_xor_b64 s[6:7], exec, s[6:7]
; %bb.2220:
	v_bfe_u32 v3, v2, 20, 1
	s_mov_b32 s8, 0x407ffff
	v_add3_u32 v3, v2, v3, s8
	v_lshrrev_b32_e32 v4, 20, v3
	v_and_b32_e32 v3, 0xff00000, v3
	s_mov_b32 s8, 0x7f00000
	v_mov_b32_e32 v5, 0x7e
	v_cmp_ne_u32_e32 vcc, s8, v3
	v_cndmask_b32_e32 v3, v5, v4, vcc
; %bb.2221:
	s_andn2_saveexec_b64 s[6:7], s[6:7]
; %bb.2222:
	s_mov_b32 s8, 0x46800000
	v_add_f32_e64 v3, |v2|, s8
; %bb.2223:
	s_or_b64 exec, exec, s[6:7]
                                        ; implicit-def: $vgpr4
.LBB15_2224:
	s_andn2_saveexec_b64 s[4:5], s[4:5]
; %bb.2225:
	s_mov_b32 s6, 0x7f800000
	v_mov_b32_e32 v3, 0x7e
	v_mov_b32_e32 v5, 0x7f
	v_cmp_lt_u32_e32 vcc, s6, v4
	v_cndmask_b32_e32 v3, v3, v5, vcc
; %bb.2226:
	s_or_b64 exec, exec, s[4:5]
	v_lshrrev_b32_e32 v2, 24, v2
	s_movk_i32 s4, 0x80
	v_and_or_b32 v2, v2, s4, v3
	global_store_byte v[0:1], v2, off
.LBB15_2227:
	s_mov_b64 s[4:5], 0
.LBB15_2228:
	s_andn2_b64 vcc, exec, s[4:5]
	s_cbranch_vccnz .LBB15_2238
; %bb.2229:
	v_cvt_f32_f64_e32 v2, v[12:13]
	v_and_b32_e32 v4, 0x7fffffff, v2
	s_mov_b32 s4, 0x47800000
	v_cmp_gt_u32_e32 vcc, s4, v4
                                        ; implicit-def: $vgpr3
	s_and_saveexec_b64 s[4:5], vcc
	s_xor_b64 s[4:5], exec, s[4:5]
	s_cbranch_execz .LBB15_2235
; %bb.2230:
	s_mov_b32 s6, 0x387fffff
	v_cmp_lt_u32_e32 vcc, s6, v4
                                        ; implicit-def: $vgpr3
	s_and_saveexec_b64 s[6:7], vcc
	s_xor_b64 s[6:7], exec, s[6:7]
; %bb.2231:
	v_bfe_u32 v3, v2, 21, 1
	s_mov_b32 s8, 0x80fffff
	v_add3_u32 v3, v2, v3, s8
	v_lshrrev_b32_e32 v3, 21, v3
; %bb.2232:
	s_andn2_saveexec_b64 s[6:7], s[6:7]
; %bb.2233:
	s_mov_b32 s8, 0x43000000
	v_add_f32_e64 v3, |v2|, s8
; %bb.2234:
	s_or_b64 exec, exec, s[6:7]
                                        ; implicit-def: $vgpr4
.LBB15_2235:
	s_andn2_saveexec_b64 s[4:5], s[4:5]
; %bb.2236:
	s_mov_b32 s6, 0x7f800000
	v_mov_b32_e32 v3, 0x7c
	v_mov_b32_e32 v5, 0x7f
	v_cmp_lt_u32_e32 vcc, s6, v4
	v_cndmask_b32_e32 v3, v3, v5, vcc
; %bb.2237:
	s_or_b64 exec, exec, s[4:5]
	v_lshrrev_b32_e32 v2, 24, v2
	s_movk_i32 s4, 0x80
	v_and_or_b32 v2, v2, s4, v3
	global_store_byte v[0:1], v2, off
.LBB15_2238:
	s_mov_b64 s[4:5], 0
.LBB15_2239:
	s_andn2_b64 vcc, exec, s[4:5]
	s_mov_b64 s[4:5], 0
	s_cbranch_vccnz .LBB15_2246
; %bb.2240:
	v_cmp_gt_i16_e64 s[4:5], s16, 14
	s_mov_b64 s[6:7], -1
	s_and_b64 vcc, exec, s[4:5]
	s_cbranch_vccz .LBB15_2244
; %bb.2241:
	v_cmp_eq_u16_e64 s[4:5], s16, 15
	s_mov_b64 s[0:1], -1
	s_and_b64 vcc, exec, s[4:5]
	s_cbranch_vccz .LBB15_2243
; %bb.2242:
	v_cvt_f32_f64_e32 v2, v[12:13]
	v_bfe_u32 v3, v2, 16, 1
	s_movk_i32 s0, 0x7fff
	v_add3_u32 v3, v2, v3, s0
	v_lshrrev_b32_e32 v3, 16, v3
	v_mov_b32_e32 v4, 0x7fc0
	v_cmp_o_f32_e32 vcc, v2, v2
	v_cndmask_b32_e32 v2, v4, v3, vcc
	global_store_short v[0:1], v2, off
	s_mov_b64 s[0:1], 0
.LBB15_2243:
	s_mov_b64 s[6:7], 0
.LBB15_2244:
	s_mov_b64 s[4:5], 0
	s_and_b64 vcc, exec, s[6:7]
	s_cbranch_vccz .LBB15_2246
; %bb.2245:
	v_cmp_ne_u16_e64 s[0:1], s16, 11
	s_mov_b64 s[4:5], -1
.LBB15_2246:
	s_and_b64 vcc, exec, s[0:1]
	s_cbranch_vccnz .LBB15_2250
.LBB15_2247:
	s_mov_b64 s[0:1], 0
	s_branch .LBB15_1738
.LBB15_2248:
	s_or_saveexec_b64 s[10:11], s[10:11]
                                        ; implicit-def: $sgpr12
	s_xor_b64 exec, exec, s[10:11]
	s_cbranch_execz .LBB15_2201
.LBB15_2249:
	s_mov_b32 s12, 0x46000000
	v_add_f32_e64 v3, |v2|, s12
	v_and_b32_e32 v3, 0xff, v3
	v_cmp_ne_u32_e32 vcc, 0, v3
	s_andn2_b64 s[8:9], s[8:9], exec
	s_and_b64 s[14:15], vcc, exec
	s_mov_b32 s12, 0
	s_or_b64 s[8:9], s[8:9], s[14:15]
	s_or_b64 exec, exec, s[10:11]
	v_mov_b32_e32 v4, s12
	s_and_saveexec_b64 s[10:11], s[8:9]
	s_cbranch_execnz .LBB15_2202
	s_branch .LBB15_2203
.LBB15_2250:
	s_mov_b64 s[4:5], 0
	s_or_b64 s[2:3], s[2:3], exec
	s_trap 2
	s_branch .LBB15_2247
.LBB15_2251:
	s_or_saveexec_b64 s[8:9], s[8:9]
                                        ; implicit-def: $sgpr10
	s_xor_b64 exec, exec, s[8:9]
	s_cbranch_execz .LBB15_2213
.LBB15_2252:
	s_mov_b32 s10, 0x42800000
	v_add_f32_e64 v3, |v2|, s10
	v_and_b32_e32 v3, 0xff, v3
	v_cmp_ne_u32_e32 vcc, 0, v3
	s_andn2_b64 s[6:7], s[6:7], exec
	s_and_b64 s[12:13], vcc, exec
	s_mov_b32 s10, 0
	s_or_b64 s[6:7], s[6:7], s[12:13]
	s_or_b64 exec, exec, s[8:9]
	v_mov_b32_e32 v4, s10
	s_and_saveexec_b64 s[8:9], s[6:7]
	s_cbranch_execnz .LBB15_2214
	s_branch .LBB15_2215
	.section	.rodata,"a",@progbits
	.p2align	6, 0x0
	.amdhsa_kernel _ZN2at6native32elementwise_kernel_manual_unrollILi128ELi4EZNS0_15gpu_kernel_implINS0_13BUnaryFunctorIdddZZZNS0_12_GLOBAL__N_133hermite_polynomial_he_kernel_cudaERNS_18TensorIteratorBaseEENKUlvE_clEvENKUlvE_clEvEUlddE_EEEEvS6_RKT_EUlibE0_EEviT1_
		.amdhsa_group_segment_fixed_size 0
		.amdhsa_private_segment_fixed_size 0
		.amdhsa_kernarg_size 376
		.amdhsa_user_sgpr_count 6
		.amdhsa_user_sgpr_private_segment_buffer 1
		.amdhsa_user_sgpr_dispatch_ptr 0
		.amdhsa_user_sgpr_queue_ptr 0
		.amdhsa_user_sgpr_kernarg_segment_ptr 1
		.amdhsa_user_sgpr_dispatch_id 0
		.amdhsa_user_sgpr_flat_scratch_init 0
		.amdhsa_user_sgpr_kernarg_preload_length 0
		.amdhsa_user_sgpr_kernarg_preload_offset 0
		.amdhsa_user_sgpr_private_segment_size 0
		.amdhsa_uses_dynamic_stack 0
		.amdhsa_system_sgpr_private_segment_wavefront_offset 0
		.amdhsa_system_sgpr_workgroup_id_x 1
		.amdhsa_system_sgpr_workgroup_id_y 0
		.amdhsa_system_sgpr_workgroup_id_z 0
		.amdhsa_system_sgpr_workgroup_info 0
		.amdhsa_system_vgpr_workitem_id 0
		.amdhsa_next_free_vgpr 24
		.amdhsa_next_free_sgpr 83
		.amdhsa_accum_offset 24
		.amdhsa_reserve_vcc 1
		.amdhsa_reserve_flat_scratch 0
		.amdhsa_float_round_mode_32 0
		.amdhsa_float_round_mode_16_64 0
		.amdhsa_float_denorm_mode_32 3
		.amdhsa_float_denorm_mode_16_64 3
		.amdhsa_dx10_clamp 1
		.amdhsa_ieee_mode 1
		.amdhsa_fp16_overflow 0
		.amdhsa_tg_split 0
		.amdhsa_exception_fp_ieee_invalid_op 0
		.amdhsa_exception_fp_denorm_src 0
		.amdhsa_exception_fp_ieee_div_zero 0
		.amdhsa_exception_fp_ieee_overflow 0
		.amdhsa_exception_fp_ieee_underflow 0
		.amdhsa_exception_fp_ieee_inexact 0
		.amdhsa_exception_int_div_zero 0
	.end_amdhsa_kernel
	.section	.text._ZN2at6native32elementwise_kernel_manual_unrollILi128ELi4EZNS0_15gpu_kernel_implINS0_13BUnaryFunctorIdddZZZNS0_12_GLOBAL__N_133hermite_polynomial_he_kernel_cudaERNS_18TensorIteratorBaseEENKUlvE_clEvENKUlvE_clEvEUlddE_EEEEvS6_RKT_EUlibE0_EEviT1_,"axG",@progbits,_ZN2at6native32elementwise_kernel_manual_unrollILi128ELi4EZNS0_15gpu_kernel_implINS0_13BUnaryFunctorIdddZZZNS0_12_GLOBAL__N_133hermite_polynomial_he_kernel_cudaERNS_18TensorIteratorBaseEENKUlvE_clEvENKUlvE_clEvEUlddE_EEEEvS6_RKT_EUlibE0_EEviT1_,comdat
.Lfunc_end15:
	.size	_ZN2at6native32elementwise_kernel_manual_unrollILi128ELi4EZNS0_15gpu_kernel_implINS0_13BUnaryFunctorIdddZZZNS0_12_GLOBAL__N_133hermite_polynomial_he_kernel_cudaERNS_18TensorIteratorBaseEENKUlvE_clEvENKUlvE_clEvEUlddE_EEEEvS6_RKT_EUlibE0_EEviT1_, .Lfunc_end15-_ZN2at6native32elementwise_kernel_manual_unrollILi128ELi4EZNS0_15gpu_kernel_implINS0_13BUnaryFunctorIdddZZZNS0_12_GLOBAL__N_133hermite_polynomial_he_kernel_cudaERNS_18TensorIteratorBaseEENKUlvE_clEvENKUlvE_clEvEUlddE_EEEEvS6_RKT_EUlibE0_EEviT1_
                                        ; -- End function
	.section	.AMDGPU.csdata,"",@progbits
; Kernel info:
; codeLenInByte = 42384
; NumSgprs: 87
; NumVgprs: 24
; NumAgprs: 0
; TotalNumVgprs: 24
; ScratchSize: 0
; MemoryBound: 1
; FloatMode: 240
; IeeeMode: 1
; LDSByteSize: 0 bytes/workgroup (compile time only)
; SGPRBlocks: 10
; VGPRBlocks: 2
; NumSGPRsForWavesPerEU: 87
; NumVGPRsForWavesPerEU: 24
; AccumOffset: 24
; Occupancy: 8
; WaveLimiterHint : 1
; COMPUTE_PGM_RSRC2:SCRATCH_EN: 0
; COMPUTE_PGM_RSRC2:USER_SGPR: 6
; COMPUTE_PGM_RSRC2:TRAP_HANDLER: 0
; COMPUTE_PGM_RSRC2:TGID_X_EN: 1
; COMPUTE_PGM_RSRC2:TGID_Y_EN: 0
; COMPUTE_PGM_RSRC2:TGID_Z_EN: 0
; COMPUTE_PGM_RSRC2:TIDIG_COMP_CNT: 0
; COMPUTE_PGM_RSRC3_GFX90A:ACCUM_OFFSET: 5
; COMPUTE_PGM_RSRC3_GFX90A:TG_SPLIT: 0
	.section	.text._ZN2at6native29vectorized_elementwise_kernelILi16ENS0_13BinaryFunctorIdddZZZNS0_12_GLOBAL__N_133hermite_polynomial_he_kernel_cudaERNS_18TensorIteratorBaseEENKUlvE_clEvENKUlvE_clEvEUlddE_EESt5arrayIPcLm3EEEEviT0_T1_,"axG",@progbits,_ZN2at6native29vectorized_elementwise_kernelILi16ENS0_13BinaryFunctorIdddZZZNS0_12_GLOBAL__N_133hermite_polynomial_he_kernel_cudaERNS_18TensorIteratorBaseEENKUlvE_clEvENKUlvE_clEvEUlddE_EESt5arrayIPcLm3EEEEviT0_T1_,comdat
	.globl	_ZN2at6native29vectorized_elementwise_kernelILi16ENS0_13BinaryFunctorIdddZZZNS0_12_GLOBAL__N_133hermite_polynomial_he_kernel_cudaERNS_18TensorIteratorBaseEENKUlvE_clEvENKUlvE_clEvEUlddE_EESt5arrayIPcLm3EEEEviT0_T1_ ; -- Begin function _ZN2at6native29vectorized_elementwise_kernelILi16ENS0_13BinaryFunctorIdddZZZNS0_12_GLOBAL__N_133hermite_polynomial_he_kernel_cudaERNS_18TensorIteratorBaseEENKUlvE_clEvENKUlvE_clEvEUlddE_EESt5arrayIPcLm3EEEEviT0_T1_
	.p2align	8
	.type	_ZN2at6native29vectorized_elementwise_kernelILi16ENS0_13BinaryFunctorIdddZZZNS0_12_GLOBAL__N_133hermite_polynomial_he_kernel_cudaERNS_18TensorIteratorBaseEENKUlvE_clEvENKUlvE_clEvEUlddE_EESt5arrayIPcLm3EEEEviT0_T1_,@function
_ZN2at6native29vectorized_elementwise_kernelILi16ENS0_13BinaryFunctorIdddZZZNS0_12_GLOBAL__N_133hermite_polynomial_he_kernel_cudaERNS_18TensorIteratorBaseEENKUlvE_clEvENKUlvE_clEvEUlddE_EESt5arrayIPcLm3EEEEviT0_T1_: ; @_ZN2at6native29vectorized_elementwise_kernelILi16ENS0_13BinaryFunctorIdddZZZNS0_12_GLOBAL__N_133hermite_polynomial_he_kernel_cudaERNS_18TensorIteratorBaseEENKUlvE_clEvENKUlvE_clEvEUlddE_EESt5arrayIPcLm3EEEEviT0_T1_
; %bb.0:
	s_load_dword s0, s[4:5], 0x0
	s_load_dwordx4 s[8:11], s[4:5], 0x8
	s_load_dwordx2 s[12:13], s[4:5], 0x18
	s_lshl_b32 s2, s6, 10
	s_waitcnt lgkmcnt(0)
	s_sub_i32 s22, s0, s2
	s_cmpk_gt_i32 s22, 0x3ff
	s_mov_b64 s[0:1], -1
	s_cbranch_scc0 .LBB16_50
; %bb.1:
	s_ashr_i32 s3, s2, 31
	s_lshl_b64 s[0:1], s[2:3], 3
	s_add_u32 s4, s10, s0
	s_addc_u32 s5, s11, s1
	s_add_u32 s6, s12, s0
	v_lshlrev_b32_e32 v1, 5, v0
	s_addc_u32 s7, s13, s1
	global_load_dwordx4 v[6:9], v1, s[6:7]
	global_load_dwordx4 v[10:13], v1, s[6:7] offset:16
	global_load_dwordx4 v[2:5], v1, s[4:5] offset:16
	global_load_dwordx4 v[14:17], v1, s[4:5]
	s_movk_i32 s3, 0xffe0
	s_waitcnt vmcnt(3)
	v_trunc_f64_e32 v[6:7], v[6:7]
	v_ldexp_f64 v[18:19], v[6:7], s3
	v_floor_f64_e32 v[18:19], v[18:19]
	v_fmac_f64_e32 v[6:7], 0xc1f00000, v[18:19]
	v_cvt_i32_f64_e32 v19, v[18:19]
	v_cvt_u32_f64_e32 v18, v[6:7]
	v_cmp_lt_i64_e32 vcc, -1, v[18:19]
	v_pk_mov_b32 v[6:7], 0, 0
	s_and_saveexec_b64 s[4:5], vcc
	s_cbranch_execz .LBB16_13
; %bb.2:
	v_mov_b32_e32 v6, 0
	v_cmp_lt_i64_e32 vcc, 0, v[18:19]
	v_mov_b32_e32 v7, 0x3ff00000
	s_and_saveexec_b64 s[6:7], vcc
	s_cbranch_execz .LBB16_12
; %bb.3:
	v_cmp_ne_u64_e32 vcc, 1, v[18:19]
                                        ; implicit-def: $vgpr6_vgpr7
	s_and_saveexec_b64 s[14:15], vcc
	s_xor_b64 s[14:15], exec, s[14:15]
	s_cbranch_execz .LBB16_9
; %bb.4:
	s_mov_b64 s[16:17], 0x201
	v_mov_b32_e32 v6, 0
	v_cmp_gt_u64_e32 vcc, s[16:17], v[18:19]
	v_mov_b32_e32 v7, 0x7ff80000
	s_and_saveexec_b64 s[16:17], vcc
	s_cbranch_execz .LBB16_8
; %bb.5:
	v_mov_b32_e32 v20, 0
	s_mov_b64 s[20:21], 1
	s_mov_b64 s[18:19], 0
	v_mov_b32_e32 v21, 0x3ff00000
	s_waitcnt vmcnt(0)
	v_pk_mov_b32 v[6:7], v[14:15], v[14:15] op_sel:[0,1]
.LBB16_6:                               ; =>This Inner Loop Header: Depth=1
	v_cvt_f64_u32_e32 v[22:23], s21
	v_cvt_f64_u32_e32 v[24:25], s20
	s_add_u32 s20, s20, 1
	v_ldexp_f64 v[22:23], v[22:23], 32
	s_addc_u32 s21, s21, 0
	v_add_f64 v[22:23], v[22:23], v[24:25]
	v_cmp_eq_u64_e32 vcc, s[20:21], v[18:19]
	v_mul_f64 v[22:23], v[20:21], v[22:23]
	s_or_b64 s[18:19], vcc, s[18:19]
	v_pk_mov_b32 v[20:21], v[6:7], v[6:7] op_sel:[0,1]
	v_fma_f64 v[6:7], v[14:15], v[6:7], -v[22:23]
	s_andn2_b64 exec, exec, s[18:19]
	s_cbranch_execnz .LBB16_6
; %bb.7:
	s_or_b64 exec, exec, s[18:19]
.LBB16_8:
	s_or_b64 exec, exec, s[16:17]
.LBB16_9:
	s_andn2_saveexec_b64 s[14:15], s[14:15]
	s_cbranch_execz .LBB16_11
; %bb.10:
	s_waitcnt vmcnt(0)
	v_pk_mov_b32 v[6:7], v[14:15], v[14:15] op_sel:[0,1]
.LBB16_11:
	s_or_b64 exec, exec, s[14:15]
.LBB16_12:
	s_or_b64 exec, exec, s[6:7]
.LBB16_13:
	s_or_b64 exec, exec, s[4:5]
	v_trunc_f64_e32 v[8:9], v[8:9]
	s_movk_i32 s3, 0xffe0
	s_waitcnt vmcnt(0)
	v_ldexp_f64 v[14:15], v[8:9], s3
	v_floor_f64_e32 v[18:19], v[14:15]
	v_fmac_f64_e32 v[8:9], 0xc1f00000, v[18:19]
	v_cvt_u32_f64_e32 v14, v[8:9]
	v_cvt_i32_f64_e32 v15, v[18:19]
	v_cmp_lt_i64_e32 vcc, -1, v[14:15]
	v_pk_mov_b32 v[8:9], 0, 0
	s_and_saveexec_b64 s[4:5], vcc
	s_cbranch_execz .LBB16_25
; %bb.14:
	v_mov_b32_e32 v8, 0
	v_cmp_lt_i64_e32 vcc, 0, v[14:15]
	v_mov_b32_e32 v9, 0x3ff00000
	s_and_saveexec_b64 s[6:7], vcc
	s_cbranch_execz .LBB16_24
; %bb.15:
	v_cmp_ne_u64_e32 vcc, 1, v[14:15]
	s_and_saveexec_b64 s[14:15], vcc
	s_xor_b64 s[14:15], exec, s[14:15]
	s_cbranch_execz .LBB16_21
; %bb.16:
	s_mov_b64 s[16:17], 0x201
	v_mov_b32_e32 v8, 0
	v_cmp_gt_u64_e32 vcc, s[16:17], v[14:15]
	v_mov_b32_e32 v9, 0x7ff80000
	s_and_saveexec_b64 s[16:17], vcc
	s_cbranch_execz .LBB16_20
; %bb.17:
	v_mov_b32_e32 v18, 0
	s_mov_b64 s[20:21], 1
	s_mov_b64 s[18:19], 0
	v_mov_b32_e32 v19, 0x3ff00000
	v_pk_mov_b32 v[8:9], v[16:17], v[16:17] op_sel:[0,1]
.LBB16_18:                              ; =>This Inner Loop Header: Depth=1
	v_cvt_f64_u32_e32 v[20:21], s21
	v_cvt_f64_u32_e32 v[22:23], s20
	s_add_u32 s20, s20, 1
	v_ldexp_f64 v[20:21], v[20:21], 32
	s_addc_u32 s21, s21, 0
	v_add_f64 v[20:21], v[20:21], v[22:23]
	v_cmp_eq_u64_e32 vcc, s[20:21], v[14:15]
	v_mul_f64 v[20:21], v[18:19], v[20:21]
	s_or_b64 s[18:19], vcc, s[18:19]
	v_pk_mov_b32 v[18:19], v[8:9], v[8:9] op_sel:[0,1]
	v_fma_f64 v[8:9], v[16:17], v[8:9], -v[20:21]
	s_andn2_b64 exec, exec, s[18:19]
	s_cbranch_execnz .LBB16_18
; %bb.19:
	s_or_b64 exec, exec, s[18:19]
.LBB16_20:
	s_or_b64 exec, exec, s[16:17]
                                        ; implicit-def: $vgpr16_vgpr17
.LBB16_21:
	s_andn2_saveexec_b64 s[14:15], s[14:15]
; %bb.22:
	v_pk_mov_b32 v[8:9], v[16:17], v[16:17] op_sel:[0,1]
; %bb.23:
	s_or_b64 exec, exec, s[14:15]
.LBB16_24:
	s_or_b64 exec, exec, s[6:7]
.LBB16_25:
	s_or_b64 exec, exec, s[4:5]
	v_trunc_f64_e32 v[10:11], v[10:11]
	s_movk_i32 s3, 0xffe0
	v_ldexp_f64 v[14:15], v[10:11], s3
	v_floor_f64_e32 v[16:17], v[14:15]
	v_fmac_f64_e32 v[10:11], 0xc1f00000, v[16:17]
	v_cvt_u32_f64_e32 v14, v[10:11]
	v_cvt_i32_f64_e32 v15, v[16:17]
	v_cmp_lt_i64_e32 vcc, -1, v[14:15]
	v_pk_mov_b32 v[10:11], 0, 0
	s_and_saveexec_b64 s[4:5], vcc
	s_cbranch_execz .LBB16_37
; %bb.26:
	v_mov_b32_e32 v10, 0
	v_cmp_lt_i64_e32 vcc, 0, v[14:15]
	v_mov_b32_e32 v11, 0x3ff00000
	s_and_saveexec_b64 s[6:7], vcc
	s_cbranch_execz .LBB16_36
; %bb.27:
	v_cmp_ne_u64_e32 vcc, 1, v[14:15]
                                        ; implicit-def: $vgpr10_vgpr11
	s_and_saveexec_b64 s[14:15], vcc
	s_xor_b64 s[14:15], exec, s[14:15]
	s_cbranch_execz .LBB16_33
; %bb.28:
	s_mov_b64 s[16:17], 0x201
	v_mov_b32_e32 v10, 0
	v_cmp_gt_u64_e32 vcc, s[16:17], v[14:15]
	v_mov_b32_e32 v11, 0x7ff80000
	s_and_saveexec_b64 s[16:17], vcc
	s_cbranch_execz .LBB16_32
; %bb.29:
	v_mov_b32_e32 v16, 0
	s_mov_b64 s[20:21], 1
	s_mov_b64 s[18:19], 0
	v_mov_b32_e32 v17, 0x3ff00000
	v_pk_mov_b32 v[10:11], v[2:3], v[2:3] op_sel:[0,1]
.LBB16_30:                              ; =>This Inner Loop Header: Depth=1
	v_cvt_f64_u32_e32 v[18:19], s21
	v_cvt_f64_u32_e32 v[20:21], s20
	s_add_u32 s20, s20, 1
	v_ldexp_f64 v[18:19], v[18:19], 32
	s_addc_u32 s21, s21, 0
	v_add_f64 v[18:19], v[18:19], v[20:21]
	v_cmp_eq_u64_e32 vcc, s[20:21], v[14:15]
	v_mul_f64 v[18:19], v[16:17], v[18:19]
	s_or_b64 s[18:19], vcc, s[18:19]
	v_pk_mov_b32 v[16:17], v[10:11], v[10:11] op_sel:[0,1]
	v_fma_f64 v[10:11], v[2:3], v[10:11], -v[18:19]
	s_andn2_b64 exec, exec, s[18:19]
	s_cbranch_execnz .LBB16_30
; %bb.31:
	s_or_b64 exec, exec, s[18:19]
.LBB16_32:
	s_or_b64 exec, exec, s[16:17]
.LBB16_33:
	s_andn2_saveexec_b64 s[14:15], s[14:15]
; %bb.34:
	v_pk_mov_b32 v[10:11], v[2:3], v[2:3] op_sel:[0,1]
; %bb.35:
	s_or_b64 exec, exec, s[14:15]
.LBB16_36:
	s_or_b64 exec, exec, s[6:7]
.LBB16_37:
	s_or_b64 exec, exec, s[4:5]
	v_trunc_f64_e32 v[2:3], v[12:13]
	s_movk_i32 s3, 0xffe0
	v_ldexp_f64 v[12:13], v[2:3], s3
	v_floor_f64_e32 v[12:13], v[12:13]
	v_fmac_f64_e32 v[2:3], 0xc1f00000, v[12:13]
	v_cvt_u32_f64_e32 v2, v[2:3]
	v_cvt_i32_f64_e32 v3, v[12:13]
	v_cmp_lt_i64_e32 vcc, -1, v[2:3]
	v_pk_mov_b32 v[12:13], 0, 0
	s_and_saveexec_b64 s[4:5], vcc
	s_cbranch_execz .LBB16_49
; %bb.38:
	v_mov_b32_e32 v12, 0
	v_cmp_lt_i64_e32 vcc, 0, v[2:3]
	v_mov_b32_e32 v13, 0x3ff00000
	s_and_saveexec_b64 s[6:7], vcc
	s_cbranch_execz .LBB16_48
; %bb.39:
	v_cmp_ne_u64_e32 vcc, 1, v[2:3]
	s_and_saveexec_b64 s[14:15], vcc
	s_xor_b64 s[14:15], exec, s[14:15]
	s_cbranch_execz .LBB16_45
; %bb.40:
	s_mov_b64 s[16:17], 0x201
	v_mov_b32_e32 v12, 0
	v_cmp_gt_u64_e32 vcc, s[16:17], v[2:3]
	v_mov_b32_e32 v13, 0x7ff80000
	s_and_saveexec_b64 s[16:17], vcc
	s_cbranch_execz .LBB16_44
; %bb.41:
	v_mov_b32_e32 v14, 0
	s_mov_b64 s[20:21], 1
	s_mov_b64 s[18:19], 0
	v_mov_b32_e32 v15, 0x3ff00000
	v_pk_mov_b32 v[12:13], v[4:5], v[4:5] op_sel:[0,1]
.LBB16_42:                              ; =>This Inner Loop Header: Depth=1
	v_cvt_f64_u32_e32 v[16:17], s21
	v_cvt_f64_u32_e32 v[18:19], s20
	s_add_u32 s20, s20, 1
	v_ldexp_f64 v[16:17], v[16:17], 32
	s_addc_u32 s21, s21, 0
	v_add_f64 v[16:17], v[16:17], v[18:19]
	v_cmp_eq_u64_e32 vcc, s[20:21], v[2:3]
	v_mul_f64 v[16:17], v[14:15], v[16:17]
	s_or_b64 s[18:19], vcc, s[18:19]
	v_pk_mov_b32 v[14:15], v[12:13], v[12:13] op_sel:[0,1]
	v_fma_f64 v[12:13], v[4:5], v[12:13], -v[16:17]
	s_andn2_b64 exec, exec, s[18:19]
	s_cbranch_execnz .LBB16_42
; %bb.43:
	s_or_b64 exec, exec, s[18:19]
.LBB16_44:
	s_or_b64 exec, exec, s[16:17]
                                        ; implicit-def: $vgpr4_vgpr5
.LBB16_45:
	s_andn2_saveexec_b64 s[14:15], s[14:15]
; %bb.46:
	v_pk_mov_b32 v[12:13], v[4:5], v[4:5] op_sel:[0,1]
; %bb.47:
	s_or_b64 exec, exec, s[14:15]
.LBB16_48:
	s_or_b64 exec, exec, s[6:7]
.LBB16_49:
	s_or_b64 exec, exec, s[4:5]
	s_add_u32 s0, s8, s0
	s_addc_u32 s1, s9, s1
	global_store_dwordx4 v1, v[6:9], s[0:1]
	global_store_dwordx4 v1, v[10:13], s[0:1] offset:16
	s_mov_b64 s[0:1], 0
.LBB16_50:
	s_and_b64 vcc, exec, s[0:1]
	s_cbranch_vccz .LBB16_107
; %bb.51:
	v_pk_mov_b32 v[18:19], 0, 0
	v_cmp_gt_i32_e32 vcc, s22, v0
	v_or_b32_e32 v10, s2, v0
	v_pk_mov_b32 v[24:25], v[18:19], v[18:19] op_sel:[0,1]
	v_pk_mov_b32 v[26:27], v[18:19], v[18:19] op_sel:[0,1]
	v_mov_b32_e32 v1, v0
	s_and_saveexec_b64 s[4:5], vcc
	s_cbranch_execz .LBB16_53
; %bb.52:
	v_mov_b32_e32 v11, 0
	v_lshlrev_b64 v[2:3], 3, v[10:11]
	v_mov_b32_e32 v1, s13
	v_add_co_u32_e64 v4, s[0:1], s12, v2
	v_addc_co_u32_e64 v5, s[0:1], v1, v3, s[0:1]
	v_mov_b32_e32 v1, s11
	v_add_co_u32_e64 v2, s[0:1], s10, v2
	v_addc_co_u32_e64 v3, s[0:1], v1, v3, s[0:1]
	global_load_dwordx2 v[24:25], v[2:3], off
	global_load_dwordx2 v[26:27], v[4:5], off
	v_or_b32_e32 v1, 0x100, v0
.LBB16_53:
	s_or_b64 exec, exec, s[4:5]
	v_cmp_gt_i32_e64 s[0:1], s22, v1
	v_pk_mov_b32 v[22:23], v[18:19], v[18:19] op_sel:[0,1]
	s_and_saveexec_b64 s[4:5], s[0:1]
	s_cbranch_execz .LBB16_55
; %bb.54:
	v_add_u32_e32 v2, s2, v1
	v_mov_b32_e32 v3, 0
	v_lshlrev_b64 v[2:3], 3, v[2:3]
	v_mov_b32_e32 v5, s13
	v_add_co_u32_e64 v4, s[0:1], s12, v2
	v_addc_co_u32_e64 v5, s[0:1], v5, v3, s[0:1]
	v_mov_b32_e32 v6, s11
	v_add_co_u32_e64 v2, s[0:1], s10, v2
	v_addc_co_u32_e64 v3, s[0:1], v6, v3, s[0:1]
	global_load_dwordx2 v[18:19], v[2:3], off
	global_load_dwordx2 v[22:23], v[4:5], off
	v_add_u32_e32 v1, 0x100, v1
.LBB16_55:
	s_or_b64 exec, exec, s[4:5]
	v_pk_mov_b32 v[12:13], 0, 0
	v_cmp_gt_i32_e64 s[0:1], s22, v1
	v_pk_mov_b32 v[16:17], v[12:13], v[12:13] op_sel:[0,1]
	v_pk_mov_b32 v[20:21], v[12:13], v[12:13] op_sel:[0,1]
	s_and_saveexec_b64 s[4:5], s[0:1]
	s_cbranch_execz .LBB16_57
; %bb.56:
	v_add_u32_e32 v2, s2, v1
	v_mov_b32_e32 v3, 0
	v_lshlrev_b64 v[2:3], 3, v[2:3]
	v_mov_b32_e32 v5, s13
	v_add_co_u32_e64 v4, s[0:1], s12, v2
	v_addc_co_u32_e64 v5, s[0:1], v5, v3, s[0:1]
	v_mov_b32_e32 v6, s11
	v_add_co_u32_e64 v2, s[0:1], s10, v2
	v_addc_co_u32_e64 v3, s[0:1], v6, v3, s[0:1]
	global_load_dwordx2 v[16:17], v[2:3], off
	global_load_dwordx2 v[20:21], v[4:5], off
	v_add_u32_e32 v1, 0x100, v1
.LBB16_57:
	s_or_b64 exec, exec, s[4:5]
	v_cmp_gt_i32_e64 s[0:1], s22, v1
	v_pk_mov_b32 v[14:15], v[12:13], v[12:13] op_sel:[0,1]
	s_and_saveexec_b64 s[4:5], s[0:1]
	s_cbranch_execz .LBB16_59
; %bb.58:
	v_add_u32_e32 v2, s2, v1
	v_mov_b32_e32 v3, 0
	v_lshlrev_b64 v[2:3], 3, v[2:3]
	v_mov_b32_e32 v1, s13
	v_add_co_u32_e64 v4, s[0:1], s12, v2
	v_addc_co_u32_e64 v5, s[0:1], v1, v3, s[0:1]
	v_mov_b32_e32 v1, s11
	v_add_co_u32_e64 v2, s[0:1], s10, v2
	v_addc_co_u32_e64 v3, s[0:1], v1, v3, s[0:1]
	global_load_dwordx2 v[12:13], v[2:3], off
	global_load_dwordx2 v[14:15], v[4:5], off
.LBB16_59:
	s_or_b64 exec, exec, s[4:5]
                                        ; implicit-def: $vgpr2_vgpr3_vgpr4_vgpr5_vgpr6_vgpr7_vgpr8_vgpr9
	s_and_saveexec_b64 s[4:5], vcc
	s_cbranch_execz .LBB16_73
; %bb.60:
	s_waitcnt vmcnt(0)
	v_trunc_f64_e32 v[2:3], v[26:27]
	s_movk_i32 s0, 0xffe0
	v_ldexp_f64 v[4:5], v[2:3], s0
	v_floor_f64_e32 v[6:7], v[4:5]
	v_fmac_f64_e32 v[2:3], 0xc1f00000, v[6:7]
	v_cvt_i32_f64_e32 v5, v[6:7]
	v_cvt_u32_f64_e32 v4, v[2:3]
	v_cmp_lt_i64_e64 s[0:1], -1, v[4:5]
	v_pk_mov_b32 v[2:3], 0, 0
	s_and_saveexec_b64 s[6:7], s[0:1]
	s_cbranch_execz .LBB16_72
; %bb.61:
	v_mov_b32_e32 v2, 0
	v_cmp_lt_i64_e64 s[0:1], 0, v[4:5]
	v_mov_b32_e32 v3, 0x3ff00000
	s_and_saveexec_b64 s[10:11], s[0:1]
	s_cbranch_execz .LBB16_71
; %bb.62:
	v_cmp_ne_u64_e64 s[0:1], 1, v[4:5]
                                        ; implicit-def: $vgpr2_vgpr3
	s_and_saveexec_b64 s[12:13], s[0:1]
	s_xor_b64 s[12:13], exec, s[12:13]
	s_cbranch_execz .LBB16_68
; %bb.63:
	s_mov_b64 s[0:1], 0x201
	v_mov_b32_e32 v2, 0
	v_cmp_gt_u64_e64 s[0:1], s[0:1], v[4:5]
	v_mov_b32_e32 v3, 0x7ff80000
	s_and_saveexec_b64 s[14:15], s[0:1]
	s_cbranch_execz .LBB16_67
; %bb.64:
	v_mov_b32_e32 v6, 0
	s_mov_b64 s[18:19], 1
	s_mov_b64 s[16:17], 0
	v_mov_b32_e32 v7, 0x3ff00000
	v_pk_mov_b32 v[2:3], v[24:25], v[24:25] op_sel:[0,1]
.LBB16_65:                              ; =>This Inner Loop Header: Depth=1
	v_cvt_f64_u32_e32 v[8:9], s19
	v_cvt_f64_u32_e32 v[26:27], s18
	s_add_u32 s18, s18, 1
	v_ldexp_f64 v[8:9], v[8:9], 32
	s_addc_u32 s19, s19, 0
	v_add_f64 v[8:9], v[8:9], v[26:27]
	v_cmp_eq_u64_e64 s[0:1], s[18:19], v[4:5]
	v_mul_f64 v[8:9], v[6:7], v[8:9]
	s_or_b64 s[16:17], s[0:1], s[16:17]
	v_pk_mov_b32 v[6:7], v[2:3], v[2:3] op_sel:[0,1]
	v_fma_f64 v[2:3], v[24:25], v[2:3], -v[8:9]
	s_andn2_b64 exec, exec, s[16:17]
	s_cbranch_execnz .LBB16_65
; %bb.66:
	s_or_b64 exec, exec, s[16:17]
.LBB16_67:
	s_or_b64 exec, exec, s[14:15]
                                        ; implicit-def: $vgpr24_vgpr25
.LBB16_68:
	s_andn2_saveexec_b64 s[0:1], s[12:13]
; %bb.69:
	v_pk_mov_b32 v[2:3], v[24:25], v[24:25] op_sel:[0,1]
; %bb.70:
	s_or_b64 exec, exec, s[0:1]
.LBB16_71:
	s_or_b64 exec, exec, s[10:11]
.LBB16_72:
	s_or_b64 exec, exec, s[6:7]
.LBB16_73:
	s_or_b64 exec, exec, s[4:5]
	v_or_b32_e32 v1, 0x100, v0
	v_cmp_gt_i32_e64 s[0:1], s22, v1
	s_and_saveexec_b64 s[4:5], s[0:1]
	s_cbranch_execz .LBB16_87
; %bb.74:
	s_waitcnt vmcnt(0)
	v_trunc_f64_e32 v[4:5], v[22:23]
	s_movk_i32 s0, 0xffe0
	v_ldexp_f64 v[22:23], v[4:5], s0
	v_floor_f64_e32 v[24:25], v[22:23]
	v_fmac_f64_e32 v[4:5], 0xc1f00000, v[24:25]
	v_cvt_i32_f64_e32 v23, v[24:25]
	v_cvt_u32_f64_e32 v22, v[4:5]
	v_cmp_lt_i64_e64 s[0:1], -1, v[22:23]
	v_pk_mov_b32 v[4:5], 0, 0
	s_and_saveexec_b64 s[6:7], s[0:1]
	s_cbranch_execz .LBB16_86
; %bb.75:
	v_mov_b32_e32 v4, 0
	v_cmp_lt_i64_e64 s[0:1], 0, v[22:23]
	v_mov_b32_e32 v5, 0x3ff00000
	s_and_saveexec_b64 s[10:11], s[0:1]
	s_cbranch_execz .LBB16_85
; %bb.76:
	v_cmp_ne_u64_e64 s[0:1], 1, v[22:23]
	s_and_saveexec_b64 s[12:13], s[0:1]
	s_xor_b64 s[12:13], exec, s[12:13]
	s_cbranch_execz .LBB16_82
; %bb.77:
	s_mov_b64 s[0:1], 0x201
	v_mov_b32_e32 v4, 0
	v_cmp_gt_u64_e64 s[0:1], s[0:1], v[22:23]
	v_mov_b32_e32 v5, 0x7ff80000
	s_and_saveexec_b64 s[14:15], s[0:1]
	s_cbranch_execz .LBB16_81
; %bb.78:
	v_mov_b32_e32 v24, 0
	s_mov_b64 s[18:19], 1
	s_mov_b64 s[16:17], 0
	v_mov_b32_e32 v25, 0x3ff00000
	v_pk_mov_b32 v[4:5], v[18:19], v[18:19] op_sel:[0,1]
.LBB16_79:                              ; =>This Inner Loop Header: Depth=1
	v_cvt_f64_u32_e32 v[26:27], s19
	v_cvt_f64_u32_e32 v[28:29], s18
	s_add_u32 s18, s18, 1
	v_ldexp_f64 v[26:27], v[26:27], 32
	s_addc_u32 s19, s19, 0
	v_add_f64 v[26:27], v[26:27], v[28:29]
	v_cmp_eq_u64_e64 s[0:1], s[18:19], v[22:23]
	v_mul_f64 v[26:27], v[24:25], v[26:27]
	s_or_b64 s[16:17], s[0:1], s[16:17]
	v_pk_mov_b32 v[24:25], v[4:5], v[4:5] op_sel:[0,1]
	v_fma_f64 v[4:5], v[18:19], v[4:5], -v[26:27]
	s_andn2_b64 exec, exec, s[16:17]
	s_cbranch_execnz .LBB16_79
; %bb.80:
	s_or_b64 exec, exec, s[16:17]
.LBB16_81:
	s_or_b64 exec, exec, s[14:15]
                                        ; implicit-def: $vgpr18_vgpr19
.LBB16_82:
	s_andn2_saveexec_b64 s[0:1], s[12:13]
; %bb.83:
	v_pk_mov_b32 v[4:5], v[18:19], v[18:19] op_sel:[0,1]
; %bb.84:
	s_or_b64 exec, exec, s[0:1]
.LBB16_85:
	s_or_b64 exec, exec, s[10:11]
.LBB16_86:
	s_or_b64 exec, exec, s[6:7]
.LBB16_87:
	s_or_b64 exec, exec, s[4:5]
	v_or_b32_e32 v11, 0x200, v0
	v_cmp_gt_i32_e64 s[0:1], s22, v11
	s_and_saveexec_b64 s[4:5], s[0:1]
	s_cbranch_execz .LBB16_101
; %bb.88:
	s_waitcnt vmcnt(0)
	v_trunc_f64_e32 v[6:7], v[20:21]
	s_movk_i32 s0, 0xffe0
	v_ldexp_f64 v[18:19], v[6:7], s0
	v_floor_f64_e32 v[20:21], v[18:19]
	v_fmac_f64_e32 v[6:7], 0xc1f00000, v[20:21]
	v_cvt_i32_f64_e32 v19, v[20:21]
	v_cvt_u32_f64_e32 v18, v[6:7]
	v_cmp_lt_i64_e64 s[0:1], -1, v[18:19]
	v_pk_mov_b32 v[6:7], 0, 0
	s_and_saveexec_b64 s[6:7], s[0:1]
	s_cbranch_execz .LBB16_100
; %bb.89:
	v_mov_b32_e32 v6, 0
	v_cmp_lt_i64_e64 s[0:1], 0, v[18:19]
	v_mov_b32_e32 v7, 0x3ff00000
	s_and_saveexec_b64 s[10:11], s[0:1]
	s_cbranch_execz .LBB16_99
; %bb.90:
	v_cmp_ne_u64_e64 s[0:1], 1, v[18:19]
	s_and_saveexec_b64 s[12:13], s[0:1]
	s_xor_b64 s[12:13], exec, s[12:13]
	s_cbranch_execz .LBB16_96
; %bb.91:
	s_mov_b64 s[0:1], 0x201
	v_mov_b32_e32 v6, 0
	v_cmp_gt_u64_e64 s[0:1], s[0:1], v[18:19]
	v_mov_b32_e32 v7, 0x7ff80000
	s_and_saveexec_b64 s[14:15], s[0:1]
	s_cbranch_execz .LBB16_95
; %bb.92:
	v_mov_b32_e32 v20, 0
	s_mov_b64 s[18:19], 1
	s_mov_b64 s[16:17], 0
	v_mov_b32_e32 v21, 0x3ff00000
	v_pk_mov_b32 v[6:7], v[16:17], v[16:17] op_sel:[0,1]
.LBB16_93:                              ; =>This Inner Loop Header: Depth=1
	v_cvt_f64_u32_e32 v[22:23], s19
	v_cvt_f64_u32_e32 v[24:25], s18
	s_add_u32 s18, s18, 1
	v_ldexp_f64 v[22:23], v[22:23], 32
	s_addc_u32 s19, s19, 0
	v_add_f64 v[22:23], v[22:23], v[24:25]
	v_cmp_eq_u64_e64 s[0:1], s[18:19], v[18:19]
	v_mul_f64 v[22:23], v[20:21], v[22:23]
	s_or_b64 s[16:17], s[0:1], s[16:17]
	v_pk_mov_b32 v[20:21], v[6:7], v[6:7] op_sel:[0,1]
	v_fma_f64 v[6:7], v[16:17], v[6:7], -v[22:23]
	s_andn2_b64 exec, exec, s[16:17]
	s_cbranch_execnz .LBB16_93
; %bb.94:
	s_or_b64 exec, exec, s[16:17]
.LBB16_95:
	s_or_b64 exec, exec, s[14:15]
                                        ; implicit-def: $vgpr16_vgpr17
.LBB16_96:
	s_andn2_saveexec_b64 s[0:1], s[12:13]
; %bb.97:
	v_pk_mov_b32 v[6:7], v[16:17], v[16:17] op_sel:[0,1]
; %bb.98:
	s_or_b64 exec, exec, s[0:1]
.LBB16_99:
	s_or_b64 exec, exec, s[10:11]
.LBB16_100:
	s_or_b64 exec, exec, s[6:7]
.LBB16_101:
	s_or_b64 exec, exec, s[4:5]
	v_or_b32_e32 v11, 0x300, v0
	v_cmp_gt_i32_e64 s[0:1], s22, v11
	s_and_saveexec_b64 s[4:5], s[0:1]
	s_cbranch_execnz .LBB16_108
; %bb.102:
	s_or_b64 exec, exec, s[4:5]
	s_and_saveexec_b64 s[0:1], vcc
	s_xor_b64 s[0:1], exec, s[0:1]
	s_cbranch_execnz .LBB16_121
.LBB16_103:
	s_or_b64 exec, exec, s[0:1]
	v_cmp_gt_i32_e32 vcc, s22, v0
	s_and_saveexec_b64 s[0:1], vcc
	s_cbranch_execnz .LBB16_122
.LBB16_104:
	s_or_b64 exec, exec, s[0:1]
	v_cmp_gt_i32_e32 vcc, s22, v0
	s_and_saveexec_b64 s[0:1], vcc
	s_cbranch_execnz .LBB16_123
.LBB16_105:
	s_or_b64 exec, exec, s[0:1]
	v_cmp_gt_i32_e32 vcc, s22, v0
	s_and_saveexec_b64 s[0:1], vcc
	s_cbranch_execz .LBB16_107
.LBB16_106:
	v_add_u32_e32 v0, s2, v0
	v_mov_b32_e32 v1, 0
	v_lshlrev_b64 v[0:1], 3, v[0:1]
	v_mov_b32_e32 v2, s9
	v_add_co_u32_e32 v0, vcc, s8, v0
	v_addc_co_u32_e32 v1, vcc, v2, v1, vcc
	global_store_dwordx2 v[0:1], v[8:9], off
.LBB16_107:
	s_endpgm
.LBB16_108:
	s_waitcnt vmcnt(0)
	v_trunc_f64_e32 v[8:9], v[14:15]
	s_movk_i32 s0, 0xffe0
	v_ldexp_f64 v[14:15], v[8:9], s0
	v_floor_f64_e32 v[16:17], v[14:15]
	v_fmac_f64_e32 v[8:9], 0xc1f00000, v[16:17]
	v_cvt_i32_f64_e32 v15, v[16:17]
	v_cvt_u32_f64_e32 v14, v[8:9]
	v_cmp_lt_i64_e64 s[0:1], -1, v[14:15]
	v_pk_mov_b32 v[8:9], 0, 0
	s_and_saveexec_b64 s[6:7], s[0:1]
	s_cbranch_execz .LBB16_120
; %bb.109:
	v_mov_b32_e32 v8, 0
	v_cmp_lt_i64_e64 s[0:1], 0, v[14:15]
	v_mov_b32_e32 v9, 0x3ff00000
	s_and_saveexec_b64 s[10:11], s[0:1]
	s_cbranch_execz .LBB16_119
; %bb.110:
	v_cmp_ne_u64_e64 s[0:1], 1, v[14:15]
	s_and_saveexec_b64 s[12:13], s[0:1]
	s_xor_b64 s[12:13], exec, s[12:13]
	s_cbranch_execz .LBB16_116
; %bb.111:
	s_mov_b64 s[0:1], 0x201
	v_mov_b32_e32 v8, 0
	v_cmp_gt_u64_e64 s[0:1], s[0:1], v[14:15]
	v_mov_b32_e32 v9, 0x7ff80000
	s_and_saveexec_b64 s[14:15], s[0:1]
	s_cbranch_execz .LBB16_115
; %bb.112:
	v_mov_b32_e32 v16, 0
	s_mov_b64 s[18:19], 1
	s_mov_b64 s[16:17], 0
	v_mov_b32_e32 v17, 0x3ff00000
	v_pk_mov_b32 v[8:9], v[12:13], v[12:13] op_sel:[0,1]
.LBB16_113:                             ; =>This Inner Loop Header: Depth=1
	v_cvt_f64_u32_e32 v[18:19], s19
	v_cvt_f64_u32_e32 v[20:21], s18
	s_add_u32 s18, s18, 1
	v_ldexp_f64 v[18:19], v[18:19], 32
	s_addc_u32 s19, s19, 0
	v_add_f64 v[18:19], v[18:19], v[20:21]
	v_cmp_eq_u64_e64 s[0:1], s[18:19], v[14:15]
	v_mul_f64 v[18:19], v[16:17], v[18:19]
	s_or_b64 s[16:17], s[0:1], s[16:17]
	v_pk_mov_b32 v[16:17], v[8:9], v[8:9] op_sel:[0,1]
	v_fma_f64 v[8:9], v[12:13], v[8:9], -v[18:19]
	s_andn2_b64 exec, exec, s[16:17]
	s_cbranch_execnz .LBB16_113
; %bb.114:
	s_or_b64 exec, exec, s[16:17]
.LBB16_115:
	s_or_b64 exec, exec, s[14:15]
                                        ; implicit-def: $vgpr12_vgpr13
.LBB16_116:
	s_andn2_saveexec_b64 s[0:1], s[12:13]
; %bb.117:
	v_pk_mov_b32 v[8:9], v[12:13], v[12:13] op_sel:[0,1]
; %bb.118:
	s_or_b64 exec, exec, s[0:1]
.LBB16_119:
	s_or_b64 exec, exec, s[10:11]
.LBB16_120:
	s_or_b64 exec, exec, s[6:7]
	s_or_b64 exec, exec, s[4:5]
	s_and_saveexec_b64 s[0:1], vcc
	s_xor_b64 s[0:1], exec, s[0:1]
	s_cbranch_execz .LBB16_103
.LBB16_121:
	v_mov_b32_e32 v11, 0
	v_lshlrev_b64 v[10:11], 3, v[10:11]
	v_mov_b32_e32 v0, s9
	v_add_co_u32_e32 v10, vcc, s8, v10
	v_addc_co_u32_e32 v11, vcc, v0, v11, vcc
	v_mov_b32_e32 v0, v1
	global_store_dwordx2 v[10:11], v[2:3], off
	s_or_b64 exec, exec, s[0:1]
	v_cmp_gt_i32_e32 vcc, s22, v0
	s_and_saveexec_b64 s[0:1], vcc
	s_cbranch_execz .LBB16_104
.LBB16_122:
	v_add_u32_e32 v2, s2, v0
	v_mov_b32_e32 v3, 0
	v_lshlrev_b64 v[2:3], 3, v[2:3]
	v_mov_b32_e32 v1, s9
	v_add_co_u32_e32 v2, vcc, s8, v2
	v_addc_co_u32_e32 v3, vcc, v1, v3, vcc
	v_add_u32_e32 v0, 0x100, v0
	global_store_dwordx2 v[2:3], v[4:5], off
	s_or_b64 exec, exec, s[0:1]
	v_cmp_gt_i32_e32 vcc, s22, v0
	s_and_saveexec_b64 s[0:1], vcc
	s_cbranch_execz .LBB16_105
.LBB16_123:
	v_add_u32_e32 v2, s2, v0
	v_mov_b32_e32 v3, 0
	v_lshlrev_b64 v[2:3], 3, v[2:3]
	v_mov_b32_e32 v1, s9
	v_add_co_u32_e32 v2, vcc, s8, v2
	v_addc_co_u32_e32 v3, vcc, v1, v3, vcc
	v_add_u32_e32 v0, 0x100, v0
	global_store_dwordx2 v[2:3], v[6:7], off
	s_or_b64 exec, exec, s[0:1]
	v_cmp_gt_i32_e32 vcc, s22, v0
	s_and_saveexec_b64 s[0:1], vcc
	s_cbranch_execnz .LBB16_106
	s_branch .LBB16_107
	.section	.rodata,"a",@progbits
	.p2align	6, 0x0
	.amdhsa_kernel _ZN2at6native29vectorized_elementwise_kernelILi16ENS0_13BinaryFunctorIdddZZZNS0_12_GLOBAL__N_133hermite_polynomial_he_kernel_cudaERNS_18TensorIteratorBaseEENKUlvE_clEvENKUlvE_clEvEUlddE_EESt5arrayIPcLm3EEEEviT0_T1_
		.amdhsa_group_segment_fixed_size 0
		.amdhsa_private_segment_fixed_size 0
		.amdhsa_kernarg_size 32
		.amdhsa_user_sgpr_count 6
		.amdhsa_user_sgpr_private_segment_buffer 1
		.amdhsa_user_sgpr_dispatch_ptr 0
		.amdhsa_user_sgpr_queue_ptr 0
		.amdhsa_user_sgpr_kernarg_segment_ptr 1
		.amdhsa_user_sgpr_dispatch_id 0
		.amdhsa_user_sgpr_flat_scratch_init 0
		.amdhsa_user_sgpr_kernarg_preload_length 0
		.amdhsa_user_sgpr_kernarg_preload_offset 0
		.amdhsa_user_sgpr_private_segment_size 0
		.amdhsa_uses_dynamic_stack 0
		.amdhsa_system_sgpr_private_segment_wavefront_offset 0
		.amdhsa_system_sgpr_workgroup_id_x 1
		.amdhsa_system_sgpr_workgroup_id_y 0
		.amdhsa_system_sgpr_workgroup_id_z 0
		.amdhsa_system_sgpr_workgroup_info 0
		.amdhsa_system_vgpr_workitem_id 0
		.amdhsa_next_free_vgpr 30
		.amdhsa_next_free_sgpr 23
		.amdhsa_accum_offset 32
		.amdhsa_reserve_vcc 1
		.amdhsa_reserve_flat_scratch 0
		.amdhsa_float_round_mode_32 0
		.amdhsa_float_round_mode_16_64 0
		.amdhsa_float_denorm_mode_32 3
		.amdhsa_float_denorm_mode_16_64 3
		.amdhsa_dx10_clamp 1
		.amdhsa_ieee_mode 1
		.amdhsa_fp16_overflow 0
		.amdhsa_tg_split 0
		.amdhsa_exception_fp_ieee_invalid_op 0
		.amdhsa_exception_fp_denorm_src 0
		.amdhsa_exception_fp_ieee_div_zero 0
		.amdhsa_exception_fp_ieee_overflow 0
		.amdhsa_exception_fp_ieee_underflow 0
		.amdhsa_exception_fp_ieee_inexact 0
		.amdhsa_exception_int_div_zero 0
	.end_amdhsa_kernel
	.section	.text._ZN2at6native29vectorized_elementwise_kernelILi16ENS0_13BinaryFunctorIdddZZZNS0_12_GLOBAL__N_133hermite_polynomial_he_kernel_cudaERNS_18TensorIteratorBaseEENKUlvE_clEvENKUlvE_clEvEUlddE_EESt5arrayIPcLm3EEEEviT0_T1_,"axG",@progbits,_ZN2at6native29vectorized_elementwise_kernelILi16ENS0_13BinaryFunctorIdddZZZNS0_12_GLOBAL__N_133hermite_polynomial_he_kernel_cudaERNS_18TensorIteratorBaseEENKUlvE_clEvENKUlvE_clEvEUlddE_EESt5arrayIPcLm3EEEEviT0_T1_,comdat
.Lfunc_end16:
	.size	_ZN2at6native29vectorized_elementwise_kernelILi16ENS0_13BinaryFunctorIdddZZZNS0_12_GLOBAL__N_133hermite_polynomial_he_kernel_cudaERNS_18TensorIteratorBaseEENKUlvE_clEvENKUlvE_clEvEUlddE_EESt5arrayIPcLm3EEEEviT0_T1_, .Lfunc_end16-_ZN2at6native29vectorized_elementwise_kernelILi16ENS0_13BinaryFunctorIdddZZZNS0_12_GLOBAL__N_133hermite_polynomial_he_kernel_cudaERNS_18TensorIteratorBaseEENKUlvE_clEvENKUlvE_clEvEUlddE_EESt5arrayIPcLm3EEEEviT0_T1_
                                        ; -- End function
	.section	.AMDGPU.csdata,"",@progbits
; Kernel info:
; codeLenInByte = 3184
; NumSgprs: 27
; NumVgprs: 30
; NumAgprs: 0
; TotalNumVgprs: 30
; ScratchSize: 0
; MemoryBound: 0
; FloatMode: 240
; IeeeMode: 1
; LDSByteSize: 0 bytes/workgroup (compile time only)
; SGPRBlocks: 3
; VGPRBlocks: 3
; NumSGPRsForWavesPerEU: 27
; NumVGPRsForWavesPerEU: 30
; AccumOffset: 32
; Occupancy: 8
; WaveLimiterHint : 0
; COMPUTE_PGM_RSRC2:SCRATCH_EN: 0
; COMPUTE_PGM_RSRC2:USER_SGPR: 6
; COMPUTE_PGM_RSRC2:TRAP_HANDLER: 0
; COMPUTE_PGM_RSRC2:TGID_X_EN: 1
; COMPUTE_PGM_RSRC2:TGID_Y_EN: 0
; COMPUTE_PGM_RSRC2:TGID_Z_EN: 0
; COMPUTE_PGM_RSRC2:TIDIG_COMP_CNT: 0
; COMPUTE_PGM_RSRC3_GFX90A:ACCUM_OFFSET: 7
; COMPUTE_PGM_RSRC3_GFX90A:TG_SPLIT: 0
	.section	.text._ZN2at6native29vectorized_elementwise_kernelILi8ENS0_13BinaryFunctorIdddZZZNS0_12_GLOBAL__N_133hermite_polynomial_he_kernel_cudaERNS_18TensorIteratorBaseEENKUlvE_clEvENKUlvE_clEvEUlddE_EESt5arrayIPcLm3EEEEviT0_T1_,"axG",@progbits,_ZN2at6native29vectorized_elementwise_kernelILi8ENS0_13BinaryFunctorIdddZZZNS0_12_GLOBAL__N_133hermite_polynomial_he_kernel_cudaERNS_18TensorIteratorBaseEENKUlvE_clEvENKUlvE_clEvEUlddE_EESt5arrayIPcLm3EEEEviT0_T1_,comdat
	.globl	_ZN2at6native29vectorized_elementwise_kernelILi8ENS0_13BinaryFunctorIdddZZZNS0_12_GLOBAL__N_133hermite_polynomial_he_kernel_cudaERNS_18TensorIteratorBaseEENKUlvE_clEvENKUlvE_clEvEUlddE_EESt5arrayIPcLm3EEEEviT0_T1_ ; -- Begin function _ZN2at6native29vectorized_elementwise_kernelILi8ENS0_13BinaryFunctorIdddZZZNS0_12_GLOBAL__N_133hermite_polynomial_he_kernel_cudaERNS_18TensorIteratorBaseEENKUlvE_clEvENKUlvE_clEvEUlddE_EESt5arrayIPcLm3EEEEviT0_T1_
	.p2align	8
	.type	_ZN2at6native29vectorized_elementwise_kernelILi8ENS0_13BinaryFunctorIdddZZZNS0_12_GLOBAL__N_133hermite_polynomial_he_kernel_cudaERNS_18TensorIteratorBaseEENKUlvE_clEvENKUlvE_clEvEUlddE_EESt5arrayIPcLm3EEEEviT0_T1_,@function
_ZN2at6native29vectorized_elementwise_kernelILi8ENS0_13BinaryFunctorIdddZZZNS0_12_GLOBAL__N_133hermite_polynomial_he_kernel_cudaERNS_18TensorIteratorBaseEENKUlvE_clEvENKUlvE_clEvEUlddE_EESt5arrayIPcLm3EEEEviT0_T1_: ; @_ZN2at6native29vectorized_elementwise_kernelILi8ENS0_13BinaryFunctorIdddZZZNS0_12_GLOBAL__N_133hermite_polynomial_he_kernel_cudaERNS_18TensorIteratorBaseEENKUlvE_clEvENKUlvE_clEvEUlddE_EESt5arrayIPcLm3EEEEviT0_T1_
; %bb.0:
	s_load_dword s0, s[4:5], 0x0
	s_load_dwordx4 s[8:11], s[4:5], 0x8
	s_load_dwordx2 s[12:13], s[4:5], 0x18
	s_lshl_b32 s2, s6, 10
	s_waitcnt lgkmcnt(0)
	s_sub_i32 s22, s0, s2
	s_cmpk_gt_i32 s22, 0x3ff
	s_mov_b64 s[0:1], -1
	s_cbranch_scc0 .LBB17_50
; %bb.1:
	s_ashr_i32 s3, s2, 31
	s_lshl_b64 s[0:1], s[2:3], 3
	s_add_u32 s4, s10, s0
	s_addc_u32 s5, s11, s1
	s_add_u32 s6, s12, s0
	v_lshlrev_b32_e32 v1, 5, v0
	s_addc_u32 s7, s13, s1
	global_load_dwordx4 v[6:9], v1, s[6:7]
	global_load_dwordx4 v[10:13], v1, s[6:7] offset:16
	global_load_dwordx4 v[2:5], v1, s[4:5] offset:16
	global_load_dwordx4 v[14:17], v1, s[4:5]
	s_movk_i32 s3, 0xffe0
	s_waitcnt vmcnt(3)
	v_trunc_f64_e32 v[6:7], v[6:7]
	v_ldexp_f64 v[18:19], v[6:7], s3
	v_floor_f64_e32 v[18:19], v[18:19]
	v_fmac_f64_e32 v[6:7], 0xc1f00000, v[18:19]
	v_cvt_i32_f64_e32 v19, v[18:19]
	v_cvt_u32_f64_e32 v18, v[6:7]
	v_cmp_lt_i64_e32 vcc, -1, v[18:19]
	v_pk_mov_b32 v[6:7], 0, 0
	s_and_saveexec_b64 s[4:5], vcc
	s_cbranch_execz .LBB17_13
; %bb.2:
	v_mov_b32_e32 v6, 0
	v_cmp_lt_i64_e32 vcc, 0, v[18:19]
	v_mov_b32_e32 v7, 0x3ff00000
	s_and_saveexec_b64 s[6:7], vcc
	s_cbranch_execz .LBB17_12
; %bb.3:
	v_cmp_ne_u64_e32 vcc, 1, v[18:19]
                                        ; implicit-def: $vgpr6_vgpr7
	s_and_saveexec_b64 s[14:15], vcc
	s_xor_b64 s[14:15], exec, s[14:15]
	s_cbranch_execz .LBB17_9
; %bb.4:
	s_mov_b64 s[16:17], 0x201
	v_mov_b32_e32 v6, 0
	v_cmp_gt_u64_e32 vcc, s[16:17], v[18:19]
	v_mov_b32_e32 v7, 0x7ff80000
	s_and_saveexec_b64 s[16:17], vcc
	s_cbranch_execz .LBB17_8
; %bb.5:
	v_mov_b32_e32 v20, 0
	s_mov_b64 s[20:21], 1
	s_mov_b64 s[18:19], 0
	v_mov_b32_e32 v21, 0x3ff00000
	s_waitcnt vmcnt(0)
	v_pk_mov_b32 v[6:7], v[14:15], v[14:15] op_sel:[0,1]
.LBB17_6:                               ; =>This Inner Loop Header: Depth=1
	v_cvt_f64_u32_e32 v[22:23], s21
	v_cvt_f64_u32_e32 v[24:25], s20
	s_add_u32 s20, s20, 1
	v_ldexp_f64 v[22:23], v[22:23], 32
	s_addc_u32 s21, s21, 0
	v_add_f64 v[22:23], v[22:23], v[24:25]
	v_cmp_eq_u64_e32 vcc, s[20:21], v[18:19]
	v_mul_f64 v[22:23], v[20:21], v[22:23]
	s_or_b64 s[18:19], vcc, s[18:19]
	v_pk_mov_b32 v[20:21], v[6:7], v[6:7] op_sel:[0,1]
	v_fma_f64 v[6:7], v[14:15], v[6:7], -v[22:23]
	s_andn2_b64 exec, exec, s[18:19]
	s_cbranch_execnz .LBB17_6
; %bb.7:
	s_or_b64 exec, exec, s[18:19]
.LBB17_8:
	s_or_b64 exec, exec, s[16:17]
.LBB17_9:
	s_andn2_saveexec_b64 s[14:15], s[14:15]
	s_cbranch_execz .LBB17_11
; %bb.10:
	s_waitcnt vmcnt(0)
	v_pk_mov_b32 v[6:7], v[14:15], v[14:15] op_sel:[0,1]
.LBB17_11:
	s_or_b64 exec, exec, s[14:15]
.LBB17_12:
	s_or_b64 exec, exec, s[6:7]
.LBB17_13:
	s_or_b64 exec, exec, s[4:5]
	v_trunc_f64_e32 v[8:9], v[8:9]
	s_movk_i32 s3, 0xffe0
	s_waitcnt vmcnt(0)
	v_ldexp_f64 v[14:15], v[8:9], s3
	v_floor_f64_e32 v[18:19], v[14:15]
	v_fmac_f64_e32 v[8:9], 0xc1f00000, v[18:19]
	v_cvt_u32_f64_e32 v14, v[8:9]
	v_cvt_i32_f64_e32 v15, v[18:19]
	v_cmp_lt_i64_e32 vcc, -1, v[14:15]
	v_pk_mov_b32 v[8:9], 0, 0
	s_and_saveexec_b64 s[4:5], vcc
	s_cbranch_execz .LBB17_25
; %bb.14:
	v_mov_b32_e32 v8, 0
	v_cmp_lt_i64_e32 vcc, 0, v[14:15]
	v_mov_b32_e32 v9, 0x3ff00000
	s_and_saveexec_b64 s[6:7], vcc
	s_cbranch_execz .LBB17_24
; %bb.15:
	v_cmp_ne_u64_e32 vcc, 1, v[14:15]
	s_and_saveexec_b64 s[14:15], vcc
	s_xor_b64 s[14:15], exec, s[14:15]
	s_cbranch_execz .LBB17_21
; %bb.16:
	s_mov_b64 s[16:17], 0x201
	v_mov_b32_e32 v8, 0
	v_cmp_gt_u64_e32 vcc, s[16:17], v[14:15]
	v_mov_b32_e32 v9, 0x7ff80000
	s_and_saveexec_b64 s[16:17], vcc
	s_cbranch_execz .LBB17_20
; %bb.17:
	v_mov_b32_e32 v18, 0
	s_mov_b64 s[20:21], 1
	s_mov_b64 s[18:19], 0
	v_mov_b32_e32 v19, 0x3ff00000
	v_pk_mov_b32 v[8:9], v[16:17], v[16:17] op_sel:[0,1]
.LBB17_18:                              ; =>This Inner Loop Header: Depth=1
	v_cvt_f64_u32_e32 v[20:21], s21
	v_cvt_f64_u32_e32 v[22:23], s20
	s_add_u32 s20, s20, 1
	v_ldexp_f64 v[20:21], v[20:21], 32
	s_addc_u32 s21, s21, 0
	v_add_f64 v[20:21], v[20:21], v[22:23]
	v_cmp_eq_u64_e32 vcc, s[20:21], v[14:15]
	v_mul_f64 v[20:21], v[18:19], v[20:21]
	s_or_b64 s[18:19], vcc, s[18:19]
	v_pk_mov_b32 v[18:19], v[8:9], v[8:9] op_sel:[0,1]
	v_fma_f64 v[8:9], v[16:17], v[8:9], -v[20:21]
	s_andn2_b64 exec, exec, s[18:19]
	s_cbranch_execnz .LBB17_18
; %bb.19:
	s_or_b64 exec, exec, s[18:19]
.LBB17_20:
	s_or_b64 exec, exec, s[16:17]
                                        ; implicit-def: $vgpr16_vgpr17
.LBB17_21:
	s_andn2_saveexec_b64 s[14:15], s[14:15]
; %bb.22:
	v_pk_mov_b32 v[8:9], v[16:17], v[16:17] op_sel:[0,1]
; %bb.23:
	s_or_b64 exec, exec, s[14:15]
.LBB17_24:
	s_or_b64 exec, exec, s[6:7]
.LBB17_25:
	s_or_b64 exec, exec, s[4:5]
	v_trunc_f64_e32 v[10:11], v[10:11]
	s_movk_i32 s3, 0xffe0
	v_ldexp_f64 v[14:15], v[10:11], s3
	v_floor_f64_e32 v[16:17], v[14:15]
	v_fmac_f64_e32 v[10:11], 0xc1f00000, v[16:17]
	v_cvt_u32_f64_e32 v14, v[10:11]
	v_cvt_i32_f64_e32 v15, v[16:17]
	v_cmp_lt_i64_e32 vcc, -1, v[14:15]
	v_pk_mov_b32 v[10:11], 0, 0
	s_and_saveexec_b64 s[4:5], vcc
	s_cbranch_execz .LBB17_37
; %bb.26:
	v_mov_b32_e32 v10, 0
	v_cmp_lt_i64_e32 vcc, 0, v[14:15]
	v_mov_b32_e32 v11, 0x3ff00000
	s_and_saveexec_b64 s[6:7], vcc
	s_cbranch_execz .LBB17_36
; %bb.27:
	v_cmp_ne_u64_e32 vcc, 1, v[14:15]
                                        ; implicit-def: $vgpr10_vgpr11
	s_and_saveexec_b64 s[14:15], vcc
	s_xor_b64 s[14:15], exec, s[14:15]
	s_cbranch_execz .LBB17_33
; %bb.28:
	s_mov_b64 s[16:17], 0x201
	v_mov_b32_e32 v10, 0
	v_cmp_gt_u64_e32 vcc, s[16:17], v[14:15]
	v_mov_b32_e32 v11, 0x7ff80000
	s_and_saveexec_b64 s[16:17], vcc
	s_cbranch_execz .LBB17_32
; %bb.29:
	v_mov_b32_e32 v16, 0
	s_mov_b64 s[20:21], 1
	s_mov_b64 s[18:19], 0
	v_mov_b32_e32 v17, 0x3ff00000
	v_pk_mov_b32 v[10:11], v[2:3], v[2:3] op_sel:[0,1]
.LBB17_30:                              ; =>This Inner Loop Header: Depth=1
	v_cvt_f64_u32_e32 v[18:19], s21
	v_cvt_f64_u32_e32 v[20:21], s20
	s_add_u32 s20, s20, 1
	v_ldexp_f64 v[18:19], v[18:19], 32
	s_addc_u32 s21, s21, 0
	v_add_f64 v[18:19], v[18:19], v[20:21]
	v_cmp_eq_u64_e32 vcc, s[20:21], v[14:15]
	v_mul_f64 v[18:19], v[16:17], v[18:19]
	s_or_b64 s[18:19], vcc, s[18:19]
	v_pk_mov_b32 v[16:17], v[10:11], v[10:11] op_sel:[0,1]
	v_fma_f64 v[10:11], v[2:3], v[10:11], -v[18:19]
	s_andn2_b64 exec, exec, s[18:19]
	s_cbranch_execnz .LBB17_30
; %bb.31:
	s_or_b64 exec, exec, s[18:19]
.LBB17_32:
	s_or_b64 exec, exec, s[16:17]
.LBB17_33:
	s_andn2_saveexec_b64 s[14:15], s[14:15]
; %bb.34:
	v_pk_mov_b32 v[10:11], v[2:3], v[2:3] op_sel:[0,1]
; %bb.35:
	s_or_b64 exec, exec, s[14:15]
.LBB17_36:
	s_or_b64 exec, exec, s[6:7]
.LBB17_37:
	s_or_b64 exec, exec, s[4:5]
	v_trunc_f64_e32 v[2:3], v[12:13]
	s_movk_i32 s3, 0xffe0
	v_ldexp_f64 v[12:13], v[2:3], s3
	v_floor_f64_e32 v[12:13], v[12:13]
	v_fmac_f64_e32 v[2:3], 0xc1f00000, v[12:13]
	v_cvt_u32_f64_e32 v2, v[2:3]
	v_cvt_i32_f64_e32 v3, v[12:13]
	v_cmp_lt_i64_e32 vcc, -1, v[2:3]
	v_pk_mov_b32 v[12:13], 0, 0
	s_and_saveexec_b64 s[4:5], vcc
	s_cbranch_execz .LBB17_49
; %bb.38:
	v_mov_b32_e32 v12, 0
	v_cmp_lt_i64_e32 vcc, 0, v[2:3]
	v_mov_b32_e32 v13, 0x3ff00000
	s_and_saveexec_b64 s[6:7], vcc
	s_cbranch_execz .LBB17_48
; %bb.39:
	v_cmp_ne_u64_e32 vcc, 1, v[2:3]
	s_and_saveexec_b64 s[14:15], vcc
	s_xor_b64 s[14:15], exec, s[14:15]
	s_cbranch_execz .LBB17_45
; %bb.40:
	s_mov_b64 s[16:17], 0x201
	v_mov_b32_e32 v12, 0
	v_cmp_gt_u64_e32 vcc, s[16:17], v[2:3]
	v_mov_b32_e32 v13, 0x7ff80000
	s_and_saveexec_b64 s[16:17], vcc
	s_cbranch_execz .LBB17_44
; %bb.41:
	v_mov_b32_e32 v14, 0
	s_mov_b64 s[20:21], 1
	s_mov_b64 s[18:19], 0
	v_mov_b32_e32 v15, 0x3ff00000
	v_pk_mov_b32 v[12:13], v[4:5], v[4:5] op_sel:[0,1]
.LBB17_42:                              ; =>This Inner Loop Header: Depth=1
	v_cvt_f64_u32_e32 v[16:17], s21
	v_cvt_f64_u32_e32 v[18:19], s20
	s_add_u32 s20, s20, 1
	v_ldexp_f64 v[16:17], v[16:17], 32
	s_addc_u32 s21, s21, 0
	v_add_f64 v[16:17], v[16:17], v[18:19]
	v_cmp_eq_u64_e32 vcc, s[20:21], v[2:3]
	v_mul_f64 v[16:17], v[14:15], v[16:17]
	s_or_b64 s[18:19], vcc, s[18:19]
	v_pk_mov_b32 v[14:15], v[12:13], v[12:13] op_sel:[0,1]
	v_fma_f64 v[12:13], v[4:5], v[12:13], -v[16:17]
	s_andn2_b64 exec, exec, s[18:19]
	s_cbranch_execnz .LBB17_42
; %bb.43:
	s_or_b64 exec, exec, s[18:19]
.LBB17_44:
	s_or_b64 exec, exec, s[16:17]
                                        ; implicit-def: $vgpr4_vgpr5
.LBB17_45:
	s_andn2_saveexec_b64 s[14:15], s[14:15]
; %bb.46:
	v_pk_mov_b32 v[12:13], v[4:5], v[4:5] op_sel:[0,1]
; %bb.47:
	s_or_b64 exec, exec, s[14:15]
.LBB17_48:
	s_or_b64 exec, exec, s[6:7]
.LBB17_49:
	s_or_b64 exec, exec, s[4:5]
	s_add_u32 s0, s8, s0
	s_addc_u32 s1, s9, s1
	global_store_dwordx4 v1, v[6:9], s[0:1]
	global_store_dwordx4 v1, v[10:13], s[0:1] offset:16
	s_mov_b64 s[0:1], 0
.LBB17_50:
	s_and_b64 vcc, exec, s[0:1]
	s_cbranch_vccz .LBB17_107
; %bb.51:
	v_pk_mov_b32 v[18:19], 0, 0
	v_cmp_gt_i32_e32 vcc, s22, v0
	v_or_b32_e32 v10, s2, v0
	v_pk_mov_b32 v[24:25], v[18:19], v[18:19] op_sel:[0,1]
	v_pk_mov_b32 v[26:27], v[18:19], v[18:19] op_sel:[0,1]
	v_mov_b32_e32 v1, v0
	s_and_saveexec_b64 s[4:5], vcc
	s_cbranch_execz .LBB17_53
; %bb.52:
	v_mov_b32_e32 v11, 0
	v_lshlrev_b64 v[2:3], 3, v[10:11]
	v_mov_b32_e32 v1, s13
	v_add_co_u32_e64 v4, s[0:1], s12, v2
	v_addc_co_u32_e64 v5, s[0:1], v1, v3, s[0:1]
	v_mov_b32_e32 v1, s11
	v_add_co_u32_e64 v2, s[0:1], s10, v2
	v_addc_co_u32_e64 v3, s[0:1], v1, v3, s[0:1]
	global_load_dwordx2 v[24:25], v[2:3], off
	global_load_dwordx2 v[26:27], v[4:5], off
	v_or_b32_e32 v1, 0x100, v0
.LBB17_53:
	s_or_b64 exec, exec, s[4:5]
	v_cmp_gt_i32_e64 s[0:1], s22, v1
	v_pk_mov_b32 v[22:23], v[18:19], v[18:19] op_sel:[0,1]
	s_and_saveexec_b64 s[4:5], s[0:1]
	s_cbranch_execz .LBB17_55
; %bb.54:
	v_add_u32_e32 v2, s2, v1
	v_mov_b32_e32 v3, 0
	v_lshlrev_b64 v[2:3], 3, v[2:3]
	v_mov_b32_e32 v5, s13
	v_add_co_u32_e64 v4, s[0:1], s12, v2
	v_addc_co_u32_e64 v5, s[0:1], v5, v3, s[0:1]
	v_mov_b32_e32 v6, s11
	v_add_co_u32_e64 v2, s[0:1], s10, v2
	v_addc_co_u32_e64 v3, s[0:1], v6, v3, s[0:1]
	global_load_dwordx2 v[18:19], v[2:3], off
	global_load_dwordx2 v[22:23], v[4:5], off
	v_add_u32_e32 v1, 0x100, v1
.LBB17_55:
	s_or_b64 exec, exec, s[4:5]
	v_pk_mov_b32 v[12:13], 0, 0
	v_cmp_gt_i32_e64 s[0:1], s22, v1
	v_pk_mov_b32 v[16:17], v[12:13], v[12:13] op_sel:[0,1]
	v_pk_mov_b32 v[20:21], v[12:13], v[12:13] op_sel:[0,1]
	s_and_saveexec_b64 s[4:5], s[0:1]
	s_cbranch_execz .LBB17_57
; %bb.56:
	v_add_u32_e32 v2, s2, v1
	v_mov_b32_e32 v3, 0
	v_lshlrev_b64 v[2:3], 3, v[2:3]
	v_mov_b32_e32 v5, s13
	v_add_co_u32_e64 v4, s[0:1], s12, v2
	v_addc_co_u32_e64 v5, s[0:1], v5, v3, s[0:1]
	v_mov_b32_e32 v6, s11
	v_add_co_u32_e64 v2, s[0:1], s10, v2
	v_addc_co_u32_e64 v3, s[0:1], v6, v3, s[0:1]
	global_load_dwordx2 v[16:17], v[2:3], off
	global_load_dwordx2 v[20:21], v[4:5], off
	v_add_u32_e32 v1, 0x100, v1
.LBB17_57:
	s_or_b64 exec, exec, s[4:5]
	v_cmp_gt_i32_e64 s[0:1], s22, v1
	v_pk_mov_b32 v[14:15], v[12:13], v[12:13] op_sel:[0,1]
	s_and_saveexec_b64 s[4:5], s[0:1]
	s_cbranch_execz .LBB17_59
; %bb.58:
	v_add_u32_e32 v2, s2, v1
	v_mov_b32_e32 v3, 0
	v_lshlrev_b64 v[2:3], 3, v[2:3]
	v_mov_b32_e32 v1, s13
	v_add_co_u32_e64 v4, s[0:1], s12, v2
	v_addc_co_u32_e64 v5, s[0:1], v1, v3, s[0:1]
	v_mov_b32_e32 v1, s11
	v_add_co_u32_e64 v2, s[0:1], s10, v2
	v_addc_co_u32_e64 v3, s[0:1], v1, v3, s[0:1]
	global_load_dwordx2 v[12:13], v[2:3], off
	global_load_dwordx2 v[14:15], v[4:5], off
.LBB17_59:
	s_or_b64 exec, exec, s[4:5]
                                        ; implicit-def: $vgpr2_vgpr3_vgpr4_vgpr5_vgpr6_vgpr7_vgpr8_vgpr9
	s_and_saveexec_b64 s[4:5], vcc
	s_cbranch_execz .LBB17_73
; %bb.60:
	s_waitcnt vmcnt(0)
	v_trunc_f64_e32 v[2:3], v[26:27]
	s_movk_i32 s0, 0xffe0
	v_ldexp_f64 v[4:5], v[2:3], s0
	v_floor_f64_e32 v[6:7], v[4:5]
	v_fmac_f64_e32 v[2:3], 0xc1f00000, v[6:7]
	v_cvt_i32_f64_e32 v5, v[6:7]
	v_cvt_u32_f64_e32 v4, v[2:3]
	v_cmp_lt_i64_e64 s[0:1], -1, v[4:5]
	v_pk_mov_b32 v[2:3], 0, 0
	s_and_saveexec_b64 s[6:7], s[0:1]
	s_cbranch_execz .LBB17_72
; %bb.61:
	v_mov_b32_e32 v2, 0
	v_cmp_lt_i64_e64 s[0:1], 0, v[4:5]
	v_mov_b32_e32 v3, 0x3ff00000
	s_and_saveexec_b64 s[10:11], s[0:1]
	s_cbranch_execz .LBB17_71
; %bb.62:
	v_cmp_ne_u64_e64 s[0:1], 1, v[4:5]
                                        ; implicit-def: $vgpr2_vgpr3
	s_and_saveexec_b64 s[12:13], s[0:1]
	s_xor_b64 s[12:13], exec, s[12:13]
	s_cbranch_execz .LBB17_68
; %bb.63:
	s_mov_b64 s[0:1], 0x201
	v_mov_b32_e32 v2, 0
	v_cmp_gt_u64_e64 s[0:1], s[0:1], v[4:5]
	v_mov_b32_e32 v3, 0x7ff80000
	s_and_saveexec_b64 s[14:15], s[0:1]
	s_cbranch_execz .LBB17_67
; %bb.64:
	v_mov_b32_e32 v6, 0
	s_mov_b64 s[18:19], 1
	s_mov_b64 s[16:17], 0
	v_mov_b32_e32 v7, 0x3ff00000
	v_pk_mov_b32 v[2:3], v[24:25], v[24:25] op_sel:[0,1]
.LBB17_65:                              ; =>This Inner Loop Header: Depth=1
	v_cvt_f64_u32_e32 v[8:9], s19
	v_cvt_f64_u32_e32 v[26:27], s18
	s_add_u32 s18, s18, 1
	v_ldexp_f64 v[8:9], v[8:9], 32
	s_addc_u32 s19, s19, 0
	v_add_f64 v[8:9], v[8:9], v[26:27]
	v_cmp_eq_u64_e64 s[0:1], s[18:19], v[4:5]
	v_mul_f64 v[8:9], v[6:7], v[8:9]
	s_or_b64 s[16:17], s[0:1], s[16:17]
	v_pk_mov_b32 v[6:7], v[2:3], v[2:3] op_sel:[0,1]
	v_fma_f64 v[2:3], v[24:25], v[2:3], -v[8:9]
	s_andn2_b64 exec, exec, s[16:17]
	s_cbranch_execnz .LBB17_65
; %bb.66:
	s_or_b64 exec, exec, s[16:17]
.LBB17_67:
	s_or_b64 exec, exec, s[14:15]
                                        ; implicit-def: $vgpr24_vgpr25
.LBB17_68:
	s_andn2_saveexec_b64 s[0:1], s[12:13]
; %bb.69:
	v_pk_mov_b32 v[2:3], v[24:25], v[24:25] op_sel:[0,1]
; %bb.70:
	s_or_b64 exec, exec, s[0:1]
.LBB17_71:
	s_or_b64 exec, exec, s[10:11]
.LBB17_72:
	s_or_b64 exec, exec, s[6:7]
.LBB17_73:
	s_or_b64 exec, exec, s[4:5]
	v_or_b32_e32 v1, 0x100, v0
	v_cmp_gt_i32_e64 s[0:1], s22, v1
	s_and_saveexec_b64 s[4:5], s[0:1]
	s_cbranch_execz .LBB17_87
; %bb.74:
	s_waitcnt vmcnt(0)
	v_trunc_f64_e32 v[4:5], v[22:23]
	s_movk_i32 s0, 0xffe0
	v_ldexp_f64 v[22:23], v[4:5], s0
	v_floor_f64_e32 v[24:25], v[22:23]
	v_fmac_f64_e32 v[4:5], 0xc1f00000, v[24:25]
	v_cvt_i32_f64_e32 v23, v[24:25]
	v_cvt_u32_f64_e32 v22, v[4:5]
	v_cmp_lt_i64_e64 s[0:1], -1, v[22:23]
	v_pk_mov_b32 v[4:5], 0, 0
	s_and_saveexec_b64 s[6:7], s[0:1]
	s_cbranch_execz .LBB17_86
; %bb.75:
	v_mov_b32_e32 v4, 0
	v_cmp_lt_i64_e64 s[0:1], 0, v[22:23]
	v_mov_b32_e32 v5, 0x3ff00000
	s_and_saveexec_b64 s[10:11], s[0:1]
	s_cbranch_execz .LBB17_85
; %bb.76:
	v_cmp_ne_u64_e64 s[0:1], 1, v[22:23]
	s_and_saveexec_b64 s[12:13], s[0:1]
	s_xor_b64 s[12:13], exec, s[12:13]
	s_cbranch_execz .LBB17_82
; %bb.77:
	s_mov_b64 s[0:1], 0x201
	v_mov_b32_e32 v4, 0
	v_cmp_gt_u64_e64 s[0:1], s[0:1], v[22:23]
	v_mov_b32_e32 v5, 0x7ff80000
	s_and_saveexec_b64 s[14:15], s[0:1]
	s_cbranch_execz .LBB17_81
; %bb.78:
	v_mov_b32_e32 v24, 0
	s_mov_b64 s[18:19], 1
	s_mov_b64 s[16:17], 0
	v_mov_b32_e32 v25, 0x3ff00000
	v_pk_mov_b32 v[4:5], v[18:19], v[18:19] op_sel:[0,1]
.LBB17_79:                              ; =>This Inner Loop Header: Depth=1
	v_cvt_f64_u32_e32 v[26:27], s19
	v_cvt_f64_u32_e32 v[28:29], s18
	s_add_u32 s18, s18, 1
	v_ldexp_f64 v[26:27], v[26:27], 32
	s_addc_u32 s19, s19, 0
	v_add_f64 v[26:27], v[26:27], v[28:29]
	v_cmp_eq_u64_e64 s[0:1], s[18:19], v[22:23]
	v_mul_f64 v[26:27], v[24:25], v[26:27]
	s_or_b64 s[16:17], s[0:1], s[16:17]
	v_pk_mov_b32 v[24:25], v[4:5], v[4:5] op_sel:[0,1]
	v_fma_f64 v[4:5], v[18:19], v[4:5], -v[26:27]
	s_andn2_b64 exec, exec, s[16:17]
	s_cbranch_execnz .LBB17_79
; %bb.80:
	s_or_b64 exec, exec, s[16:17]
.LBB17_81:
	s_or_b64 exec, exec, s[14:15]
                                        ; implicit-def: $vgpr18_vgpr19
.LBB17_82:
	s_andn2_saveexec_b64 s[0:1], s[12:13]
; %bb.83:
	v_pk_mov_b32 v[4:5], v[18:19], v[18:19] op_sel:[0,1]
; %bb.84:
	s_or_b64 exec, exec, s[0:1]
.LBB17_85:
	s_or_b64 exec, exec, s[10:11]
.LBB17_86:
	s_or_b64 exec, exec, s[6:7]
.LBB17_87:
	s_or_b64 exec, exec, s[4:5]
	v_or_b32_e32 v11, 0x200, v0
	v_cmp_gt_i32_e64 s[0:1], s22, v11
	s_and_saveexec_b64 s[4:5], s[0:1]
	s_cbranch_execz .LBB17_101
; %bb.88:
	s_waitcnt vmcnt(0)
	v_trunc_f64_e32 v[6:7], v[20:21]
	s_movk_i32 s0, 0xffe0
	v_ldexp_f64 v[18:19], v[6:7], s0
	v_floor_f64_e32 v[20:21], v[18:19]
	v_fmac_f64_e32 v[6:7], 0xc1f00000, v[20:21]
	v_cvt_i32_f64_e32 v19, v[20:21]
	v_cvt_u32_f64_e32 v18, v[6:7]
	v_cmp_lt_i64_e64 s[0:1], -1, v[18:19]
	v_pk_mov_b32 v[6:7], 0, 0
	s_and_saveexec_b64 s[6:7], s[0:1]
	s_cbranch_execz .LBB17_100
; %bb.89:
	v_mov_b32_e32 v6, 0
	v_cmp_lt_i64_e64 s[0:1], 0, v[18:19]
	v_mov_b32_e32 v7, 0x3ff00000
	s_and_saveexec_b64 s[10:11], s[0:1]
	s_cbranch_execz .LBB17_99
; %bb.90:
	v_cmp_ne_u64_e64 s[0:1], 1, v[18:19]
	s_and_saveexec_b64 s[12:13], s[0:1]
	s_xor_b64 s[12:13], exec, s[12:13]
	s_cbranch_execz .LBB17_96
; %bb.91:
	s_mov_b64 s[0:1], 0x201
	v_mov_b32_e32 v6, 0
	v_cmp_gt_u64_e64 s[0:1], s[0:1], v[18:19]
	v_mov_b32_e32 v7, 0x7ff80000
	s_and_saveexec_b64 s[14:15], s[0:1]
	s_cbranch_execz .LBB17_95
; %bb.92:
	v_mov_b32_e32 v20, 0
	s_mov_b64 s[18:19], 1
	s_mov_b64 s[16:17], 0
	v_mov_b32_e32 v21, 0x3ff00000
	v_pk_mov_b32 v[6:7], v[16:17], v[16:17] op_sel:[0,1]
.LBB17_93:                              ; =>This Inner Loop Header: Depth=1
	v_cvt_f64_u32_e32 v[22:23], s19
	v_cvt_f64_u32_e32 v[24:25], s18
	s_add_u32 s18, s18, 1
	v_ldexp_f64 v[22:23], v[22:23], 32
	s_addc_u32 s19, s19, 0
	v_add_f64 v[22:23], v[22:23], v[24:25]
	v_cmp_eq_u64_e64 s[0:1], s[18:19], v[18:19]
	v_mul_f64 v[22:23], v[20:21], v[22:23]
	s_or_b64 s[16:17], s[0:1], s[16:17]
	v_pk_mov_b32 v[20:21], v[6:7], v[6:7] op_sel:[0,1]
	v_fma_f64 v[6:7], v[16:17], v[6:7], -v[22:23]
	s_andn2_b64 exec, exec, s[16:17]
	s_cbranch_execnz .LBB17_93
; %bb.94:
	s_or_b64 exec, exec, s[16:17]
.LBB17_95:
	s_or_b64 exec, exec, s[14:15]
                                        ; implicit-def: $vgpr16_vgpr17
.LBB17_96:
	s_andn2_saveexec_b64 s[0:1], s[12:13]
; %bb.97:
	v_pk_mov_b32 v[6:7], v[16:17], v[16:17] op_sel:[0,1]
; %bb.98:
	s_or_b64 exec, exec, s[0:1]
.LBB17_99:
	s_or_b64 exec, exec, s[10:11]
.LBB17_100:
	s_or_b64 exec, exec, s[6:7]
.LBB17_101:
	s_or_b64 exec, exec, s[4:5]
	v_or_b32_e32 v11, 0x300, v0
	v_cmp_gt_i32_e64 s[0:1], s22, v11
	s_and_saveexec_b64 s[4:5], s[0:1]
	s_cbranch_execnz .LBB17_108
; %bb.102:
	s_or_b64 exec, exec, s[4:5]
	s_and_saveexec_b64 s[0:1], vcc
	s_xor_b64 s[0:1], exec, s[0:1]
	s_cbranch_execnz .LBB17_121
.LBB17_103:
	s_or_b64 exec, exec, s[0:1]
	v_cmp_gt_i32_e32 vcc, s22, v0
	s_and_saveexec_b64 s[0:1], vcc
	s_cbranch_execnz .LBB17_122
.LBB17_104:
	s_or_b64 exec, exec, s[0:1]
	v_cmp_gt_i32_e32 vcc, s22, v0
	s_and_saveexec_b64 s[0:1], vcc
	s_cbranch_execnz .LBB17_123
.LBB17_105:
	s_or_b64 exec, exec, s[0:1]
	v_cmp_gt_i32_e32 vcc, s22, v0
	s_and_saveexec_b64 s[0:1], vcc
	s_cbranch_execz .LBB17_107
.LBB17_106:
	v_add_u32_e32 v0, s2, v0
	v_mov_b32_e32 v1, 0
	v_lshlrev_b64 v[0:1], 3, v[0:1]
	v_mov_b32_e32 v2, s9
	v_add_co_u32_e32 v0, vcc, s8, v0
	v_addc_co_u32_e32 v1, vcc, v2, v1, vcc
	global_store_dwordx2 v[0:1], v[8:9], off
.LBB17_107:
	s_endpgm
.LBB17_108:
	s_waitcnt vmcnt(0)
	v_trunc_f64_e32 v[8:9], v[14:15]
	s_movk_i32 s0, 0xffe0
	v_ldexp_f64 v[14:15], v[8:9], s0
	v_floor_f64_e32 v[16:17], v[14:15]
	v_fmac_f64_e32 v[8:9], 0xc1f00000, v[16:17]
	v_cvt_i32_f64_e32 v15, v[16:17]
	v_cvt_u32_f64_e32 v14, v[8:9]
	v_cmp_lt_i64_e64 s[0:1], -1, v[14:15]
	v_pk_mov_b32 v[8:9], 0, 0
	s_and_saveexec_b64 s[6:7], s[0:1]
	s_cbranch_execz .LBB17_120
; %bb.109:
	v_mov_b32_e32 v8, 0
	v_cmp_lt_i64_e64 s[0:1], 0, v[14:15]
	v_mov_b32_e32 v9, 0x3ff00000
	s_and_saveexec_b64 s[10:11], s[0:1]
	s_cbranch_execz .LBB17_119
; %bb.110:
	v_cmp_ne_u64_e64 s[0:1], 1, v[14:15]
	s_and_saveexec_b64 s[12:13], s[0:1]
	s_xor_b64 s[12:13], exec, s[12:13]
	s_cbranch_execz .LBB17_116
; %bb.111:
	s_mov_b64 s[0:1], 0x201
	v_mov_b32_e32 v8, 0
	v_cmp_gt_u64_e64 s[0:1], s[0:1], v[14:15]
	v_mov_b32_e32 v9, 0x7ff80000
	s_and_saveexec_b64 s[14:15], s[0:1]
	s_cbranch_execz .LBB17_115
; %bb.112:
	v_mov_b32_e32 v16, 0
	s_mov_b64 s[18:19], 1
	s_mov_b64 s[16:17], 0
	v_mov_b32_e32 v17, 0x3ff00000
	v_pk_mov_b32 v[8:9], v[12:13], v[12:13] op_sel:[0,1]
.LBB17_113:                             ; =>This Inner Loop Header: Depth=1
	v_cvt_f64_u32_e32 v[18:19], s19
	v_cvt_f64_u32_e32 v[20:21], s18
	s_add_u32 s18, s18, 1
	v_ldexp_f64 v[18:19], v[18:19], 32
	s_addc_u32 s19, s19, 0
	v_add_f64 v[18:19], v[18:19], v[20:21]
	v_cmp_eq_u64_e64 s[0:1], s[18:19], v[14:15]
	v_mul_f64 v[18:19], v[16:17], v[18:19]
	s_or_b64 s[16:17], s[0:1], s[16:17]
	v_pk_mov_b32 v[16:17], v[8:9], v[8:9] op_sel:[0,1]
	v_fma_f64 v[8:9], v[12:13], v[8:9], -v[18:19]
	s_andn2_b64 exec, exec, s[16:17]
	s_cbranch_execnz .LBB17_113
; %bb.114:
	s_or_b64 exec, exec, s[16:17]
.LBB17_115:
	s_or_b64 exec, exec, s[14:15]
                                        ; implicit-def: $vgpr12_vgpr13
.LBB17_116:
	s_andn2_saveexec_b64 s[0:1], s[12:13]
; %bb.117:
	v_pk_mov_b32 v[8:9], v[12:13], v[12:13] op_sel:[0,1]
; %bb.118:
	s_or_b64 exec, exec, s[0:1]
.LBB17_119:
	s_or_b64 exec, exec, s[10:11]
.LBB17_120:
	s_or_b64 exec, exec, s[6:7]
	s_or_b64 exec, exec, s[4:5]
	s_and_saveexec_b64 s[0:1], vcc
	s_xor_b64 s[0:1], exec, s[0:1]
	s_cbranch_execz .LBB17_103
.LBB17_121:
	v_mov_b32_e32 v11, 0
	v_lshlrev_b64 v[10:11], 3, v[10:11]
	v_mov_b32_e32 v0, s9
	v_add_co_u32_e32 v10, vcc, s8, v10
	v_addc_co_u32_e32 v11, vcc, v0, v11, vcc
	v_mov_b32_e32 v0, v1
	global_store_dwordx2 v[10:11], v[2:3], off
	s_or_b64 exec, exec, s[0:1]
	v_cmp_gt_i32_e32 vcc, s22, v0
	s_and_saveexec_b64 s[0:1], vcc
	s_cbranch_execz .LBB17_104
.LBB17_122:
	v_add_u32_e32 v2, s2, v0
	v_mov_b32_e32 v3, 0
	v_lshlrev_b64 v[2:3], 3, v[2:3]
	v_mov_b32_e32 v1, s9
	v_add_co_u32_e32 v2, vcc, s8, v2
	v_addc_co_u32_e32 v3, vcc, v1, v3, vcc
	v_add_u32_e32 v0, 0x100, v0
	global_store_dwordx2 v[2:3], v[4:5], off
	s_or_b64 exec, exec, s[0:1]
	v_cmp_gt_i32_e32 vcc, s22, v0
	s_and_saveexec_b64 s[0:1], vcc
	s_cbranch_execz .LBB17_105
.LBB17_123:
	v_add_u32_e32 v2, s2, v0
	v_mov_b32_e32 v3, 0
	v_lshlrev_b64 v[2:3], 3, v[2:3]
	v_mov_b32_e32 v1, s9
	v_add_co_u32_e32 v2, vcc, s8, v2
	v_addc_co_u32_e32 v3, vcc, v1, v3, vcc
	v_add_u32_e32 v0, 0x100, v0
	global_store_dwordx2 v[2:3], v[6:7], off
	s_or_b64 exec, exec, s[0:1]
	v_cmp_gt_i32_e32 vcc, s22, v0
	s_and_saveexec_b64 s[0:1], vcc
	s_cbranch_execnz .LBB17_106
	s_branch .LBB17_107
	.section	.rodata,"a",@progbits
	.p2align	6, 0x0
	.amdhsa_kernel _ZN2at6native29vectorized_elementwise_kernelILi8ENS0_13BinaryFunctorIdddZZZNS0_12_GLOBAL__N_133hermite_polynomial_he_kernel_cudaERNS_18TensorIteratorBaseEENKUlvE_clEvENKUlvE_clEvEUlddE_EESt5arrayIPcLm3EEEEviT0_T1_
		.amdhsa_group_segment_fixed_size 0
		.amdhsa_private_segment_fixed_size 0
		.amdhsa_kernarg_size 32
		.amdhsa_user_sgpr_count 6
		.amdhsa_user_sgpr_private_segment_buffer 1
		.amdhsa_user_sgpr_dispatch_ptr 0
		.amdhsa_user_sgpr_queue_ptr 0
		.amdhsa_user_sgpr_kernarg_segment_ptr 1
		.amdhsa_user_sgpr_dispatch_id 0
		.amdhsa_user_sgpr_flat_scratch_init 0
		.amdhsa_user_sgpr_kernarg_preload_length 0
		.amdhsa_user_sgpr_kernarg_preload_offset 0
		.amdhsa_user_sgpr_private_segment_size 0
		.amdhsa_uses_dynamic_stack 0
		.amdhsa_system_sgpr_private_segment_wavefront_offset 0
		.amdhsa_system_sgpr_workgroup_id_x 1
		.amdhsa_system_sgpr_workgroup_id_y 0
		.amdhsa_system_sgpr_workgroup_id_z 0
		.amdhsa_system_sgpr_workgroup_info 0
		.amdhsa_system_vgpr_workitem_id 0
		.amdhsa_next_free_vgpr 30
		.amdhsa_next_free_sgpr 23
		.amdhsa_accum_offset 32
		.amdhsa_reserve_vcc 1
		.amdhsa_reserve_flat_scratch 0
		.amdhsa_float_round_mode_32 0
		.amdhsa_float_round_mode_16_64 0
		.amdhsa_float_denorm_mode_32 3
		.amdhsa_float_denorm_mode_16_64 3
		.amdhsa_dx10_clamp 1
		.amdhsa_ieee_mode 1
		.amdhsa_fp16_overflow 0
		.amdhsa_tg_split 0
		.amdhsa_exception_fp_ieee_invalid_op 0
		.amdhsa_exception_fp_denorm_src 0
		.amdhsa_exception_fp_ieee_div_zero 0
		.amdhsa_exception_fp_ieee_overflow 0
		.amdhsa_exception_fp_ieee_underflow 0
		.amdhsa_exception_fp_ieee_inexact 0
		.amdhsa_exception_int_div_zero 0
	.end_amdhsa_kernel
	.section	.text._ZN2at6native29vectorized_elementwise_kernelILi8ENS0_13BinaryFunctorIdddZZZNS0_12_GLOBAL__N_133hermite_polynomial_he_kernel_cudaERNS_18TensorIteratorBaseEENKUlvE_clEvENKUlvE_clEvEUlddE_EESt5arrayIPcLm3EEEEviT0_T1_,"axG",@progbits,_ZN2at6native29vectorized_elementwise_kernelILi8ENS0_13BinaryFunctorIdddZZZNS0_12_GLOBAL__N_133hermite_polynomial_he_kernel_cudaERNS_18TensorIteratorBaseEENKUlvE_clEvENKUlvE_clEvEUlddE_EESt5arrayIPcLm3EEEEviT0_T1_,comdat
.Lfunc_end17:
	.size	_ZN2at6native29vectorized_elementwise_kernelILi8ENS0_13BinaryFunctorIdddZZZNS0_12_GLOBAL__N_133hermite_polynomial_he_kernel_cudaERNS_18TensorIteratorBaseEENKUlvE_clEvENKUlvE_clEvEUlddE_EESt5arrayIPcLm3EEEEviT0_T1_, .Lfunc_end17-_ZN2at6native29vectorized_elementwise_kernelILi8ENS0_13BinaryFunctorIdddZZZNS0_12_GLOBAL__N_133hermite_polynomial_he_kernel_cudaERNS_18TensorIteratorBaseEENKUlvE_clEvENKUlvE_clEvEUlddE_EESt5arrayIPcLm3EEEEviT0_T1_
                                        ; -- End function
	.section	.AMDGPU.csdata,"",@progbits
; Kernel info:
; codeLenInByte = 3184
; NumSgprs: 27
; NumVgprs: 30
; NumAgprs: 0
; TotalNumVgprs: 30
; ScratchSize: 0
; MemoryBound: 0
; FloatMode: 240
; IeeeMode: 1
; LDSByteSize: 0 bytes/workgroup (compile time only)
; SGPRBlocks: 3
; VGPRBlocks: 3
; NumSGPRsForWavesPerEU: 27
; NumVGPRsForWavesPerEU: 30
; AccumOffset: 32
; Occupancy: 8
; WaveLimiterHint : 0
; COMPUTE_PGM_RSRC2:SCRATCH_EN: 0
; COMPUTE_PGM_RSRC2:USER_SGPR: 6
; COMPUTE_PGM_RSRC2:TRAP_HANDLER: 0
; COMPUTE_PGM_RSRC2:TGID_X_EN: 1
; COMPUTE_PGM_RSRC2:TGID_Y_EN: 0
; COMPUTE_PGM_RSRC2:TGID_Z_EN: 0
; COMPUTE_PGM_RSRC2:TIDIG_COMP_CNT: 0
; COMPUTE_PGM_RSRC3_GFX90A:ACCUM_OFFSET: 7
; COMPUTE_PGM_RSRC3_GFX90A:TG_SPLIT: 0
	.section	.text._ZN2at6native29vectorized_elementwise_kernelILi4ENS0_13BinaryFunctorIdddZZZNS0_12_GLOBAL__N_133hermite_polynomial_he_kernel_cudaERNS_18TensorIteratorBaseEENKUlvE_clEvENKUlvE_clEvEUlddE_EESt5arrayIPcLm3EEEEviT0_T1_,"axG",@progbits,_ZN2at6native29vectorized_elementwise_kernelILi4ENS0_13BinaryFunctorIdddZZZNS0_12_GLOBAL__N_133hermite_polynomial_he_kernel_cudaERNS_18TensorIteratorBaseEENKUlvE_clEvENKUlvE_clEvEUlddE_EESt5arrayIPcLm3EEEEviT0_T1_,comdat
	.globl	_ZN2at6native29vectorized_elementwise_kernelILi4ENS0_13BinaryFunctorIdddZZZNS0_12_GLOBAL__N_133hermite_polynomial_he_kernel_cudaERNS_18TensorIteratorBaseEENKUlvE_clEvENKUlvE_clEvEUlddE_EESt5arrayIPcLm3EEEEviT0_T1_ ; -- Begin function _ZN2at6native29vectorized_elementwise_kernelILi4ENS0_13BinaryFunctorIdddZZZNS0_12_GLOBAL__N_133hermite_polynomial_he_kernel_cudaERNS_18TensorIteratorBaseEENKUlvE_clEvENKUlvE_clEvEUlddE_EESt5arrayIPcLm3EEEEviT0_T1_
	.p2align	8
	.type	_ZN2at6native29vectorized_elementwise_kernelILi4ENS0_13BinaryFunctorIdddZZZNS0_12_GLOBAL__N_133hermite_polynomial_he_kernel_cudaERNS_18TensorIteratorBaseEENKUlvE_clEvENKUlvE_clEvEUlddE_EESt5arrayIPcLm3EEEEviT0_T1_,@function
_ZN2at6native29vectorized_elementwise_kernelILi4ENS0_13BinaryFunctorIdddZZZNS0_12_GLOBAL__N_133hermite_polynomial_he_kernel_cudaERNS_18TensorIteratorBaseEENKUlvE_clEvENKUlvE_clEvEUlddE_EESt5arrayIPcLm3EEEEviT0_T1_: ; @_ZN2at6native29vectorized_elementwise_kernelILi4ENS0_13BinaryFunctorIdddZZZNS0_12_GLOBAL__N_133hermite_polynomial_he_kernel_cudaERNS_18TensorIteratorBaseEENKUlvE_clEvENKUlvE_clEvEUlddE_EESt5arrayIPcLm3EEEEviT0_T1_
; %bb.0:
	s_load_dword s0, s[4:5], 0x0
	s_load_dwordx4 s[8:11], s[4:5], 0x8
	s_load_dwordx2 s[12:13], s[4:5], 0x18
	s_lshl_b32 s2, s6, 10
	s_waitcnt lgkmcnt(0)
	s_sub_i32 s22, s0, s2
	s_cmpk_gt_i32 s22, 0x3ff
	s_mov_b64 s[0:1], -1
	s_cbranch_scc0 .LBB18_50
; %bb.1:
	s_ashr_i32 s3, s2, 31
	s_lshl_b64 s[0:1], s[2:3], 3
	s_add_u32 s4, s10, s0
	s_addc_u32 s5, s11, s1
	s_add_u32 s6, s12, s0
	v_lshlrev_b32_e32 v1, 5, v0
	s_addc_u32 s7, s13, s1
	global_load_dwordx4 v[6:9], v1, s[6:7]
	global_load_dwordx4 v[10:13], v1, s[6:7] offset:16
	global_load_dwordx4 v[2:5], v1, s[4:5] offset:16
	global_load_dwordx4 v[14:17], v1, s[4:5]
	s_movk_i32 s3, 0xffe0
	s_waitcnt vmcnt(3)
	v_trunc_f64_e32 v[6:7], v[6:7]
	v_ldexp_f64 v[18:19], v[6:7], s3
	v_floor_f64_e32 v[18:19], v[18:19]
	v_fmac_f64_e32 v[6:7], 0xc1f00000, v[18:19]
	v_cvt_i32_f64_e32 v19, v[18:19]
	v_cvt_u32_f64_e32 v18, v[6:7]
	v_cmp_lt_i64_e32 vcc, -1, v[18:19]
	v_pk_mov_b32 v[6:7], 0, 0
	s_and_saveexec_b64 s[4:5], vcc
	s_cbranch_execz .LBB18_13
; %bb.2:
	v_mov_b32_e32 v6, 0
	v_cmp_lt_i64_e32 vcc, 0, v[18:19]
	v_mov_b32_e32 v7, 0x3ff00000
	s_and_saveexec_b64 s[6:7], vcc
	s_cbranch_execz .LBB18_12
; %bb.3:
	v_cmp_ne_u64_e32 vcc, 1, v[18:19]
                                        ; implicit-def: $vgpr6_vgpr7
	s_and_saveexec_b64 s[14:15], vcc
	s_xor_b64 s[14:15], exec, s[14:15]
	s_cbranch_execz .LBB18_9
; %bb.4:
	s_mov_b64 s[16:17], 0x201
	v_mov_b32_e32 v6, 0
	v_cmp_gt_u64_e32 vcc, s[16:17], v[18:19]
	v_mov_b32_e32 v7, 0x7ff80000
	s_and_saveexec_b64 s[16:17], vcc
	s_cbranch_execz .LBB18_8
; %bb.5:
	v_mov_b32_e32 v20, 0
	s_mov_b64 s[20:21], 1
	s_mov_b64 s[18:19], 0
	v_mov_b32_e32 v21, 0x3ff00000
	s_waitcnt vmcnt(0)
	v_pk_mov_b32 v[6:7], v[14:15], v[14:15] op_sel:[0,1]
.LBB18_6:                               ; =>This Inner Loop Header: Depth=1
	v_cvt_f64_u32_e32 v[22:23], s21
	v_cvt_f64_u32_e32 v[24:25], s20
	s_add_u32 s20, s20, 1
	v_ldexp_f64 v[22:23], v[22:23], 32
	s_addc_u32 s21, s21, 0
	v_add_f64 v[22:23], v[22:23], v[24:25]
	v_cmp_eq_u64_e32 vcc, s[20:21], v[18:19]
	v_mul_f64 v[22:23], v[20:21], v[22:23]
	s_or_b64 s[18:19], vcc, s[18:19]
	v_pk_mov_b32 v[20:21], v[6:7], v[6:7] op_sel:[0,1]
	v_fma_f64 v[6:7], v[14:15], v[6:7], -v[22:23]
	s_andn2_b64 exec, exec, s[18:19]
	s_cbranch_execnz .LBB18_6
; %bb.7:
	s_or_b64 exec, exec, s[18:19]
.LBB18_8:
	s_or_b64 exec, exec, s[16:17]
.LBB18_9:
	s_andn2_saveexec_b64 s[14:15], s[14:15]
	s_cbranch_execz .LBB18_11
; %bb.10:
	s_waitcnt vmcnt(0)
	v_pk_mov_b32 v[6:7], v[14:15], v[14:15] op_sel:[0,1]
.LBB18_11:
	s_or_b64 exec, exec, s[14:15]
.LBB18_12:
	s_or_b64 exec, exec, s[6:7]
.LBB18_13:
	s_or_b64 exec, exec, s[4:5]
	v_trunc_f64_e32 v[8:9], v[8:9]
	s_movk_i32 s3, 0xffe0
	s_waitcnt vmcnt(0)
	v_ldexp_f64 v[14:15], v[8:9], s3
	v_floor_f64_e32 v[18:19], v[14:15]
	v_fmac_f64_e32 v[8:9], 0xc1f00000, v[18:19]
	v_cvt_u32_f64_e32 v14, v[8:9]
	v_cvt_i32_f64_e32 v15, v[18:19]
	v_cmp_lt_i64_e32 vcc, -1, v[14:15]
	v_pk_mov_b32 v[8:9], 0, 0
	s_and_saveexec_b64 s[4:5], vcc
	s_cbranch_execz .LBB18_25
; %bb.14:
	v_mov_b32_e32 v8, 0
	v_cmp_lt_i64_e32 vcc, 0, v[14:15]
	v_mov_b32_e32 v9, 0x3ff00000
	s_and_saveexec_b64 s[6:7], vcc
	s_cbranch_execz .LBB18_24
; %bb.15:
	v_cmp_ne_u64_e32 vcc, 1, v[14:15]
	s_and_saveexec_b64 s[14:15], vcc
	s_xor_b64 s[14:15], exec, s[14:15]
	s_cbranch_execz .LBB18_21
; %bb.16:
	s_mov_b64 s[16:17], 0x201
	v_mov_b32_e32 v8, 0
	v_cmp_gt_u64_e32 vcc, s[16:17], v[14:15]
	v_mov_b32_e32 v9, 0x7ff80000
	s_and_saveexec_b64 s[16:17], vcc
	s_cbranch_execz .LBB18_20
; %bb.17:
	v_mov_b32_e32 v18, 0
	s_mov_b64 s[20:21], 1
	s_mov_b64 s[18:19], 0
	v_mov_b32_e32 v19, 0x3ff00000
	v_pk_mov_b32 v[8:9], v[16:17], v[16:17] op_sel:[0,1]
.LBB18_18:                              ; =>This Inner Loop Header: Depth=1
	v_cvt_f64_u32_e32 v[20:21], s21
	v_cvt_f64_u32_e32 v[22:23], s20
	s_add_u32 s20, s20, 1
	v_ldexp_f64 v[20:21], v[20:21], 32
	s_addc_u32 s21, s21, 0
	v_add_f64 v[20:21], v[20:21], v[22:23]
	v_cmp_eq_u64_e32 vcc, s[20:21], v[14:15]
	v_mul_f64 v[20:21], v[18:19], v[20:21]
	s_or_b64 s[18:19], vcc, s[18:19]
	v_pk_mov_b32 v[18:19], v[8:9], v[8:9] op_sel:[0,1]
	v_fma_f64 v[8:9], v[16:17], v[8:9], -v[20:21]
	s_andn2_b64 exec, exec, s[18:19]
	s_cbranch_execnz .LBB18_18
; %bb.19:
	s_or_b64 exec, exec, s[18:19]
.LBB18_20:
	s_or_b64 exec, exec, s[16:17]
                                        ; implicit-def: $vgpr16_vgpr17
.LBB18_21:
	s_andn2_saveexec_b64 s[14:15], s[14:15]
; %bb.22:
	v_pk_mov_b32 v[8:9], v[16:17], v[16:17] op_sel:[0,1]
; %bb.23:
	s_or_b64 exec, exec, s[14:15]
.LBB18_24:
	s_or_b64 exec, exec, s[6:7]
.LBB18_25:
	s_or_b64 exec, exec, s[4:5]
	v_trunc_f64_e32 v[10:11], v[10:11]
	s_movk_i32 s3, 0xffe0
	v_ldexp_f64 v[14:15], v[10:11], s3
	v_floor_f64_e32 v[16:17], v[14:15]
	v_fmac_f64_e32 v[10:11], 0xc1f00000, v[16:17]
	v_cvt_u32_f64_e32 v14, v[10:11]
	v_cvt_i32_f64_e32 v15, v[16:17]
	v_cmp_lt_i64_e32 vcc, -1, v[14:15]
	v_pk_mov_b32 v[10:11], 0, 0
	s_and_saveexec_b64 s[4:5], vcc
	s_cbranch_execz .LBB18_37
; %bb.26:
	v_mov_b32_e32 v10, 0
	v_cmp_lt_i64_e32 vcc, 0, v[14:15]
	v_mov_b32_e32 v11, 0x3ff00000
	s_and_saveexec_b64 s[6:7], vcc
	s_cbranch_execz .LBB18_36
; %bb.27:
	v_cmp_ne_u64_e32 vcc, 1, v[14:15]
                                        ; implicit-def: $vgpr10_vgpr11
	s_and_saveexec_b64 s[14:15], vcc
	s_xor_b64 s[14:15], exec, s[14:15]
	s_cbranch_execz .LBB18_33
; %bb.28:
	s_mov_b64 s[16:17], 0x201
	v_mov_b32_e32 v10, 0
	v_cmp_gt_u64_e32 vcc, s[16:17], v[14:15]
	v_mov_b32_e32 v11, 0x7ff80000
	s_and_saveexec_b64 s[16:17], vcc
	s_cbranch_execz .LBB18_32
; %bb.29:
	v_mov_b32_e32 v16, 0
	s_mov_b64 s[20:21], 1
	s_mov_b64 s[18:19], 0
	v_mov_b32_e32 v17, 0x3ff00000
	v_pk_mov_b32 v[10:11], v[2:3], v[2:3] op_sel:[0,1]
.LBB18_30:                              ; =>This Inner Loop Header: Depth=1
	v_cvt_f64_u32_e32 v[18:19], s21
	v_cvt_f64_u32_e32 v[20:21], s20
	s_add_u32 s20, s20, 1
	v_ldexp_f64 v[18:19], v[18:19], 32
	s_addc_u32 s21, s21, 0
	v_add_f64 v[18:19], v[18:19], v[20:21]
	v_cmp_eq_u64_e32 vcc, s[20:21], v[14:15]
	v_mul_f64 v[18:19], v[16:17], v[18:19]
	s_or_b64 s[18:19], vcc, s[18:19]
	v_pk_mov_b32 v[16:17], v[10:11], v[10:11] op_sel:[0,1]
	v_fma_f64 v[10:11], v[2:3], v[10:11], -v[18:19]
	s_andn2_b64 exec, exec, s[18:19]
	s_cbranch_execnz .LBB18_30
; %bb.31:
	s_or_b64 exec, exec, s[18:19]
.LBB18_32:
	s_or_b64 exec, exec, s[16:17]
.LBB18_33:
	s_andn2_saveexec_b64 s[14:15], s[14:15]
; %bb.34:
	v_pk_mov_b32 v[10:11], v[2:3], v[2:3] op_sel:[0,1]
; %bb.35:
	s_or_b64 exec, exec, s[14:15]
.LBB18_36:
	s_or_b64 exec, exec, s[6:7]
.LBB18_37:
	s_or_b64 exec, exec, s[4:5]
	v_trunc_f64_e32 v[2:3], v[12:13]
	s_movk_i32 s3, 0xffe0
	v_ldexp_f64 v[12:13], v[2:3], s3
	v_floor_f64_e32 v[12:13], v[12:13]
	v_fmac_f64_e32 v[2:3], 0xc1f00000, v[12:13]
	v_cvt_u32_f64_e32 v2, v[2:3]
	v_cvt_i32_f64_e32 v3, v[12:13]
	v_cmp_lt_i64_e32 vcc, -1, v[2:3]
	v_pk_mov_b32 v[12:13], 0, 0
	s_and_saveexec_b64 s[4:5], vcc
	s_cbranch_execz .LBB18_49
; %bb.38:
	v_mov_b32_e32 v12, 0
	v_cmp_lt_i64_e32 vcc, 0, v[2:3]
	v_mov_b32_e32 v13, 0x3ff00000
	s_and_saveexec_b64 s[6:7], vcc
	s_cbranch_execz .LBB18_48
; %bb.39:
	v_cmp_ne_u64_e32 vcc, 1, v[2:3]
	s_and_saveexec_b64 s[14:15], vcc
	s_xor_b64 s[14:15], exec, s[14:15]
	s_cbranch_execz .LBB18_45
; %bb.40:
	s_mov_b64 s[16:17], 0x201
	v_mov_b32_e32 v12, 0
	v_cmp_gt_u64_e32 vcc, s[16:17], v[2:3]
	v_mov_b32_e32 v13, 0x7ff80000
	s_and_saveexec_b64 s[16:17], vcc
	s_cbranch_execz .LBB18_44
; %bb.41:
	v_mov_b32_e32 v14, 0
	s_mov_b64 s[20:21], 1
	s_mov_b64 s[18:19], 0
	v_mov_b32_e32 v15, 0x3ff00000
	v_pk_mov_b32 v[12:13], v[4:5], v[4:5] op_sel:[0,1]
.LBB18_42:                              ; =>This Inner Loop Header: Depth=1
	v_cvt_f64_u32_e32 v[16:17], s21
	v_cvt_f64_u32_e32 v[18:19], s20
	s_add_u32 s20, s20, 1
	v_ldexp_f64 v[16:17], v[16:17], 32
	s_addc_u32 s21, s21, 0
	v_add_f64 v[16:17], v[16:17], v[18:19]
	v_cmp_eq_u64_e32 vcc, s[20:21], v[2:3]
	v_mul_f64 v[16:17], v[14:15], v[16:17]
	s_or_b64 s[18:19], vcc, s[18:19]
	v_pk_mov_b32 v[14:15], v[12:13], v[12:13] op_sel:[0,1]
	v_fma_f64 v[12:13], v[4:5], v[12:13], -v[16:17]
	s_andn2_b64 exec, exec, s[18:19]
	s_cbranch_execnz .LBB18_42
; %bb.43:
	s_or_b64 exec, exec, s[18:19]
.LBB18_44:
	s_or_b64 exec, exec, s[16:17]
                                        ; implicit-def: $vgpr4_vgpr5
.LBB18_45:
	s_andn2_saveexec_b64 s[14:15], s[14:15]
; %bb.46:
	v_pk_mov_b32 v[12:13], v[4:5], v[4:5] op_sel:[0,1]
; %bb.47:
	s_or_b64 exec, exec, s[14:15]
.LBB18_48:
	s_or_b64 exec, exec, s[6:7]
.LBB18_49:
	s_or_b64 exec, exec, s[4:5]
	s_add_u32 s0, s8, s0
	s_addc_u32 s1, s9, s1
	global_store_dwordx4 v1, v[6:9], s[0:1]
	global_store_dwordx4 v1, v[10:13], s[0:1] offset:16
	s_mov_b64 s[0:1], 0
.LBB18_50:
	s_and_b64 vcc, exec, s[0:1]
	s_cbranch_vccz .LBB18_107
; %bb.51:
	v_pk_mov_b32 v[18:19], 0, 0
	v_cmp_gt_i32_e32 vcc, s22, v0
	v_or_b32_e32 v10, s2, v0
	v_pk_mov_b32 v[24:25], v[18:19], v[18:19] op_sel:[0,1]
	v_pk_mov_b32 v[26:27], v[18:19], v[18:19] op_sel:[0,1]
	v_mov_b32_e32 v1, v0
	s_and_saveexec_b64 s[4:5], vcc
	s_cbranch_execz .LBB18_53
; %bb.52:
	v_mov_b32_e32 v11, 0
	v_lshlrev_b64 v[2:3], 3, v[10:11]
	v_mov_b32_e32 v1, s13
	v_add_co_u32_e64 v4, s[0:1], s12, v2
	v_addc_co_u32_e64 v5, s[0:1], v1, v3, s[0:1]
	v_mov_b32_e32 v1, s11
	v_add_co_u32_e64 v2, s[0:1], s10, v2
	v_addc_co_u32_e64 v3, s[0:1], v1, v3, s[0:1]
	global_load_dwordx2 v[24:25], v[2:3], off
	global_load_dwordx2 v[26:27], v[4:5], off
	v_or_b32_e32 v1, 0x100, v0
.LBB18_53:
	s_or_b64 exec, exec, s[4:5]
	v_cmp_gt_i32_e64 s[0:1], s22, v1
	v_pk_mov_b32 v[22:23], v[18:19], v[18:19] op_sel:[0,1]
	s_and_saveexec_b64 s[4:5], s[0:1]
	s_cbranch_execz .LBB18_55
; %bb.54:
	v_add_u32_e32 v2, s2, v1
	v_mov_b32_e32 v3, 0
	v_lshlrev_b64 v[2:3], 3, v[2:3]
	v_mov_b32_e32 v5, s13
	v_add_co_u32_e64 v4, s[0:1], s12, v2
	v_addc_co_u32_e64 v5, s[0:1], v5, v3, s[0:1]
	v_mov_b32_e32 v6, s11
	v_add_co_u32_e64 v2, s[0:1], s10, v2
	v_addc_co_u32_e64 v3, s[0:1], v6, v3, s[0:1]
	global_load_dwordx2 v[18:19], v[2:3], off
	global_load_dwordx2 v[22:23], v[4:5], off
	v_add_u32_e32 v1, 0x100, v1
.LBB18_55:
	s_or_b64 exec, exec, s[4:5]
	v_pk_mov_b32 v[12:13], 0, 0
	v_cmp_gt_i32_e64 s[0:1], s22, v1
	v_pk_mov_b32 v[16:17], v[12:13], v[12:13] op_sel:[0,1]
	v_pk_mov_b32 v[20:21], v[12:13], v[12:13] op_sel:[0,1]
	s_and_saveexec_b64 s[4:5], s[0:1]
	s_cbranch_execz .LBB18_57
; %bb.56:
	v_add_u32_e32 v2, s2, v1
	v_mov_b32_e32 v3, 0
	v_lshlrev_b64 v[2:3], 3, v[2:3]
	v_mov_b32_e32 v5, s13
	v_add_co_u32_e64 v4, s[0:1], s12, v2
	v_addc_co_u32_e64 v5, s[0:1], v5, v3, s[0:1]
	v_mov_b32_e32 v6, s11
	v_add_co_u32_e64 v2, s[0:1], s10, v2
	v_addc_co_u32_e64 v3, s[0:1], v6, v3, s[0:1]
	global_load_dwordx2 v[16:17], v[2:3], off
	global_load_dwordx2 v[20:21], v[4:5], off
	v_add_u32_e32 v1, 0x100, v1
.LBB18_57:
	s_or_b64 exec, exec, s[4:5]
	v_cmp_gt_i32_e64 s[0:1], s22, v1
	v_pk_mov_b32 v[14:15], v[12:13], v[12:13] op_sel:[0,1]
	s_and_saveexec_b64 s[4:5], s[0:1]
	s_cbranch_execz .LBB18_59
; %bb.58:
	v_add_u32_e32 v2, s2, v1
	v_mov_b32_e32 v3, 0
	v_lshlrev_b64 v[2:3], 3, v[2:3]
	v_mov_b32_e32 v1, s13
	v_add_co_u32_e64 v4, s[0:1], s12, v2
	v_addc_co_u32_e64 v5, s[0:1], v1, v3, s[0:1]
	v_mov_b32_e32 v1, s11
	v_add_co_u32_e64 v2, s[0:1], s10, v2
	v_addc_co_u32_e64 v3, s[0:1], v1, v3, s[0:1]
	global_load_dwordx2 v[12:13], v[2:3], off
	global_load_dwordx2 v[14:15], v[4:5], off
.LBB18_59:
	s_or_b64 exec, exec, s[4:5]
                                        ; implicit-def: $vgpr2_vgpr3_vgpr4_vgpr5_vgpr6_vgpr7_vgpr8_vgpr9
	s_and_saveexec_b64 s[4:5], vcc
	s_cbranch_execz .LBB18_73
; %bb.60:
	s_waitcnt vmcnt(0)
	v_trunc_f64_e32 v[2:3], v[26:27]
	s_movk_i32 s0, 0xffe0
	v_ldexp_f64 v[4:5], v[2:3], s0
	v_floor_f64_e32 v[6:7], v[4:5]
	v_fmac_f64_e32 v[2:3], 0xc1f00000, v[6:7]
	v_cvt_i32_f64_e32 v5, v[6:7]
	v_cvt_u32_f64_e32 v4, v[2:3]
	v_cmp_lt_i64_e64 s[0:1], -1, v[4:5]
	v_pk_mov_b32 v[2:3], 0, 0
	s_and_saveexec_b64 s[6:7], s[0:1]
	s_cbranch_execz .LBB18_72
; %bb.61:
	v_mov_b32_e32 v2, 0
	v_cmp_lt_i64_e64 s[0:1], 0, v[4:5]
	v_mov_b32_e32 v3, 0x3ff00000
	s_and_saveexec_b64 s[10:11], s[0:1]
	s_cbranch_execz .LBB18_71
; %bb.62:
	v_cmp_ne_u64_e64 s[0:1], 1, v[4:5]
                                        ; implicit-def: $vgpr2_vgpr3
	s_and_saveexec_b64 s[12:13], s[0:1]
	s_xor_b64 s[12:13], exec, s[12:13]
	s_cbranch_execz .LBB18_68
; %bb.63:
	s_mov_b64 s[0:1], 0x201
	v_mov_b32_e32 v2, 0
	v_cmp_gt_u64_e64 s[0:1], s[0:1], v[4:5]
	v_mov_b32_e32 v3, 0x7ff80000
	s_and_saveexec_b64 s[14:15], s[0:1]
	s_cbranch_execz .LBB18_67
; %bb.64:
	v_mov_b32_e32 v6, 0
	s_mov_b64 s[18:19], 1
	s_mov_b64 s[16:17], 0
	v_mov_b32_e32 v7, 0x3ff00000
	v_pk_mov_b32 v[2:3], v[24:25], v[24:25] op_sel:[0,1]
.LBB18_65:                              ; =>This Inner Loop Header: Depth=1
	v_cvt_f64_u32_e32 v[8:9], s19
	v_cvt_f64_u32_e32 v[26:27], s18
	s_add_u32 s18, s18, 1
	v_ldexp_f64 v[8:9], v[8:9], 32
	s_addc_u32 s19, s19, 0
	v_add_f64 v[8:9], v[8:9], v[26:27]
	v_cmp_eq_u64_e64 s[0:1], s[18:19], v[4:5]
	v_mul_f64 v[8:9], v[6:7], v[8:9]
	s_or_b64 s[16:17], s[0:1], s[16:17]
	v_pk_mov_b32 v[6:7], v[2:3], v[2:3] op_sel:[0,1]
	v_fma_f64 v[2:3], v[24:25], v[2:3], -v[8:9]
	s_andn2_b64 exec, exec, s[16:17]
	s_cbranch_execnz .LBB18_65
; %bb.66:
	s_or_b64 exec, exec, s[16:17]
.LBB18_67:
	s_or_b64 exec, exec, s[14:15]
                                        ; implicit-def: $vgpr24_vgpr25
.LBB18_68:
	s_andn2_saveexec_b64 s[0:1], s[12:13]
; %bb.69:
	v_pk_mov_b32 v[2:3], v[24:25], v[24:25] op_sel:[0,1]
; %bb.70:
	s_or_b64 exec, exec, s[0:1]
.LBB18_71:
	s_or_b64 exec, exec, s[10:11]
.LBB18_72:
	s_or_b64 exec, exec, s[6:7]
.LBB18_73:
	s_or_b64 exec, exec, s[4:5]
	v_or_b32_e32 v1, 0x100, v0
	v_cmp_gt_i32_e64 s[0:1], s22, v1
	s_and_saveexec_b64 s[4:5], s[0:1]
	s_cbranch_execz .LBB18_87
; %bb.74:
	s_waitcnt vmcnt(0)
	v_trunc_f64_e32 v[4:5], v[22:23]
	s_movk_i32 s0, 0xffe0
	v_ldexp_f64 v[22:23], v[4:5], s0
	v_floor_f64_e32 v[24:25], v[22:23]
	v_fmac_f64_e32 v[4:5], 0xc1f00000, v[24:25]
	v_cvt_i32_f64_e32 v23, v[24:25]
	v_cvt_u32_f64_e32 v22, v[4:5]
	v_cmp_lt_i64_e64 s[0:1], -1, v[22:23]
	v_pk_mov_b32 v[4:5], 0, 0
	s_and_saveexec_b64 s[6:7], s[0:1]
	s_cbranch_execz .LBB18_86
; %bb.75:
	v_mov_b32_e32 v4, 0
	v_cmp_lt_i64_e64 s[0:1], 0, v[22:23]
	v_mov_b32_e32 v5, 0x3ff00000
	s_and_saveexec_b64 s[10:11], s[0:1]
	s_cbranch_execz .LBB18_85
; %bb.76:
	v_cmp_ne_u64_e64 s[0:1], 1, v[22:23]
	s_and_saveexec_b64 s[12:13], s[0:1]
	s_xor_b64 s[12:13], exec, s[12:13]
	s_cbranch_execz .LBB18_82
; %bb.77:
	s_mov_b64 s[0:1], 0x201
	v_mov_b32_e32 v4, 0
	v_cmp_gt_u64_e64 s[0:1], s[0:1], v[22:23]
	v_mov_b32_e32 v5, 0x7ff80000
	s_and_saveexec_b64 s[14:15], s[0:1]
	s_cbranch_execz .LBB18_81
; %bb.78:
	v_mov_b32_e32 v24, 0
	s_mov_b64 s[18:19], 1
	s_mov_b64 s[16:17], 0
	v_mov_b32_e32 v25, 0x3ff00000
	v_pk_mov_b32 v[4:5], v[18:19], v[18:19] op_sel:[0,1]
.LBB18_79:                              ; =>This Inner Loop Header: Depth=1
	v_cvt_f64_u32_e32 v[26:27], s19
	v_cvt_f64_u32_e32 v[28:29], s18
	s_add_u32 s18, s18, 1
	v_ldexp_f64 v[26:27], v[26:27], 32
	s_addc_u32 s19, s19, 0
	v_add_f64 v[26:27], v[26:27], v[28:29]
	v_cmp_eq_u64_e64 s[0:1], s[18:19], v[22:23]
	v_mul_f64 v[26:27], v[24:25], v[26:27]
	s_or_b64 s[16:17], s[0:1], s[16:17]
	v_pk_mov_b32 v[24:25], v[4:5], v[4:5] op_sel:[0,1]
	v_fma_f64 v[4:5], v[18:19], v[4:5], -v[26:27]
	s_andn2_b64 exec, exec, s[16:17]
	s_cbranch_execnz .LBB18_79
; %bb.80:
	s_or_b64 exec, exec, s[16:17]
.LBB18_81:
	s_or_b64 exec, exec, s[14:15]
                                        ; implicit-def: $vgpr18_vgpr19
.LBB18_82:
	s_andn2_saveexec_b64 s[0:1], s[12:13]
; %bb.83:
	v_pk_mov_b32 v[4:5], v[18:19], v[18:19] op_sel:[0,1]
; %bb.84:
	s_or_b64 exec, exec, s[0:1]
.LBB18_85:
	s_or_b64 exec, exec, s[10:11]
.LBB18_86:
	s_or_b64 exec, exec, s[6:7]
.LBB18_87:
	s_or_b64 exec, exec, s[4:5]
	v_or_b32_e32 v11, 0x200, v0
	v_cmp_gt_i32_e64 s[0:1], s22, v11
	s_and_saveexec_b64 s[4:5], s[0:1]
	s_cbranch_execz .LBB18_101
; %bb.88:
	s_waitcnt vmcnt(0)
	v_trunc_f64_e32 v[6:7], v[20:21]
	s_movk_i32 s0, 0xffe0
	v_ldexp_f64 v[18:19], v[6:7], s0
	v_floor_f64_e32 v[20:21], v[18:19]
	v_fmac_f64_e32 v[6:7], 0xc1f00000, v[20:21]
	v_cvt_i32_f64_e32 v19, v[20:21]
	v_cvt_u32_f64_e32 v18, v[6:7]
	v_cmp_lt_i64_e64 s[0:1], -1, v[18:19]
	v_pk_mov_b32 v[6:7], 0, 0
	s_and_saveexec_b64 s[6:7], s[0:1]
	s_cbranch_execz .LBB18_100
; %bb.89:
	v_mov_b32_e32 v6, 0
	v_cmp_lt_i64_e64 s[0:1], 0, v[18:19]
	v_mov_b32_e32 v7, 0x3ff00000
	s_and_saveexec_b64 s[10:11], s[0:1]
	s_cbranch_execz .LBB18_99
; %bb.90:
	v_cmp_ne_u64_e64 s[0:1], 1, v[18:19]
	s_and_saveexec_b64 s[12:13], s[0:1]
	s_xor_b64 s[12:13], exec, s[12:13]
	s_cbranch_execz .LBB18_96
; %bb.91:
	s_mov_b64 s[0:1], 0x201
	v_mov_b32_e32 v6, 0
	v_cmp_gt_u64_e64 s[0:1], s[0:1], v[18:19]
	v_mov_b32_e32 v7, 0x7ff80000
	s_and_saveexec_b64 s[14:15], s[0:1]
	s_cbranch_execz .LBB18_95
; %bb.92:
	v_mov_b32_e32 v20, 0
	s_mov_b64 s[18:19], 1
	s_mov_b64 s[16:17], 0
	v_mov_b32_e32 v21, 0x3ff00000
	v_pk_mov_b32 v[6:7], v[16:17], v[16:17] op_sel:[0,1]
.LBB18_93:                              ; =>This Inner Loop Header: Depth=1
	v_cvt_f64_u32_e32 v[22:23], s19
	v_cvt_f64_u32_e32 v[24:25], s18
	s_add_u32 s18, s18, 1
	v_ldexp_f64 v[22:23], v[22:23], 32
	s_addc_u32 s19, s19, 0
	v_add_f64 v[22:23], v[22:23], v[24:25]
	v_cmp_eq_u64_e64 s[0:1], s[18:19], v[18:19]
	v_mul_f64 v[22:23], v[20:21], v[22:23]
	s_or_b64 s[16:17], s[0:1], s[16:17]
	v_pk_mov_b32 v[20:21], v[6:7], v[6:7] op_sel:[0,1]
	v_fma_f64 v[6:7], v[16:17], v[6:7], -v[22:23]
	s_andn2_b64 exec, exec, s[16:17]
	s_cbranch_execnz .LBB18_93
; %bb.94:
	s_or_b64 exec, exec, s[16:17]
.LBB18_95:
	s_or_b64 exec, exec, s[14:15]
                                        ; implicit-def: $vgpr16_vgpr17
.LBB18_96:
	s_andn2_saveexec_b64 s[0:1], s[12:13]
; %bb.97:
	v_pk_mov_b32 v[6:7], v[16:17], v[16:17] op_sel:[0,1]
; %bb.98:
	s_or_b64 exec, exec, s[0:1]
.LBB18_99:
	s_or_b64 exec, exec, s[10:11]
.LBB18_100:
	s_or_b64 exec, exec, s[6:7]
.LBB18_101:
	s_or_b64 exec, exec, s[4:5]
	v_or_b32_e32 v11, 0x300, v0
	v_cmp_gt_i32_e64 s[0:1], s22, v11
	s_and_saveexec_b64 s[4:5], s[0:1]
	s_cbranch_execnz .LBB18_108
; %bb.102:
	s_or_b64 exec, exec, s[4:5]
	s_and_saveexec_b64 s[0:1], vcc
	s_xor_b64 s[0:1], exec, s[0:1]
	s_cbranch_execnz .LBB18_121
.LBB18_103:
	s_or_b64 exec, exec, s[0:1]
	v_cmp_gt_i32_e32 vcc, s22, v0
	s_and_saveexec_b64 s[0:1], vcc
	s_cbranch_execnz .LBB18_122
.LBB18_104:
	s_or_b64 exec, exec, s[0:1]
	v_cmp_gt_i32_e32 vcc, s22, v0
	s_and_saveexec_b64 s[0:1], vcc
	s_cbranch_execnz .LBB18_123
.LBB18_105:
	s_or_b64 exec, exec, s[0:1]
	v_cmp_gt_i32_e32 vcc, s22, v0
	s_and_saveexec_b64 s[0:1], vcc
	s_cbranch_execz .LBB18_107
.LBB18_106:
	v_add_u32_e32 v0, s2, v0
	v_mov_b32_e32 v1, 0
	v_lshlrev_b64 v[0:1], 3, v[0:1]
	v_mov_b32_e32 v2, s9
	v_add_co_u32_e32 v0, vcc, s8, v0
	v_addc_co_u32_e32 v1, vcc, v2, v1, vcc
	global_store_dwordx2 v[0:1], v[8:9], off
.LBB18_107:
	s_endpgm
.LBB18_108:
	s_waitcnt vmcnt(0)
	v_trunc_f64_e32 v[8:9], v[14:15]
	s_movk_i32 s0, 0xffe0
	v_ldexp_f64 v[14:15], v[8:9], s0
	v_floor_f64_e32 v[16:17], v[14:15]
	v_fmac_f64_e32 v[8:9], 0xc1f00000, v[16:17]
	v_cvt_i32_f64_e32 v15, v[16:17]
	v_cvt_u32_f64_e32 v14, v[8:9]
	v_cmp_lt_i64_e64 s[0:1], -1, v[14:15]
	v_pk_mov_b32 v[8:9], 0, 0
	s_and_saveexec_b64 s[6:7], s[0:1]
	s_cbranch_execz .LBB18_120
; %bb.109:
	v_mov_b32_e32 v8, 0
	v_cmp_lt_i64_e64 s[0:1], 0, v[14:15]
	v_mov_b32_e32 v9, 0x3ff00000
	s_and_saveexec_b64 s[10:11], s[0:1]
	s_cbranch_execz .LBB18_119
; %bb.110:
	v_cmp_ne_u64_e64 s[0:1], 1, v[14:15]
	s_and_saveexec_b64 s[12:13], s[0:1]
	s_xor_b64 s[12:13], exec, s[12:13]
	s_cbranch_execz .LBB18_116
; %bb.111:
	s_mov_b64 s[0:1], 0x201
	v_mov_b32_e32 v8, 0
	v_cmp_gt_u64_e64 s[0:1], s[0:1], v[14:15]
	v_mov_b32_e32 v9, 0x7ff80000
	s_and_saveexec_b64 s[14:15], s[0:1]
	s_cbranch_execz .LBB18_115
; %bb.112:
	v_mov_b32_e32 v16, 0
	s_mov_b64 s[18:19], 1
	s_mov_b64 s[16:17], 0
	v_mov_b32_e32 v17, 0x3ff00000
	v_pk_mov_b32 v[8:9], v[12:13], v[12:13] op_sel:[0,1]
.LBB18_113:                             ; =>This Inner Loop Header: Depth=1
	v_cvt_f64_u32_e32 v[18:19], s19
	v_cvt_f64_u32_e32 v[20:21], s18
	s_add_u32 s18, s18, 1
	v_ldexp_f64 v[18:19], v[18:19], 32
	s_addc_u32 s19, s19, 0
	v_add_f64 v[18:19], v[18:19], v[20:21]
	v_cmp_eq_u64_e64 s[0:1], s[18:19], v[14:15]
	v_mul_f64 v[18:19], v[16:17], v[18:19]
	s_or_b64 s[16:17], s[0:1], s[16:17]
	v_pk_mov_b32 v[16:17], v[8:9], v[8:9] op_sel:[0,1]
	v_fma_f64 v[8:9], v[12:13], v[8:9], -v[18:19]
	s_andn2_b64 exec, exec, s[16:17]
	s_cbranch_execnz .LBB18_113
; %bb.114:
	s_or_b64 exec, exec, s[16:17]
.LBB18_115:
	s_or_b64 exec, exec, s[14:15]
                                        ; implicit-def: $vgpr12_vgpr13
.LBB18_116:
	s_andn2_saveexec_b64 s[0:1], s[12:13]
; %bb.117:
	v_pk_mov_b32 v[8:9], v[12:13], v[12:13] op_sel:[0,1]
; %bb.118:
	s_or_b64 exec, exec, s[0:1]
.LBB18_119:
	s_or_b64 exec, exec, s[10:11]
.LBB18_120:
	s_or_b64 exec, exec, s[6:7]
	s_or_b64 exec, exec, s[4:5]
	s_and_saveexec_b64 s[0:1], vcc
	s_xor_b64 s[0:1], exec, s[0:1]
	s_cbranch_execz .LBB18_103
.LBB18_121:
	v_mov_b32_e32 v11, 0
	v_lshlrev_b64 v[10:11], 3, v[10:11]
	v_mov_b32_e32 v0, s9
	v_add_co_u32_e32 v10, vcc, s8, v10
	v_addc_co_u32_e32 v11, vcc, v0, v11, vcc
	v_mov_b32_e32 v0, v1
	global_store_dwordx2 v[10:11], v[2:3], off
	s_or_b64 exec, exec, s[0:1]
	v_cmp_gt_i32_e32 vcc, s22, v0
	s_and_saveexec_b64 s[0:1], vcc
	s_cbranch_execz .LBB18_104
.LBB18_122:
	v_add_u32_e32 v2, s2, v0
	v_mov_b32_e32 v3, 0
	v_lshlrev_b64 v[2:3], 3, v[2:3]
	v_mov_b32_e32 v1, s9
	v_add_co_u32_e32 v2, vcc, s8, v2
	v_addc_co_u32_e32 v3, vcc, v1, v3, vcc
	v_add_u32_e32 v0, 0x100, v0
	global_store_dwordx2 v[2:3], v[4:5], off
	s_or_b64 exec, exec, s[0:1]
	v_cmp_gt_i32_e32 vcc, s22, v0
	s_and_saveexec_b64 s[0:1], vcc
	s_cbranch_execz .LBB18_105
.LBB18_123:
	v_add_u32_e32 v2, s2, v0
	v_mov_b32_e32 v3, 0
	v_lshlrev_b64 v[2:3], 3, v[2:3]
	v_mov_b32_e32 v1, s9
	v_add_co_u32_e32 v2, vcc, s8, v2
	v_addc_co_u32_e32 v3, vcc, v1, v3, vcc
	v_add_u32_e32 v0, 0x100, v0
	global_store_dwordx2 v[2:3], v[6:7], off
	s_or_b64 exec, exec, s[0:1]
	v_cmp_gt_i32_e32 vcc, s22, v0
	s_and_saveexec_b64 s[0:1], vcc
	s_cbranch_execnz .LBB18_106
	s_branch .LBB18_107
	.section	.rodata,"a",@progbits
	.p2align	6, 0x0
	.amdhsa_kernel _ZN2at6native29vectorized_elementwise_kernelILi4ENS0_13BinaryFunctorIdddZZZNS0_12_GLOBAL__N_133hermite_polynomial_he_kernel_cudaERNS_18TensorIteratorBaseEENKUlvE_clEvENKUlvE_clEvEUlddE_EESt5arrayIPcLm3EEEEviT0_T1_
		.amdhsa_group_segment_fixed_size 0
		.amdhsa_private_segment_fixed_size 0
		.amdhsa_kernarg_size 32
		.amdhsa_user_sgpr_count 6
		.amdhsa_user_sgpr_private_segment_buffer 1
		.amdhsa_user_sgpr_dispatch_ptr 0
		.amdhsa_user_sgpr_queue_ptr 0
		.amdhsa_user_sgpr_kernarg_segment_ptr 1
		.amdhsa_user_sgpr_dispatch_id 0
		.amdhsa_user_sgpr_flat_scratch_init 0
		.amdhsa_user_sgpr_kernarg_preload_length 0
		.amdhsa_user_sgpr_kernarg_preload_offset 0
		.amdhsa_user_sgpr_private_segment_size 0
		.amdhsa_uses_dynamic_stack 0
		.amdhsa_system_sgpr_private_segment_wavefront_offset 0
		.amdhsa_system_sgpr_workgroup_id_x 1
		.amdhsa_system_sgpr_workgroup_id_y 0
		.amdhsa_system_sgpr_workgroup_id_z 0
		.amdhsa_system_sgpr_workgroup_info 0
		.amdhsa_system_vgpr_workitem_id 0
		.amdhsa_next_free_vgpr 30
		.amdhsa_next_free_sgpr 23
		.amdhsa_accum_offset 32
		.amdhsa_reserve_vcc 1
		.amdhsa_reserve_flat_scratch 0
		.amdhsa_float_round_mode_32 0
		.amdhsa_float_round_mode_16_64 0
		.amdhsa_float_denorm_mode_32 3
		.amdhsa_float_denorm_mode_16_64 3
		.amdhsa_dx10_clamp 1
		.amdhsa_ieee_mode 1
		.amdhsa_fp16_overflow 0
		.amdhsa_tg_split 0
		.amdhsa_exception_fp_ieee_invalid_op 0
		.amdhsa_exception_fp_denorm_src 0
		.amdhsa_exception_fp_ieee_div_zero 0
		.amdhsa_exception_fp_ieee_overflow 0
		.amdhsa_exception_fp_ieee_underflow 0
		.amdhsa_exception_fp_ieee_inexact 0
		.amdhsa_exception_int_div_zero 0
	.end_amdhsa_kernel
	.section	.text._ZN2at6native29vectorized_elementwise_kernelILi4ENS0_13BinaryFunctorIdddZZZNS0_12_GLOBAL__N_133hermite_polynomial_he_kernel_cudaERNS_18TensorIteratorBaseEENKUlvE_clEvENKUlvE_clEvEUlddE_EESt5arrayIPcLm3EEEEviT0_T1_,"axG",@progbits,_ZN2at6native29vectorized_elementwise_kernelILi4ENS0_13BinaryFunctorIdddZZZNS0_12_GLOBAL__N_133hermite_polynomial_he_kernel_cudaERNS_18TensorIteratorBaseEENKUlvE_clEvENKUlvE_clEvEUlddE_EESt5arrayIPcLm3EEEEviT0_T1_,comdat
.Lfunc_end18:
	.size	_ZN2at6native29vectorized_elementwise_kernelILi4ENS0_13BinaryFunctorIdddZZZNS0_12_GLOBAL__N_133hermite_polynomial_he_kernel_cudaERNS_18TensorIteratorBaseEENKUlvE_clEvENKUlvE_clEvEUlddE_EESt5arrayIPcLm3EEEEviT0_T1_, .Lfunc_end18-_ZN2at6native29vectorized_elementwise_kernelILi4ENS0_13BinaryFunctorIdddZZZNS0_12_GLOBAL__N_133hermite_polynomial_he_kernel_cudaERNS_18TensorIteratorBaseEENKUlvE_clEvENKUlvE_clEvEUlddE_EESt5arrayIPcLm3EEEEviT0_T1_
                                        ; -- End function
	.section	.AMDGPU.csdata,"",@progbits
; Kernel info:
; codeLenInByte = 3184
; NumSgprs: 27
; NumVgprs: 30
; NumAgprs: 0
; TotalNumVgprs: 30
; ScratchSize: 0
; MemoryBound: 0
; FloatMode: 240
; IeeeMode: 1
; LDSByteSize: 0 bytes/workgroup (compile time only)
; SGPRBlocks: 3
; VGPRBlocks: 3
; NumSGPRsForWavesPerEU: 27
; NumVGPRsForWavesPerEU: 30
; AccumOffset: 32
; Occupancy: 8
; WaveLimiterHint : 0
; COMPUTE_PGM_RSRC2:SCRATCH_EN: 0
; COMPUTE_PGM_RSRC2:USER_SGPR: 6
; COMPUTE_PGM_RSRC2:TRAP_HANDLER: 0
; COMPUTE_PGM_RSRC2:TGID_X_EN: 1
; COMPUTE_PGM_RSRC2:TGID_Y_EN: 0
; COMPUTE_PGM_RSRC2:TGID_Z_EN: 0
; COMPUTE_PGM_RSRC2:TIDIG_COMP_CNT: 0
; COMPUTE_PGM_RSRC3_GFX90A:ACCUM_OFFSET: 7
; COMPUTE_PGM_RSRC3_GFX90A:TG_SPLIT: 0
	.section	.text._ZN2at6native29vectorized_elementwise_kernelILi2ENS0_13BinaryFunctorIdddZZZNS0_12_GLOBAL__N_133hermite_polynomial_he_kernel_cudaERNS_18TensorIteratorBaseEENKUlvE_clEvENKUlvE_clEvEUlddE_EESt5arrayIPcLm3EEEEviT0_T1_,"axG",@progbits,_ZN2at6native29vectorized_elementwise_kernelILi2ENS0_13BinaryFunctorIdddZZZNS0_12_GLOBAL__N_133hermite_polynomial_he_kernel_cudaERNS_18TensorIteratorBaseEENKUlvE_clEvENKUlvE_clEvEUlddE_EESt5arrayIPcLm3EEEEviT0_T1_,comdat
	.globl	_ZN2at6native29vectorized_elementwise_kernelILi2ENS0_13BinaryFunctorIdddZZZNS0_12_GLOBAL__N_133hermite_polynomial_he_kernel_cudaERNS_18TensorIteratorBaseEENKUlvE_clEvENKUlvE_clEvEUlddE_EESt5arrayIPcLm3EEEEviT0_T1_ ; -- Begin function _ZN2at6native29vectorized_elementwise_kernelILi2ENS0_13BinaryFunctorIdddZZZNS0_12_GLOBAL__N_133hermite_polynomial_he_kernel_cudaERNS_18TensorIteratorBaseEENKUlvE_clEvENKUlvE_clEvEUlddE_EESt5arrayIPcLm3EEEEviT0_T1_
	.p2align	8
	.type	_ZN2at6native29vectorized_elementwise_kernelILi2ENS0_13BinaryFunctorIdddZZZNS0_12_GLOBAL__N_133hermite_polynomial_he_kernel_cudaERNS_18TensorIteratorBaseEENKUlvE_clEvENKUlvE_clEvEUlddE_EESt5arrayIPcLm3EEEEviT0_T1_,@function
_ZN2at6native29vectorized_elementwise_kernelILi2ENS0_13BinaryFunctorIdddZZZNS0_12_GLOBAL__N_133hermite_polynomial_he_kernel_cudaERNS_18TensorIteratorBaseEENKUlvE_clEvENKUlvE_clEvEUlddE_EESt5arrayIPcLm3EEEEviT0_T1_: ; @_ZN2at6native29vectorized_elementwise_kernelILi2ENS0_13BinaryFunctorIdddZZZNS0_12_GLOBAL__N_133hermite_polynomial_he_kernel_cudaERNS_18TensorIteratorBaseEENKUlvE_clEvENKUlvE_clEvEUlddE_EESt5arrayIPcLm3EEEEviT0_T1_
; %bb.0:
	s_load_dword s0, s[4:5], 0x0
	s_load_dwordx4 s[8:11], s[4:5], 0x8
	s_load_dwordx2 s[12:13], s[4:5], 0x18
	s_lshl_b32 s2, s6, 10
	s_waitcnt lgkmcnt(0)
	s_sub_i32 s22, s0, s2
	s_cmpk_gt_i32 s22, 0x3ff
	s_mov_b64 s[0:1], -1
	s_cbranch_scc0 .LBB19_50
; %bb.1:
	s_ashr_i32 s3, s2, 31
	s_lshl_b64 s[0:1], s[2:3], 3
	s_add_u32 s4, s10, s0
	s_addc_u32 s5, s11, s1
	v_lshlrev_b32_e32 v1, 4, v0
	v_mov_b32_e32 v2, s5
	v_add_co_u32_e32 v3, vcc, s4, v1
	v_addc_co_u32_e32 v4, vcc, 0, v2, vcc
	v_add_co_u32_e32 v2, vcc, 0x1000, v3
	v_addc_co_u32_e32 v3, vcc, 0, v4, vcc
	s_add_u32 s6, s12, s0
	global_load_dwordx4 v[2:5], v[2:3], off
	s_addc_u32 s7, s13, s1
	global_load_dwordx4 v[14:17], v1, s[4:5]
	global_load_dwordx4 v[6:9], v1, s[6:7]
	v_mov_b32_e32 v10, s7
	v_add_co_u32_e32 v11, vcc, s6, v1
	s_movk_i32 s3, 0x1000
	v_addc_co_u32_e32 v12, vcc, 0, v10, vcc
	v_add_co_u32_e32 v10, vcc, s3, v11
	v_addc_co_u32_e32 v11, vcc, 0, v12, vcc
	global_load_dwordx4 v[10:13], v[10:11], off
	s_movk_i32 s3, 0xffe0
	s_waitcnt vmcnt(1)
	v_trunc_f64_e32 v[6:7], v[6:7]
	v_ldexp_f64 v[18:19], v[6:7], s3
	v_floor_f64_e32 v[18:19], v[18:19]
	v_fmac_f64_e32 v[6:7], 0xc1f00000, v[18:19]
	v_cvt_i32_f64_e32 v19, v[18:19]
	v_cvt_u32_f64_e32 v18, v[6:7]
	v_cmp_lt_i64_e32 vcc, -1, v[18:19]
	v_pk_mov_b32 v[6:7], 0, 0
	s_and_saveexec_b64 s[4:5], vcc
	s_cbranch_execz .LBB19_13
; %bb.2:
	v_mov_b32_e32 v6, 0
	v_cmp_lt_i64_e32 vcc, 0, v[18:19]
	v_mov_b32_e32 v7, 0x3ff00000
	s_and_saveexec_b64 s[6:7], vcc
	s_cbranch_execz .LBB19_12
; %bb.3:
	v_cmp_ne_u64_e32 vcc, 1, v[18:19]
                                        ; implicit-def: $vgpr6_vgpr7
	s_and_saveexec_b64 s[14:15], vcc
	s_xor_b64 s[14:15], exec, s[14:15]
	s_cbranch_execz .LBB19_9
; %bb.4:
	s_mov_b64 s[16:17], 0x201
	v_mov_b32_e32 v6, 0
	v_cmp_gt_u64_e32 vcc, s[16:17], v[18:19]
	v_mov_b32_e32 v7, 0x7ff80000
	s_and_saveexec_b64 s[16:17], vcc
	s_cbranch_execz .LBB19_8
; %bb.5:
	v_mov_b32_e32 v20, 0
	s_mov_b64 s[20:21], 1
	s_mov_b64 s[18:19], 0
	v_mov_b32_e32 v21, 0x3ff00000
	v_pk_mov_b32 v[6:7], v[14:15], v[14:15] op_sel:[0,1]
.LBB19_6:                               ; =>This Inner Loop Header: Depth=1
	v_cvt_f64_u32_e32 v[22:23], s21
	v_cvt_f64_u32_e32 v[24:25], s20
	s_add_u32 s20, s20, 1
	v_ldexp_f64 v[22:23], v[22:23], 32
	s_addc_u32 s21, s21, 0
	v_add_f64 v[22:23], v[22:23], v[24:25]
	v_cmp_eq_u64_e32 vcc, s[20:21], v[18:19]
	v_mul_f64 v[22:23], v[20:21], v[22:23]
	s_or_b64 s[18:19], vcc, s[18:19]
	v_pk_mov_b32 v[20:21], v[6:7], v[6:7] op_sel:[0,1]
	v_fma_f64 v[6:7], v[14:15], v[6:7], -v[22:23]
	s_andn2_b64 exec, exec, s[18:19]
	s_cbranch_execnz .LBB19_6
; %bb.7:
	s_or_b64 exec, exec, s[18:19]
.LBB19_8:
	s_or_b64 exec, exec, s[16:17]
.LBB19_9:
	s_andn2_saveexec_b64 s[14:15], s[14:15]
; %bb.10:
	v_pk_mov_b32 v[6:7], v[14:15], v[14:15] op_sel:[0,1]
; %bb.11:
	s_or_b64 exec, exec, s[14:15]
.LBB19_12:
	s_or_b64 exec, exec, s[6:7]
.LBB19_13:
	s_or_b64 exec, exec, s[4:5]
	v_trunc_f64_e32 v[8:9], v[8:9]
	s_movk_i32 s3, 0xffe0
	v_ldexp_f64 v[14:15], v[8:9], s3
	v_floor_f64_e32 v[18:19], v[14:15]
	v_fmac_f64_e32 v[8:9], 0xc1f00000, v[18:19]
	v_cvt_u32_f64_e32 v14, v[8:9]
	v_cvt_i32_f64_e32 v15, v[18:19]
	v_cmp_lt_i64_e32 vcc, -1, v[14:15]
	v_pk_mov_b32 v[8:9], 0, 0
	s_and_saveexec_b64 s[4:5], vcc
	s_cbranch_execz .LBB19_25
; %bb.14:
	v_mov_b32_e32 v8, 0
	v_cmp_lt_i64_e32 vcc, 0, v[14:15]
	v_mov_b32_e32 v9, 0x3ff00000
	s_and_saveexec_b64 s[6:7], vcc
	s_cbranch_execz .LBB19_24
; %bb.15:
	v_cmp_ne_u64_e32 vcc, 1, v[14:15]
	s_and_saveexec_b64 s[14:15], vcc
	s_xor_b64 s[14:15], exec, s[14:15]
	s_cbranch_execz .LBB19_21
; %bb.16:
	s_mov_b64 s[16:17], 0x201
	v_mov_b32_e32 v8, 0
	v_cmp_gt_u64_e32 vcc, s[16:17], v[14:15]
	v_mov_b32_e32 v9, 0x7ff80000
	s_and_saveexec_b64 s[16:17], vcc
	s_cbranch_execz .LBB19_20
; %bb.17:
	v_mov_b32_e32 v18, 0
	s_mov_b64 s[20:21], 1
	s_mov_b64 s[18:19], 0
	v_mov_b32_e32 v19, 0x3ff00000
	v_pk_mov_b32 v[8:9], v[16:17], v[16:17] op_sel:[0,1]
.LBB19_18:                              ; =>This Inner Loop Header: Depth=1
	v_cvt_f64_u32_e32 v[20:21], s21
	v_cvt_f64_u32_e32 v[22:23], s20
	s_add_u32 s20, s20, 1
	v_ldexp_f64 v[20:21], v[20:21], 32
	s_addc_u32 s21, s21, 0
	v_add_f64 v[20:21], v[20:21], v[22:23]
	v_cmp_eq_u64_e32 vcc, s[20:21], v[14:15]
	v_mul_f64 v[20:21], v[18:19], v[20:21]
	s_or_b64 s[18:19], vcc, s[18:19]
	v_pk_mov_b32 v[18:19], v[8:9], v[8:9] op_sel:[0,1]
	v_fma_f64 v[8:9], v[16:17], v[8:9], -v[20:21]
	s_andn2_b64 exec, exec, s[18:19]
	s_cbranch_execnz .LBB19_18
; %bb.19:
	s_or_b64 exec, exec, s[18:19]
.LBB19_20:
	s_or_b64 exec, exec, s[16:17]
                                        ; implicit-def: $vgpr16_vgpr17
.LBB19_21:
	s_andn2_saveexec_b64 s[14:15], s[14:15]
; %bb.22:
	v_pk_mov_b32 v[8:9], v[16:17], v[16:17] op_sel:[0,1]
; %bb.23:
	s_or_b64 exec, exec, s[14:15]
.LBB19_24:
	s_or_b64 exec, exec, s[6:7]
.LBB19_25:
	s_or_b64 exec, exec, s[4:5]
	s_waitcnt vmcnt(0)
	v_trunc_f64_e32 v[10:11], v[10:11]
	s_movk_i32 s3, 0xffe0
	v_ldexp_f64 v[14:15], v[10:11], s3
	v_floor_f64_e32 v[16:17], v[14:15]
	v_fmac_f64_e32 v[10:11], 0xc1f00000, v[16:17]
	v_cvt_u32_f64_e32 v14, v[10:11]
	v_cvt_i32_f64_e32 v15, v[16:17]
	v_cmp_lt_i64_e32 vcc, -1, v[14:15]
	v_pk_mov_b32 v[10:11], 0, 0
	s_and_saveexec_b64 s[4:5], vcc
	s_cbranch_execz .LBB19_37
; %bb.26:
	v_mov_b32_e32 v10, 0
	v_cmp_lt_i64_e32 vcc, 0, v[14:15]
	v_mov_b32_e32 v11, 0x3ff00000
	s_and_saveexec_b64 s[6:7], vcc
	s_cbranch_execz .LBB19_36
; %bb.27:
	v_cmp_ne_u64_e32 vcc, 1, v[14:15]
                                        ; implicit-def: $vgpr10_vgpr11
	s_and_saveexec_b64 s[14:15], vcc
	s_xor_b64 s[14:15], exec, s[14:15]
	s_cbranch_execz .LBB19_33
; %bb.28:
	s_mov_b64 s[16:17], 0x201
	v_mov_b32_e32 v10, 0
	v_cmp_gt_u64_e32 vcc, s[16:17], v[14:15]
	v_mov_b32_e32 v11, 0x7ff80000
	s_and_saveexec_b64 s[16:17], vcc
	s_cbranch_execz .LBB19_32
; %bb.29:
	v_mov_b32_e32 v16, 0
	s_mov_b64 s[20:21], 1
	s_mov_b64 s[18:19], 0
	v_mov_b32_e32 v17, 0x3ff00000
	v_pk_mov_b32 v[10:11], v[2:3], v[2:3] op_sel:[0,1]
.LBB19_30:                              ; =>This Inner Loop Header: Depth=1
	v_cvt_f64_u32_e32 v[18:19], s21
	v_cvt_f64_u32_e32 v[20:21], s20
	s_add_u32 s20, s20, 1
	v_ldexp_f64 v[18:19], v[18:19], 32
	s_addc_u32 s21, s21, 0
	v_add_f64 v[18:19], v[18:19], v[20:21]
	v_cmp_eq_u64_e32 vcc, s[20:21], v[14:15]
	v_mul_f64 v[18:19], v[16:17], v[18:19]
	s_or_b64 s[18:19], vcc, s[18:19]
	v_pk_mov_b32 v[16:17], v[10:11], v[10:11] op_sel:[0,1]
	v_fma_f64 v[10:11], v[2:3], v[10:11], -v[18:19]
	s_andn2_b64 exec, exec, s[18:19]
	s_cbranch_execnz .LBB19_30
; %bb.31:
	s_or_b64 exec, exec, s[18:19]
.LBB19_32:
	s_or_b64 exec, exec, s[16:17]
.LBB19_33:
	s_andn2_saveexec_b64 s[14:15], s[14:15]
; %bb.34:
	v_pk_mov_b32 v[10:11], v[2:3], v[2:3] op_sel:[0,1]
; %bb.35:
	s_or_b64 exec, exec, s[14:15]
.LBB19_36:
	s_or_b64 exec, exec, s[6:7]
.LBB19_37:
	s_or_b64 exec, exec, s[4:5]
	v_trunc_f64_e32 v[2:3], v[12:13]
	s_movk_i32 s3, 0xffe0
	v_ldexp_f64 v[12:13], v[2:3], s3
	v_floor_f64_e32 v[12:13], v[12:13]
	v_fmac_f64_e32 v[2:3], 0xc1f00000, v[12:13]
	v_cvt_u32_f64_e32 v2, v[2:3]
	v_cvt_i32_f64_e32 v3, v[12:13]
	v_cmp_lt_i64_e32 vcc, -1, v[2:3]
	v_pk_mov_b32 v[12:13], 0, 0
	s_and_saveexec_b64 s[4:5], vcc
	s_cbranch_execz .LBB19_49
; %bb.38:
	v_mov_b32_e32 v12, 0
	v_cmp_lt_i64_e32 vcc, 0, v[2:3]
	v_mov_b32_e32 v13, 0x3ff00000
	s_and_saveexec_b64 s[6:7], vcc
	s_cbranch_execz .LBB19_48
; %bb.39:
	v_cmp_ne_u64_e32 vcc, 1, v[2:3]
	s_and_saveexec_b64 s[14:15], vcc
	s_xor_b64 s[14:15], exec, s[14:15]
	s_cbranch_execz .LBB19_45
; %bb.40:
	s_mov_b64 s[16:17], 0x201
	v_mov_b32_e32 v12, 0
	v_cmp_gt_u64_e32 vcc, s[16:17], v[2:3]
	v_mov_b32_e32 v13, 0x7ff80000
	s_and_saveexec_b64 s[16:17], vcc
	s_cbranch_execz .LBB19_44
; %bb.41:
	v_mov_b32_e32 v14, 0
	s_mov_b64 s[20:21], 1
	s_mov_b64 s[18:19], 0
	v_mov_b32_e32 v15, 0x3ff00000
	v_pk_mov_b32 v[12:13], v[4:5], v[4:5] op_sel:[0,1]
.LBB19_42:                              ; =>This Inner Loop Header: Depth=1
	v_cvt_f64_u32_e32 v[16:17], s21
	v_cvt_f64_u32_e32 v[18:19], s20
	s_add_u32 s20, s20, 1
	v_ldexp_f64 v[16:17], v[16:17], 32
	s_addc_u32 s21, s21, 0
	v_add_f64 v[16:17], v[16:17], v[18:19]
	v_cmp_eq_u64_e32 vcc, s[20:21], v[2:3]
	v_mul_f64 v[16:17], v[14:15], v[16:17]
	s_or_b64 s[18:19], vcc, s[18:19]
	v_pk_mov_b32 v[14:15], v[12:13], v[12:13] op_sel:[0,1]
	v_fma_f64 v[12:13], v[4:5], v[12:13], -v[16:17]
	s_andn2_b64 exec, exec, s[18:19]
	s_cbranch_execnz .LBB19_42
; %bb.43:
	s_or_b64 exec, exec, s[18:19]
.LBB19_44:
	s_or_b64 exec, exec, s[16:17]
                                        ; implicit-def: $vgpr4_vgpr5
.LBB19_45:
	s_andn2_saveexec_b64 s[14:15], s[14:15]
; %bb.46:
	v_pk_mov_b32 v[12:13], v[4:5], v[4:5] op_sel:[0,1]
; %bb.47:
	s_or_b64 exec, exec, s[14:15]
.LBB19_48:
	s_or_b64 exec, exec, s[6:7]
.LBB19_49:
	s_or_b64 exec, exec, s[4:5]
	s_add_u32 s0, s8, s0
	s_addc_u32 s1, s9, s1
	v_mov_b32_e32 v2, s1
	v_add_co_u32_e32 v3, vcc, s0, v1
	v_addc_co_u32_e32 v4, vcc, 0, v2, vcc
	v_add_co_u32_e32 v2, vcc, 0x1000, v3
	global_store_dwordx4 v1, v[6:9], s[0:1]
	v_addc_co_u32_e32 v3, vcc, 0, v4, vcc
	s_mov_b64 s[0:1], 0
	global_store_dwordx4 v[2:3], v[10:13], off
.LBB19_50:
	s_and_b64 vcc, exec, s[0:1]
	s_cbranch_vccz .LBB19_107
; %bb.51:
	v_pk_mov_b32 v[18:19], 0, 0
	v_cmp_gt_i32_e32 vcc, s22, v0
	v_or_b32_e32 v10, s2, v0
	v_pk_mov_b32 v[24:25], v[18:19], v[18:19] op_sel:[0,1]
	v_pk_mov_b32 v[26:27], v[18:19], v[18:19] op_sel:[0,1]
	v_mov_b32_e32 v1, v0
	s_and_saveexec_b64 s[4:5], vcc
	s_cbranch_execz .LBB19_53
; %bb.52:
	v_mov_b32_e32 v11, 0
	v_lshlrev_b64 v[2:3], 3, v[10:11]
	v_mov_b32_e32 v1, s13
	v_add_co_u32_e64 v4, s[0:1], s12, v2
	v_addc_co_u32_e64 v5, s[0:1], v1, v3, s[0:1]
	v_mov_b32_e32 v1, s11
	v_add_co_u32_e64 v2, s[0:1], s10, v2
	v_addc_co_u32_e64 v3, s[0:1], v1, v3, s[0:1]
	global_load_dwordx2 v[24:25], v[2:3], off
	global_load_dwordx2 v[26:27], v[4:5], off
	v_or_b32_e32 v1, 0x100, v0
.LBB19_53:
	s_or_b64 exec, exec, s[4:5]
	v_cmp_gt_i32_e64 s[0:1], s22, v1
	v_pk_mov_b32 v[22:23], v[18:19], v[18:19] op_sel:[0,1]
	s_and_saveexec_b64 s[4:5], s[0:1]
	s_cbranch_execz .LBB19_55
; %bb.54:
	v_add_u32_e32 v2, s2, v1
	v_mov_b32_e32 v3, 0
	v_lshlrev_b64 v[2:3], 3, v[2:3]
	v_mov_b32_e32 v5, s13
	v_add_co_u32_e64 v4, s[0:1], s12, v2
	v_addc_co_u32_e64 v5, s[0:1], v5, v3, s[0:1]
	v_mov_b32_e32 v6, s11
	v_add_co_u32_e64 v2, s[0:1], s10, v2
	v_addc_co_u32_e64 v3, s[0:1], v6, v3, s[0:1]
	global_load_dwordx2 v[18:19], v[2:3], off
	global_load_dwordx2 v[22:23], v[4:5], off
	v_add_u32_e32 v1, 0x100, v1
.LBB19_55:
	s_or_b64 exec, exec, s[4:5]
	v_pk_mov_b32 v[12:13], 0, 0
	v_cmp_gt_i32_e64 s[0:1], s22, v1
	v_pk_mov_b32 v[16:17], v[12:13], v[12:13] op_sel:[0,1]
	v_pk_mov_b32 v[20:21], v[12:13], v[12:13] op_sel:[0,1]
	s_and_saveexec_b64 s[4:5], s[0:1]
	s_cbranch_execz .LBB19_57
; %bb.56:
	v_add_u32_e32 v2, s2, v1
	v_mov_b32_e32 v3, 0
	v_lshlrev_b64 v[2:3], 3, v[2:3]
	v_mov_b32_e32 v5, s13
	v_add_co_u32_e64 v4, s[0:1], s12, v2
	v_addc_co_u32_e64 v5, s[0:1], v5, v3, s[0:1]
	v_mov_b32_e32 v6, s11
	v_add_co_u32_e64 v2, s[0:1], s10, v2
	v_addc_co_u32_e64 v3, s[0:1], v6, v3, s[0:1]
	global_load_dwordx2 v[16:17], v[2:3], off
	global_load_dwordx2 v[20:21], v[4:5], off
	v_add_u32_e32 v1, 0x100, v1
.LBB19_57:
	s_or_b64 exec, exec, s[4:5]
	v_cmp_gt_i32_e64 s[0:1], s22, v1
	v_pk_mov_b32 v[14:15], v[12:13], v[12:13] op_sel:[0,1]
	s_and_saveexec_b64 s[4:5], s[0:1]
	s_cbranch_execz .LBB19_59
; %bb.58:
	v_add_u32_e32 v2, s2, v1
	v_mov_b32_e32 v3, 0
	v_lshlrev_b64 v[2:3], 3, v[2:3]
	v_mov_b32_e32 v1, s13
	v_add_co_u32_e64 v4, s[0:1], s12, v2
	v_addc_co_u32_e64 v5, s[0:1], v1, v3, s[0:1]
	v_mov_b32_e32 v1, s11
	v_add_co_u32_e64 v2, s[0:1], s10, v2
	v_addc_co_u32_e64 v3, s[0:1], v1, v3, s[0:1]
	global_load_dwordx2 v[12:13], v[2:3], off
	global_load_dwordx2 v[14:15], v[4:5], off
.LBB19_59:
	s_or_b64 exec, exec, s[4:5]
                                        ; implicit-def: $vgpr2_vgpr3_vgpr4_vgpr5_vgpr6_vgpr7_vgpr8_vgpr9
	s_and_saveexec_b64 s[4:5], vcc
	s_cbranch_execz .LBB19_73
; %bb.60:
	s_waitcnt vmcnt(0)
	v_trunc_f64_e32 v[2:3], v[26:27]
	s_movk_i32 s0, 0xffe0
	v_ldexp_f64 v[4:5], v[2:3], s0
	v_floor_f64_e32 v[6:7], v[4:5]
	v_fmac_f64_e32 v[2:3], 0xc1f00000, v[6:7]
	v_cvt_i32_f64_e32 v5, v[6:7]
	v_cvt_u32_f64_e32 v4, v[2:3]
	v_cmp_lt_i64_e64 s[0:1], -1, v[4:5]
	v_pk_mov_b32 v[2:3], 0, 0
	s_and_saveexec_b64 s[6:7], s[0:1]
	s_cbranch_execz .LBB19_72
; %bb.61:
	v_mov_b32_e32 v2, 0
	v_cmp_lt_i64_e64 s[0:1], 0, v[4:5]
	v_mov_b32_e32 v3, 0x3ff00000
	s_and_saveexec_b64 s[10:11], s[0:1]
	s_cbranch_execz .LBB19_71
; %bb.62:
	v_cmp_ne_u64_e64 s[0:1], 1, v[4:5]
                                        ; implicit-def: $vgpr2_vgpr3
	s_and_saveexec_b64 s[12:13], s[0:1]
	s_xor_b64 s[12:13], exec, s[12:13]
	s_cbranch_execz .LBB19_68
; %bb.63:
	s_mov_b64 s[0:1], 0x201
	v_mov_b32_e32 v2, 0
	v_cmp_gt_u64_e64 s[0:1], s[0:1], v[4:5]
	v_mov_b32_e32 v3, 0x7ff80000
	s_and_saveexec_b64 s[14:15], s[0:1]
	s_cbranch_execz .LBB19_67
; %bb.64:
	v_mov_b32_e32 v6, 0
	s_mov_b64 s[18:19], 1
	s_mov_b64 s[16:17], 0
	v_mov_b32_e32 v7, 0x3ff00000
	v_pk_mov_b32 v[2:3], v[24:25], v[24:25] op_sel:[0,1]
.LBB19_65:                              ; =>This Inner Loop Header: Depth=1
	v_cvt_f64_u32_e32 v[8:9], s19
	v_cvt_f64_u32_e32 v[26:27], s18
	s_add_u32 s18, s18, 1
	v_ldexp_f64 v[8:9], v[8:9], 32
	s_addc_u32 s19, s19, 0
	v_add_f64 v[8:9], v[8:9], v[26:27]
	v_cmp_eq_u64_e64 s[0:1], s[18:19], v[4:5]
	v_mul_f64 v[8:9], v[6:7], v[8:9]
	s_or_b64 s[16:17], s[0:1], s[16:17]
	v_pk_mov_b32 v[6:7], v[2:3], v[2:3] op_sel:[0,1]
	v_fma_f64 v[2:3], v[24:25], v[2:3], -v[8:9]
	s_andn2_b64 exec, exec, s[16:17]
	s_cbranch_execnz .LBB19_65
; %bb.66:
	s_or_b64 exec, exec, s[16:17]
.LBB19_67:
	s_or_b64 exec, exec, s[14:15]
                                        ; implicit-def: $vgpr24_vgpr25
.LBB19_68:
	s_andn2_saveexec_b64 s[0:1], s[12:13]
; %bb.69:
	v_pk_mov_b32 v[2:3], v[24:25], v[24:25] op_sel:[0,1]
; %bb.70:
	s_or_b64 exec, exec, s[0:1]
.LBB19_71:
	s_or_b64 exec, exec, s[10:11]
.LBB19_72:
	s_or_b64 exec, exec, s[6:7]
.LBB19_73:
	s_or_b64 exec, exec, s[4:5]
	v_or_b32_e32 v1, 0x100, v0
	v_cmp_gt_i32_e64 s[0:1], s22, v1
	s_and_saveexec_b64 s[4:5], s[0:1]
	s_cbranch_execz .LBB19_87
; %bb.74:
	s_waitcnt vmcnt(0)
	v_trunc_f64_e32 v[4:5], v[22:23]
	s_movk_i32 s0, 0xffe0
	v_ldexp_f64 v[22:23], v[4:5], s0
	v_floor_f64_e32 v[24:25], v[22:23]
	v_fmac_f64_e32 v[4:5], 0xc1f00000, v[24:25]
	v_cvt_i32_f64_e32 v23, v[24:25]
	v_cvt_u32_f64_e32 v22, v[4:5]
	v_cmp_lt_i64_e64 s[0:1], -1, v[22:23]
	v_pk_mov_b32 v[4:5], 0, 0
	s_and_saveexec_b64 s[6:7], s[0:1]
	s_cbranch_execz .LBB19_86
; %bb.75:
	v_mov_b32_e32 v4, 0
	v_cmp_lt_i64_e64 s[0:1], 0, v[22:23]
	v_mov_b32_e32 v5, 0x3ff00000
	s_and_saveexec_b64 s[10:11], s[0:1]
	s_cbranch_execz .LBB19_85
; %bb.76:
	v_cmp_ne_u64_e64 s[0:1], 1, v[22:23]
	s_and_saveexec_b64 s[12:13], s[0:1]
	s_xor_b64 s[12:13], exec, s[12:13]
	s_cbranch_execz .LBB19_82
; %bb.77:
	s_mov_b64 s[0:1], 0x201
	v_mov_b32_e32 v4, 0
	v_cmp_gt_u64_e64 s[0:1], s[0:1], v[22:23]
	v_mov_b32_e32 v5, 0x7ff80000
	s_and_saveexec_b64 s[14:15], s[0:1]
	s_cbranch_execz .LBB19_81
; %bb.78:
	v_mov_b32_e32 v24, 0
	s_mov_b64 s[18:19], 1
	s_mov_b64 s[16:17], 0
	v_mov_b32_e32 v25, 0x3ff00000
	v_pk_mov_b32 v[4:5], v[18:19], v[18:19] op_sel:[0,1]
.LBB19_79:                              ; =>This Inner Loop Header: Depth=1
	v_cvt_f64_u32_e32 v[26:27], s19
	v_cvt_f64_u32_e32 v[28:29], s18
	s_add_u32 s18, s18, 1
	v_ldexp_f64 v[26:27], v[26:27], 32
	s_addc_u32 s19, s19, 0
	v_add_f64 v[26:27], v[26:27], v[28:29]
	v_cmp_eq_u64_e64 s[0:1], s[18:19], v[22:23]
	v_mul_f64 v[26:27], v[24:25], v[26:27]
	s_or_b64 s[16:17], s[0:1], s[16:17]
	v_pk_mov_b32 v[24:25], v[4:5], v[4:5] op_sel:[0,1]
	v_fma_f64 v[4:5], v[18:19], v[4:5], -v[26:27]
	s_andn2_b64 exec, exec, s[16:17]
	s_cbranch_execnz .LBB19_79
; %bb.80:
	s_or_b64 exec, exec, s[16:17]
.LBB19_81:
	s_or_b64 exec, exec, s[14:15]
                                        ; implicit-def: $vgpr18_vgpr19
.LBB19_82:
	s_andn2_saveexec_b64 s[0:1], s[12:13]
; %bb.83:
	v_pk_mov_b32 v[4:5], v[18:19], v[18:19] op_sel:[0,1]
; %bb.84:
	s_or_b64 exec, exec, s[0:1]
.LBB19_85:
	s_or_b64 exec, exec, s[10:11]
.LBB19_86:
	s_or_b64 exec, exec, s[6:7]
.LBB19_87:
	s_or_b64 exec, exec, s[4:5]
	v_or_b32_e32 v11, 0x200, v0
	v_cmp_gt_i32_e64 s[0:1], s22, v11
	s_and_saveexec_b64 s[4:5], s[0:1]
	s_cbranch_execz .LBB19_101
; %bb.88:
	s_waitcnt vmcnt(0)
	v_trunc_f64_e32 v[6:7], v[20:21]
	s_movk_i32 s0, 0xffe0
	v_ldexp_f64 v[18:19], v[6:7], s0
	v_floor_f64_e32 v[20:21], v[18:19]
	v_fmac_f64_e32 v[6:7], 0xc1f00000, v[20:21]
	v_cvt_i32_f64_e32 v19, v[20:21]
	v_cvt_u32_f64_e32 v18, v[6:7]
	v_cmp_lt_i64_e64 s[0:1], -1, v[18:19]
	v_pk_mov_b32 v[6:7], 0, 0
	s_and_saveexec_b64 s[6:7], s[0:1]
	s_cbranch_execz .LBB19_100
; %bb.89:
	v_mov_b32_e32 v6, 0
	v_cmp_lt_i64_e64 s[0:1], 0, v[18:19]
	v_mov_b32_e32 v7, 0x3ff00000
	s_and_saveexec_b64 s[10:11], s[0:1]
	s_cbranch_execz .LBB19_99
; %bb.90:
	v_cmp_ne_u64_e64 s[0:1], 1, v[18:19]
	s_and_saveexec_b64 s[12:13], s[0:1]
	s_xor_b64 s[12:13], exec, s[12:13]
	s_cbranch_execz .LBB19_96
; %bb.91:
	s_mov_b64 s[0:1], 0x201
	v_mov_b32_e32 v6, 0
	v_cmp_gt_u64_e64 s[0:1], s[0:1], v[18:19]
	v_mov_b32_e32 v7, 0x7ff80000
	s_and_saveexec_b64 s[14:15], s[0:1]
	s_cbranch_execz .LBB19_95
; %bb.92:
	v_mov_b32_e32 v20, 0
	s_mov_b64 s[18:19], 1
	s_mov_b64 s[16:17], 0
	v_mov_b32_e32 v21, 0x3ff00000
	v_pk_mov_b32 v[6:7], v[16:17], v[16:17] op_sel:[0,1]
.LBB19_93:                              ; =>This Inner Loop Header: Depth=1
	v_cvt_f64_u32_e32 v[22:23], s19
	v_cvt_f64_u32_e32 v[24:25], s18
	s_add_u32 s18, s18, 1
	v_ldexp_f64 v[22:23], v[22:23], 32
	s_addc_u32 s19, s19, 0
	v_add_f64 v[22:23], v[22:23], v[24:25]
	v_cmp_eq_u64_e64 s[0:1], s[18:19], v[18:19]
	v_mul_f64 v[22:23], v[20:21], v[22:23]
	s_or_b64 s[16:17], s[0:1], s[16:17]
	v_pk_mov_b32 v[20:21], v[6:7], v[6:7] op_sel:[0,1]
	v_fma_f64 v[6:7], v[16:17], v[6:7], -v[22:23]
	s_andn2_b64 exec, exec, s[16:17]
	s_cbranch_execnz .LBB19_93
; %bb.94:
	s_or_b64 exec, exec, s[16:17]
.LBB19_95:
	s_or_b64 exec, exec, s[14:15]
                                        ; implicit-def: $vgpr16_vgpr17
.LBB19_96:
	s_andn2_saveexec_b64 s[0:1], s[12:13]
; %bb.97:
	v_pk_mov_b32 v[6:7], v[16:17], v[16:17] op_sel:[0,1]
; %bb.98:
	s_or_b64 exec, exec, s[0:1]
.LBB19_99:
	s_or_b64 exec, exec, s[10:11]
.LBB19_100:
	s_or_b64 exec, exec, s[6:7]
.LBB19_101:
	s_or_b64 exec, exec, s[4:5]
	v_or_b32_e32 v11, 0x300, v0
	v_cmp_gt_i32_e64 s[0:1], s22, v11
	s_and_saveexec_b64 s[4:5], s[0:1]
	s_cbranch_execnz .LBB19_108
; %bb.102:
	s_or_b64 exec, exec, s[4:5]
	s_and_saveexec_b64 s[0:1], vcc
	s_xor_b64 s[0:1], exec, s[0:1]
	s_cbranch_execnz .LBB19_121
.LBB19_103:
	s_or_b64 exec, exec, s[0:1]
	v_cmp_gt_i32_e32 vcc, s22, v0
	s_and_saveexec_b64 s[0:1], vcc
	s_cbranch_execnz .LBB19_122
.LBB19_104:
	s_or_b64 exec, exec, s[0:1]
	v_cmp_gt_i32_e32 vcc, s22, v0
	s_and_saveexec_b64 s[0:1], vcc
	s_cbranch_execnz .LBB19_123
.LBB19_105:
	s_or_b64 exec, exec, s[0:1]
	v_cmp_gt_i32_e32 vcc, s22, v0
	s_and_saveexec_b64 s[0:1], vcc
	s_cbranch_execz .LBB19_107
.LBB19_106:
	v_add_u32_e32 v0, s2, v0
	v_mov_b32_e32 v1, 0
	v_lshlrev_b64 v[0:1], 3, v[0:1]
	v_mov_b32_e32 v2, s9
	v_add_co_u32_e32 v0, vcc, s8, v0
	v_addc_co_u32_e32 v1, vcc, v2, v1, vcc
	global_store_dwordx2 v[0:1], v[8:9], off
.LBB19_107:
	s_endpgm
.LBB19_108:
	s_waitcnt vmcnt(0)
	v_trunc_f64_e32 v[8:9], v[14:15]
	s_movk_i32 s0, 0xffe0
	v_ldexp_f64 v[14:15], v[8:9], s0
	v_floor_f64_e32 v[16:17], v[14:15]
	v_fmac_f64_e32 v[8:9], 0xc1f00000, v[16:17]
	v_cvt_i32_f64_e32 v15, v[16:17]
	v_cvt_u32_f64_e32 v14, v[8:9]
	v_cmp_lt_i64_e64 s[0:1], -1, v[14:15]
	v_pk_mov_b32 v[8:9], 0, 0
	s_and_saveexec_b64 s[6:7], s[0:1]
	s_cbranch_execz .LBB19_120
; %bb.109:
	v_mov_b32_e32 v8, 0
	v_cmp_lt_i64_e64 s[0:1], 0, v[14:15]
	v_mov_b32_e32 v9, 0x3ff00000
	s_and_saveexec_b64 s[10:11], s[0:1]
	s_cbranch_execz .LBB19_119
; %bb.110:
	v_cmp_ne_u64_e64 s[0:1], 1, v[14:15]
	s_and_saveexec_b64 s[12:13], s[0:1]
	s_xor_b64 s[12:13], exec, s[12:13]
	s_cbranch_execz .LBB19_116
; %bb.111:
	s_mov_b64 s[0:1], 0x201
	v_mov_b32_e32 v8, 0
	v_cmp_gt_u64_e64 s[0:1], s[0:1], v[14:15]
	v_mov_b32_e32 v9, 0x7ff80000
	s_and_saveexec_b64 s[14:15], s[0:1]
	s_cbranch_execz .LBB19_115
; %bb.112:
	v_mov_b32_e32 v16, 0
	s_mov_b64 s[18:19], 1
	s_mov_b64 s[16:17], 0
	v_mov_b32_e32 v17, 0x3ff00000
	v_pk_mov_b32 v[8:9], v[12:13], v[12:13] op_sel:[0,1]
.LBB19_113:                             ; =>This Inner Loop Header: Depth=1
	v_cvt_f64_u32_e32 v[18:19], s19
	v_cvt_f64_u32_e32 v[20:21], s18
	s_add_u32 s18, s18, 1
	v_ldexp_f64 v[18:19], v[18:19], 32
	s_addc_u32 s19, s19, 0
	v_add_f64 v[18:19], v[18:19], v[20:21]
	v_cmp_eq_u64_e64 s[0:1], s[18:19], v[14:15]
	v_mul_f64 v[18:19], v[16:17], v[18:19]
	s_or_b64 s[16:17], s[0:1], s[16:17]
	v_pk_mov_b32 v[16:17], v[8:9], v[8:9] op_sel:[0,1]
	v_fma_f64 v[8:9], v[12:13], v[8:9], -v[18:19]
	s_andn2_b64 exec, exec, s[16:17]
	s_cbranch_execnz .LBB19_113
; %bb.114:
	s_or_b64 exec, exec, s[16:17]
.LBB19_115:
	s_or_b64 exec, exec, s[14:15]
                                        ; implicit-def: $vgpr12_vgpr13
.LBB19_116:
	s_andn2_saveexec_b64 s[0:1], s[12:13]
; %bb.117:
	v_pk_mov_b32 v[8:9], v[12:13], v[12:13] op_sel:[0,1]
; %bb.118:
	s_or_b64 exec, exec, s[0:1]
.LBB19_119:
	s_or_b64 exec, exec, s[10:11]
.LBB19_120:
	s_or_b64 exec, exec, s[6:7]
	s_or_b64 exec, exec, s[4:5]
	s_and_saveexec_b64 s[0:1], vcc
	s_xor_b64 s[0:1], exec, s[0:1]
	s_cbranch_execz .LBB19_103
.LBB19_121:
	v_mov_b32_e32 v11, 0
	v_lshlrev_b64 v[10:11], 3, v[10:11]
	v_mov_b32_e32 v0, s9
	v_add_co_u32_e32 v10, vcc, s8, v10
	v_addc_co_u32_e32 v11, vcc, v0, v11, vcc
	v_mov_b32_e32 v0, v1
	global_store_dwordx2 v[10:11], v[2:3], off
	s_or_b64 exec, exec, s[0:1]
	v_cmp_gt_i32_e32 vcc, s22, v0
	s_and_saveexec_b64 s[0:1], vcc
	s_cbranch_execz .LBB19_104
.LBB19_122:
	v_add_u32_e32 v2, s2, v0
	v_mov_b32_e32 v3, 0
	v_lshlrev_b64 v[2:3], 3, v[2:3]
	v_mov_b32_e32 v1, s9
	v_add_co_u32_e32 v2, vcc, s8, v2
	v_addc_co_u32_e32 v3, vcc, v1, v3, vcc
	v_add_u32_e32 v0, 0x100, v0
	global_store_dwordx2 v[2:3], v[4:5], off
	s_or_b64 exec, exec, s[0:1]
	v_cmp_gt_i32_e32 vcc, s22, v0
	s_and_saveexec_b64 s[0:1], vcc
	s_cbranch_execz .LBB19_105
.LBB19_123:
	v_add_u32_e32 v2, s2, v0
	v_mov_b32_e32 v3, 0
	v_lshlrev_b64 v[2:3], 3, v[2:3]
	v_mov_b32_e32 v1, s9
	v_add_co_u32_e32 v2, vcc, s8, v2
	v_addc_co_u32_e32 v3, vcc, v1, v3, vcc
	v_add_u32_e32 v0, 0x100, v0
	global_store_dwordx2 v[2:3], v[6:7], off
	s_or_b64 exec, exec, s[0:1]
	v_cmp_gt_i32_e32 vcc, s22, v0
	s_and_saveexec_b64 s[0:1], vcc
	s_cbranch_execnz .LBB19_106
	s_branch .LBB19_107
	.section	.rodata,"a",@progbits
	.p2align	6, 0x0
	.amdhsa_kernel _ZN2at6native29vectorized_elementwise_kernelILi2ENS0_13BinaryFunctorIdddZZZNS0_12_GLOBAL__N_133hermite_polynomial_he_kernel_cudaERNS_18TensorIteratorBaseEENKUlvE_clEvENKUlvE_clEvEUlddE_EESt5arrayIPcLm3EEEEviT0_T1_
		.amdhsa_group_segment_fixed_size 0
		.amdhsa_private_segment_fixed_size 0
		.amdhsa_kernarg_size 32
		.amdhsa_user_sgpr_count 6
		.amdhsa_user_sgpr_private_segment_buffer 1
		.amdhsa_user_sgpr_dispatch_ptr 0
		.amdhsa_user_sgpr_queue_ptr 0
		.amdhsa_user_sgpr_kernarg_segment_ptr 1
		.amdhsa_user_sgpr_dispatch_id 0
		.amdhsa_user_sgpr_flat_scratch_init 0
		.amdhsa_user_sgpr_kernarg_preload_length 0
		.amdhsa_user_sgpr_kernarg_preload_offset 0
		.amdhsa_user_sgpr_private_segment_size 0
		.amdhsa_uses_dynamic_stack 0
		.amdhsa_system_sgpr_private_segment_wavefront_offset 0
		.amdhsa_system_sgpr_workgroup_id_x 1
		.amdhsa_system_sgpr_workgroup_id_y 0
		.amdhsa_system_sgpr_workgroup_id_z 0
		.amdhsa_system_sgpr_workgroup_info 0
		.amdhsa_system_vgpr_workitem_id 0
		.amdhsa_next_free_vgpr 30
		.amdhsa_next_free_sgpr 23
		.amdhsa_accum_offset 32
		.amdhsa_reserve_vcc 1
		.amdhsa_reserve_flat_scratch 0
		.amdhsa_float_round_mode_32 0
		.amdhsa_float_round_mode_16_64 0
		.amdhsa_float_denorm_mode_32 3
		.amdhsa_float_denorm_mode_16_64 3
		.amdhsa_dx10_clamp 1
		.amdhsa_ieee_mode 1
		.amdhsa_fp16_overflow 0
		.amdhsa_tg_split 0
		.amdhsa_exception_fp_ieee_invalid_op 0
		.amdhsa_exception_fp_denorm_src 0
		.amdhsa_exception_fp_ieee_div_zero 0
		.amdhsa_exception_fp_ieee_overflow 0
		.amdhsa_exception_fp_ieee_underflow 0
		.amdhsa_exception_fp_ieee_inexact 0
		.amdhsa_exception_int_div_zero 0
	.end_amdhsa_kernel
	.section	.text._ZN2at6native29vectorized_elementwise_kernelILi2ENS0_13BinaryFunctorIdddZZZNS0_12_GLOBAL__N_133hermite_polynomial_he_kernel_cudaERNS_18TensorIteratorBaseEENKUlvE_clEvENKUlvE_clEvEUlddE_EESt5arrayIPcLm3EEEEviT0_T1_,"axG",@progbits,_ZN2at6native29vectorized_elementwise_kernelILi2ENS0_13BinaryFunctorIdddZZZNS0_12_GLOBAL__N_133hermite_polynomial_he_kernel_cudaERNS_18TensorIteratorBaseEENKUlvE_clEvENKUlvE_clEvEUlddE_EESt5arrayIPcLm3EEEEviT0_T1_,comdat
.Lfunc_end19:
	.size	_ZN2at6native29vectorized_elementwise_kernelILi2ENS0_13BinaryFunctorIdddZZZNS0_12_GLOBAL__N_133hermite_polynomial_he_kernel_cudaERNS_18TensorIteratorBaseEENKUlvE_clEvENKUlvE_clEvEUlddE_EESt5arrayIPcLm3EEEEviT0_T1_, .Lfunc_end19-_ZN2at6native29vectorized_elementwise_kernelILi2ENS0_13BinaryFunctorIdddZZZNS0_12_GLOBAL__N_133hermite_polynomial_he_kernel_cudaERNS_18TensorIteratorBaseEENKUlvE_clEvENKUlvE_clEvEUlddE_EESt5arrayIPcLm3EEEEviT0_T1_
                                        ; -- End function
	.section	.AMDGPU.csdata,"",@progbits
; Kernel info:
; codeLenInByte = 3244
; NumSgprs: 27
; NumVgprs: 30
; NumAgprs: 0
; TotalNumVgprs: 30
; ScratchSize: 0
; MemoryBound: 0
; FloatMode: 240
; IeeeMode: 1
; LDSByteSize: 0 bytes/workgroup (compile time only)
; SGPRBlocks: 3
; VGPRBlocks: 3
; NumSGPRsForWavesPerEU: 27
; NumVGPRsForWavesPerEU: 30
; AccumOffset: 32
; Occupancy: 8
; WaveLimiterHint : 1
; COMPUTE_PGM_RSRC2:SCRATCH_EN: 0
; COMPUTE_PGM_RSRC2:USER_SGPR: 6
; COMPUTE_PGM_RSRC2:TRAP_HANDLER: 0
; COMPUTE_PGM_RSRC2:TGID_X_EN: 1
; COMPUTE_PGM_RSRC2:TGID_Y_EN: 0
; COMPUTE_PGM_RSRC2:TGID_Z_EN: 0
; COMPUTE_PGM_RSRC2:TIDIG_COMP_CNT: 0
; COMPUTE_PGM_RSRC3_GFX90A:ACCUM_OFFSET: 7
; COMPUTE_PGM_RSRC3_GFX90A:TG_SPLIT: 0
	.section	.text._ZN2at6native27unrolled_elementwise_kernelINS0_13BinaryFunctorIdddZZZNS0_12_GLOBAL__N_133hermite_polynomial_he_kernel_cudaERNS_18TensorIteratorBaseEENKUlvE_clEvENKUlvE_clEvEUlddE_EESt5arrayIPcLm3EELi4E23TrivialOffsetCalculatorILi2EjESD_ILi1EjENS0_6memory15LoadWithoutCastENSG_16StoreWithoutCastEEEviT_T0_T2_T3_T4_T5_,"axG",@progbits,_ZN2at6native27unrolled_elementwise_kernelINS0_13BinaryFunctorIdddZZZNS0_12_GLOBAL__N_133hermite_polynomial_he_kernel_cudaERNS_18TensorIteratorBaseEENKUlvE_clEvENKUlvE_clEvEUlddE_EESt5arrayIPcLm3EELi4E23TrivialOffsetCalculatorILi2EjESD_ILi1EjENS0_6memory15LoadWithoutCastENSG_16StoreWithoutCastEEEviT_T0_T2_T3_T4_T5_,comdat
	.globl	_ZN2at6native27unrolled_elementwise_kernelINS0_13BinaryFunctorIdddZZZNS0_12_GLOBAL__N_133hermite_polynomial_he_kernel_cudaERNS_18TensorIteratorBaseEENKUlvE_clEvENKUlvE_clEvEUlddE_EESt5arrayIPcLm3EELi4E23TrivialOffsetCalculatorILi2EjESD_ILi1EjENS0_6memory15LoadWithoutCastENSG_16StoreWithoutCastEEEviT_T0_T2_T3_T4_T5_ ; -- Begin function _ZN2at6native27unrolled_elementwise_kernelINS0_13BinaryFunctorIdddZZZNS0_12_GLOBAL__N_133hermite_polynomial_he_kernel_cudaERNS_18TensorIteratorBaseEENKUlvE_clEvENKUlvE_clEvEUlddE_EESt5arrayIPcLm3EELi4E23TrivialOffsetCalculatorILi2EjESD_ILi1EjENS0_6memory15LoadWithoutCastENSG_16StoreWithoutCastEEEviT_T0_T2_T3_T4_T5_
	.p2align	8
	.type	_ZN2at6native27unrolled_elementwise_kernelINS0_13BinaryFunctorIdddZZZNS0_12_GLOBAL__N_133hermite_polynomial_he_kernel_cudaERNS_18TensorIteratorBaseEENKUlvE_clEvENKUlvE_clEvEUlddE_EESt5arrayIPcLm3EELi4E23TrivialOffsetCalculatorILi2EjESD_ILi1EjENS0_6memory15LoadWithoutCastENSG_16StoreWithoutCastEEEviT_T0_T2_T3_T4_T5_,@function
_ZN2at6native27unrolled_elementwise_kernelINS0_13BinaryFunctorIdddZZZNS0_12_GLOBAL__N_133hermite_polynomial_he_kernel_cudaERNS_18TensorIteratorBaseEENKUlvE_clEvENKUlvE_clEvEUlddE_EESt5arrayIPcLm3EELi4E23TrivialOffsetCalculatorILi2EjESD_ILi1EjENS0_6memory15LoadWithoutCastENSG_16StoreWithoutCastEEEviT_T0_T2_T3_T4_T5_: ; @_ZN2at6native27unrolled_elementwise_kernelINS0_13BinaryFunctorIdddZZZNS0_12_GLOBAL__N_133hermite_polynomial_he_kernel_cudaERNS_18TensorIteratorBaseEENKUlvE_clEvENKUlvE_clEvEUlddE_EESt5arrayIPcLm3EELi4E23TrivialOffsetCalculatorILi2EjESD_ILi1EjENS0_6memory15LoadWithoutCastENSG_16StoreWithoutCastEEEviT_T0_T2_T3_T4_T5_
; %bb.0:
	s_load_dword s0, s[4:5], 0x0
	s_load_dwordx4 s[8:11], s[4:5], 0x8
	s_load_dwordx2 s[2:3], s[4:5], 0x18
	s_lshl_b32 s18, s6, 10
	v_pk_mov_b32 v[18:19], 0, 0
	s_waitcnt lgkmcnt(0)
	s_sub_i32 s19, s0, s18
	v_cmp_gt_i32_e32 vcc, s19, v0
	v_or_b32_e32 v10, s18, v0
	v_pk_mov_b32 v[24:25], v[18:19], v[18:19] op_sel:[0,1]
	v_pk_mov_b32 v[26:27], v[18:19], v[18:19] op_sel:[0,1]
	v_mov_b32_e32 v1, v0
	s_and_saveexec_b64 s[4:5], vcc
	s_cbranch_execz .LBB20_2
; %bb.1:
	v_mov_b32_e32 v11, 0
	v_lshlrev_b64 v[2:3], 3, v[10:11]
	v_mov_b32_e32 v1, s11
	v_add_co_u32_e64 v4, s[0:1], s10, v2
	v_addc_co_u32_e64 v5, s[0:1], v1, v3, s[0:1]
	v_mov_b32_e32 v1, s3
	v_add_co_u32_e64 v2, s[0:1], s2, v2
	v_addc_co_u32_e64 v3, s[0:1], v1, v3, s[0:1]
	global_load_dwordx2 v[24:25], v[4:5], off
	global_load_dwordx2 v[26:27], v[2:3], off
	v_or_b32_e32 v1, 0x100, v0
.LBB20_2:
	s_or_b64 exec, exec, s[4:5]
	v_cmp_gt_i32_e64 s[0:1], s19, v1
	v_pk_mov_b32 v[22:23], v[18:19], v[18:19] op_sel:[0,1]
	s_and_saveexec_b64 s[4:5], s[0:1]
	s_cbranch_execz .LBB20_4
; %bb.3:
	v_add_u32_e32 v2, s18, v1
	v_mov_b32_e32 v3, 0
	v_lshlrev_b64 v[2:3], 3, v[2:3]
	v_mov_b32_e32 v5, s11
	v_add_co_u32_e64 v4, s[0:1], s10, v2
	v_addc_co_u32_e64 v5, s[0:1], v5, v3, s[0:1]
	v_mov_b32_e32 v6, s3
	v_add_co_u32_e64 v2, s[0:1], s2, v2
	v_addc_co_u32_e64 v3, s[0:1], v6, v3, s[0:1]
	global_load_dwordx2 v[18:19], v[4:5], off
	global_load_dwordx2 v[22:23], v[2:3], off
	v_add_u32_e32 v1, 0x100, v1
.LBB20_4:
	s_or_b64 exec, exec, s[4:5]
	v_pk_mov_b32 v[12:13], 0, 0
	v_cmp_gt_i32_e64 s[0:1], s19, v1
	v_pk_mov_b32 v[16:17], v[12:13], v[12:13] op_sel:[0,1]
	v_pk_mov_b32 v[20:21], v[12:13], v[12:13] op_sel:[0,1]
	s_and_saveexec_b64 s[4:5], s[0:1]
	s_cbranch_execz .LBB20_6
; %bb.5:
	v_add_u32_e32 v2, s18, v1
	v_mov_b32_e32 v3, 0
	v_lshlrev_b64 v[2:3], 3, v[2:3]
	v_mov_b32_e32 v5, s11
	v_add_co_u32_e64 v4, s[0:1], s10, v2
	v_addc_co_u32_e64 v5, s[0:1], v5, v3, s[0:1]
	v_mov_b32_e32 v6, s3
	v_add_co_u32_e64 v2, s[0:1], s2, v2
	v_addc_co_u32_e64 v3, s[0:1], v6, v3, s[0:1]
	global_load_dwordx2 v[16:17], v[4:5], off
	global_load_dwordx2 v[20:21], v[2:3], off
	v_add_u32_e32 v1, 0x100, v1
.LBB20_6:
	s_or_b64 exec, exec, s[4:5]
	v_cmp_gt_i32_e64 s[0:1], s19, v1
	v_pk_mov_b32 v[14:15], v[12:13], v[12:13] op_sel:[0,1]
	s_and_saveexec_b64 s[4:5], s[0:1]
	s_cbranch_execz .LBB20_8
; %bb.7:
	v_add_u32_e32 v2, s18, v1
	v_mov_b32_e32 v3, 0
	v_lshlrev_b64 v[2:3], 3, v[2:3]
	v_mov_b32_e32 v1, s11
	v_add_co_u32_e64 v4, s[0:1], s10, v2
	v_addc_co_u32_e64 v5, s[0:1], v1, v3, s[0:1]
	v_mov_b32_e32 v1, s3
	v_add_co_u32_e64 v2, s[0:1], s2, v2
	v_addc_co_u32_e64 v3, s[0:1], v1, v3, s[0:1]
	global_load_dwordx2 v[12:13], v[4:5], off
	global_load_dwordx2 v[14:15], v[2:3], off
.LBB20_8:
	s_or_b64 exec, exec, s[4:5]
                                        ; implicit-def: $vgpr2_vgpr3_vgpr4_vgpr5_vgpr6_vgpr7_vgpr8_vgpr9
	s_and_saveexec_b64 s[2:3], vcc
	s_cbranch_execz .LBB20_22
; %bb.9:
	s_waitcnt vmcnt(0)
	v_trunc_f64_e32 v[2:3], v[26:27]
	s_movk_i32 s0, 0xffe0
	v_ldexp_f64 v[4:5], v[2:3], s0
	v_floor_f64_e32 v[6:7], v[4:5]
	v_fmac_f64_e32 v[2:3], 0xc1f00000, v[6:7]
	v_cvt_i32_f64_e32 v5, v[6:7]
	v_cvt_u32_f64_e32 v4, v[2:3]
	v_cmp_lt_i64_e64 s[0:1], -1, v[4:5]
	v_pk_mov_b32 v[2:3], 0, 0
	s_and_saveexec_b64 s[4:5], s[0:1]
	s_cbranch_execz .LBB20_21
; %bb.10:
	v_mov_b32_e32 v2, 0
	v_cmp_lt_i64_e64 s[0:1], 0, v[4:5]
	v_mov_b32_e32 v3, 0x3ff00000
	s_and_saveexec_b64 s[6:7], s[0:1]
	s_cbranch_execz .LBB20_20
; %bb.11:
	v_cmp_ne_u64_e64 s[0:1], 1, v[4:5]
                                        ; implicit-def: $vgpr2_vgpr3
	s_and_saveexec_b64 s[10:11], s[0:1]
	s_xor_b64 s[10:11], exec, s[10:11]
	s_cbranch_execz .LBB20_17
; %bb.12:
	s_mov_b64 s[0:1], 0x201
	v_mov_b32_e32 v2, 0
	v_cmp_gt_u64_e64 s[0:1], s[0:1], v[4:5]
	v_mov_b32_e32 v3, 0x7ff80000
	s_and_saveexec_b64 s[12:13], s[0:1]
	s_cbranch_execz .LBB20_16
; %bb.13:
	v_mov_b32_e32 v6, 0
	s_mov_b64 s[16:17], 1
	s_mov_b64 s[14:15], 0
	v_mov_b32_e32 v7, 0x3ff00000
	v_pk_mov_b32 v[2:3], v[24:25], v[24:25] op_sel:[0,1]
.LBB20_14:                              ; =>This Inner Loop Header: Depth=1
	v_cvt_f64_u32_e32 v[8:9], s17
	v_cvt_f64_u32_e32 v[26:27], s16
	s_add_u32 s16, s16, 1
	v_ldexp_f64 v[8:9], v[8:9], 32
	s_addc_u32 s17, s17, 0
	v_add_f64 v[8:9], v[8:9], v[26:27]
	v_cmp_eq_u64_e64 s[0:1], s[16:17], v[4:5]
	v_mul_f64 v[8:9], v[6:7], v[8:9]
	s_or_b64 s[14:15], s[0:1], s[14:15]
	v_pk_mov_b32 v[6:7], v[2:3], v[2:3] op_sel:[0,1]
	v_fma_f64 v[2:3], v[24:25], v[2:3], -v[8:9]
	s_andn2_b64 exec, exec, s[14:15]
	s_cbranch_execnz .LBB20_14
; %bb.15:
	s_or_b64 exec, exec, s[14:15]
.LBB20_16:
	s_or_b64 exec, exec, s[12:13]
                                        ; implicit-def: $vgpr24_vgpr25
.LBB20_17:
	s_andn2_saveexec_b64 s[0:1], s[10:11]
; %bb.18:
	v_pk_mov_b32 v[2:3], v[24:25], v[24:25] op_sel:[0,1]
; %bb.19:
	s_or_b64 exec, exec, s[0:1]
.LBB20_20:
	s_or_b64 exec, exec, s[6:7]
.LBB20_21:
	s_or_b64 exec, exec, s[4:5]
.LBB20_22:
	s_or_b64 exec, exec, s[2:3]
	v_or_b32_e32 v1, 0x100, v0
	v_cmp_gt_i32_e64 s[0:1], s19, v1
	s_and_saveexec_b64 s[2:3], s[0:1]
	s_cbranch_execz .LBB20_36
; %bb.23:
	s_waitcnt vmcnt(0)
	v_trunc_f64_e32 v[4:5], v[22:23]
	s_movk_i32 s0, 0xffe0
	v_ldexp_f64 v[22:23], v[4:5], s0
	v_floor_f64_e32 v[24:25], v[22:23]
	v_fmac_f64_e32 v[4:5], 0xc1f00000, v[24:25]
	v_cvt_i32_f64_e32 v23, v[24:25]
	v_cvt_u32_f64_e32 v22, v[4:5]
	v_cmp_lt_i64_e64 s[0:1], -1, v[22:23]
	v_pk_mov_b32 v[4:5], 0, 0
	s_and_saveexec_b64 s[4:5], s[0:1]
	s_cbranch_execz .LBB20_35
; %bb.24:
	v_mov_b32_e32 v4, 0
	v_cmp_lt_i64_e64 s[0:1], 0, v[22:23]
	v_mov_b32_e32 v5, 0x3ff00000
	s_and_saveexec_b64 s[6:7], s[0:1]
	s_cbranch_execz .LBB20_34
; %bb.25:
	v_cmp_ne_u64_e64 s[0:1], 1, v[22:23]
	s_and_saveexec_b64 s[10:11], s[0:1]
	s_xor_b64 s[10:11], exec, s[10:11]
	s_cbranch_execz .LBB20_31
; %bb.26:
	s_mov_b64 s[0:1], 0x201
	v_mov_b32_e32 v4, 0
	v_cmp_gt_u64_e64 s[0:1], s[0:1], v[22:23]
	v_mov_b32_e32 v5, 0x7ff80000
	s_and_saveexec_b64 s[12:13], s[0:1]
	s_cbranch_execz .LBB20_30
; %bb.27:
	v_mov_b32_e32 v24, 0
	s_mov_b64 s[16:17], 1
	s_mov_b64 s[14:15], 0
	v_mov_b32_e32 v25, 0x3ff00000
	v_pk_mov_b32 v[4:5], v[18:19], v[18:19] op_sel:[0,1]
.LBB20_28:                              ; =>This Inner Loop Header: Depth=1
	v_cvt_f64_u32_e32 v[26:27], s17
	v_cvt_f64_u32_e32 v[28:29], s16
	s_add_u32 s16, s16, 1
	v_ldexp_f64 v[26:27], v[26:27], 32
	s_addc_u32 s17, s17, 0
	v_add_f64 v[26:27], v[26:27], v[28:29]
	v_cmp_eq_u64_e64 s[0:1], s[16:17], v[22:23]
	v_mul_f64 v[26:27], v[24:25], v[26:27]
	s_or_b64 s[14:15], s[0:1], s[14:15]
	v_pk_mov_b32 v[24:25], v[4:5], v[4:5] op_sel:[0,1]
	v_fma_f64 v[4:5], v[18:19], v[4:5], -v[26:27]
	s_andn2_b64 exec, exec, s[14:15]
	s_cbranch_execnz .LBB20_28
; %bb.29:
	s_or_b64 exec, exec, s[14:15]
.LBB20_30:
	s_or_b64 exec, exec, s[12:13]
                                        ; implicit-def: $vgpr18_vgpr19
.LBB20_31:
	s_andn2_saveexec_b64 s[0:1], s[10:11]
; %bb.32:
	v_pk_mov_b32 v[4:5], v[18:19], v[18:19] op_sel:[0,1]
; %bb.33:
	s_or_b64 exec, exec, s[0:1]
.LBB20_34:
	s_or_b64 exec, exec, s[6:7]
.LBB20_35:
	s_or_b64 exec, exec, s[4:5]
.LBB20_36:
	s_or_b64 exec, exec, s[2:3]
	v_or_b32_e32 v11, 0x200, v0
	v_cmp_gt_i32_e64 s[0:1], s19, v11
	s_and_saveexec_b64 s[2:3], s[0:1]
	s_cbranch_execz .LBB20_50
; %bb.37:
	s_waitcnt vmcnt(0)
	v_trunc_f64_e32 v[6:7], v[20:21]
	s_movk_i32 s0, 0xffe0
	v_ldexp_f64 v[18:19], v[6:7], s0
	v_floor_f64_e32 v[20:21], v[18:19]
	v_fmac_f64_e32 v[6:7], 0xc1f00000, v[20:21]
	v_cvt_i32_f64_e32 v19, v[20:21]
	v_cvt_u32_f64_e32 v18, v[6:7]
	v_cmp_lt_i64_e64 s[0:1], -1, v[18:19]
	v_pk_mov_b32 v[6:7], 0, 0
	s_and_saveexec_b64 s[4:5], s[0:1]
	s_cbranch_execz .LBB20_49
; %bb.38:
	v_mov_b32_e32 v6, 0
	v_cmp_lt_i64_e64 s[0:1], 0, v[18:19]
	v_mov_b32_e32 v7, 0x3ff00000
	s_and_saveexec_b64 s[6:7], s[0:1]
	s_cbranch_execz .LBB20_48
; %bb.39:
	v_cmp_ne_u64_e64 s[0:1], 1, v[18:19]
	s_and_saveexec_b64 s[10:11], s[0:1]
	s_xor_b64 s[10:11], exec, s[10:11]
	s_cbranch_execz .LBB20_45
; %bb.40:
	s_mov_b64 s[0:1], 0x201
	v_mov_b32_e32 v6, 0
	v_cmp_gt_u64_e64 s[0:1], s[0:1], v[18:19]
	v_mov_b32_e32 v7, 0x7ff80000
	s_and_saveexec_b64 s[12:13], s[0:1]
	s_cbranch_execz .LBB20_44
; %bb.41:
	v_mov_b32_e32 v20, 0
	s_mov_b64 s[16:17], 1
	s_mov_b64 s[14:15], 0
	v_mov_b32_e32 v21, 0x3ff00000
	v_pk_mov_b32 v[6:7], v[16:17], v[16:17] op_sel:[0,1]
.LBB20_42:                              ; =>This Inner Loop Header: Depth=1
	v_cvt_f64_u32_e32 v[22:23], s17
	v_cvt_f64_u32_e32 v[24:25], s16
	s_add_u32 s16, s16, 1
	v_ldexp_f64 v[22:23], v[22:23], 32
	s_addc_u32 s17, s17, 0
	v_add_f64 v[22:23], v[22:23], v[24:25]
	v_cmp_eq_u64_e64 s[0:1], s[16:17], v[18:19]
	v_mul_f64 v[22:23], v[20:21], v[22:23]
	s_or_b64 s[14:15], s[0:1], s[14:15]
	v_pk_mov_b32 v[20:21], v[6:7], v[6:7] op_sel:[0,1]
	v_fma_f64 v[6:7], v[16:17], v[6:7], -v[22:23]
	s_andn2_b64 exec, exec, s[14:15]
	s_cbranch_execnz .LBB20_42
; %bb.43:
	s_or_b64 exec, exec, s[14:15]
.LBB20_44:
	s_or_b64 exec, exec, s[12:13]
                                        ; implicit-def: $vgpr16_vgpr17
.LBB20_45:
	s_andn2_saveexec_b64 s[0:1], s[10:11]
; %bb.46:
	v_pk_mov_b32 v[6:7], v[16:17], v[16:17] op_sel:[0,1]
; %bb.47:
	s_or_b64 exec, exec, s[0:1]
.LBB20_48:
	s_or_b64 exec, exec, s[6:7]
.LBB20_49:
	s_or_b64 exec, exec, s[4:5]
.LBB20_50:
	s_or_b64 exec, exec, s[2:3]
	v_or_b32_e32 v11, 0x300, v0
	v_cmp_gt_i32_e64 s[0:1], s19, v11
	s_and_saveexec_b64 s[2:3], s[0:1]
	s_cbranch_execnz .LBB20_56
; %bb.51:
	s_or_b64 exec, exec, s[2:3]
	s_and_saveexec_b64 s[0:1], vcc
	s_xor_b64 s[0:1], exec, s[0:1]
	s_cbranch_execnz .LBB20_69
.LBB20_52:
	s_or_b64 exec, exec, s[0:1]
	v_cmp_gt_i32_e32 vcc, s19, v0
	s_and_saveexec_b64 s[0:1], vcc
	s_cbranch_execnz .LBB20_70
.LBB20_53:
	s_or_b64 exec, exec, s[0:1]
	v_cmp_gt_i32_e32 vcc, s19, v0
	s_and_saveexec_b64 s[0:1], vcc
	s_cbranch_execnz .LBB20_71
.LBB20_54:
	s_or_b64 exec, exec, s[0:1]
	v_cmp_gt_i32_e32 vcc, s19, v0
	s_and_saveexec_b64 s[0:1], vcc
	s_cbranch_execnz .LBB20_72
.LBB20_55:
	s_endpgm
.LBB20_56:
	s_waitcnt vmcnt(0)
	v_trunc_f64_e32 v[8:9], v[14:15]
	s_movk_i32 s0, 0xffe0
	v_ldexp_f64 v[14:15], v[8:9], s0
	v_floor_f64_e32 v[16:17], v[14:15]
	v_fmac_f64_e32 v[8:9], 0xc1f00000, v[16:17]
	v_cvt_i32_f64_e32 v15, v[16:17]
	v_cvt_u32_f64_e32 v14, v[8:9]
	v_cmp_lt_i64_e64 s[0:1], -1, v[14:15]
	v_pk_mov_b32 v[8:9], 0, 0
	s_and_saveexec_b64 s[4:5], s[0:1]
	s_cbranch_execz .LBB20_68
; %bb.57:
	v_mov_b32_e32 v8, 0
	v_cmp_lt_i64_e64 s[0:1], 0, v[14:15]
	v_mov_b32_e32 v9, 0x3ff00000
	s_and_saveexec_b64 s[6:7], s[0:1]
	s_cbranch_execz .LBB20_67
; %bb.58:
	v_cmp_ne_u64_e64 s[0:1], 1, v[14:15]
	s_and_saveexec_b64 s[10:11], s[0:1]
	s_xor_b64 s[10:11], exec, s[10:11]
	s_cbranch_execz .LBB20_64
; %bb.59:
	s_mov_b64 s[0:1], 0x201
	v_mov_b32_e32 v8, 0
	v_cmp_gt_u64_e64 s[0:1], s[0:1], v[14:15]
	v_mov_b32_e32 v9, 0x7ff80000
	s_and_saveexec_b64 s[12:13], s[0:1]
	s_cbranch_execz .LBB20_63
; %bb.60:
	v_mov_b32_e32 v16, 0
	s_mov_b64 s[16:17], 1
	s_mov_b64 s[14:15], 0
	v_mov_b32_e32 v17, 0x3ff00000
	v_pk_mov_b32 v[8:9], v[12:13], v[12:13] op_sel:[0,1]
.LBB20_61:                              ; =>This Inner Loop Header: Depth=1
	v_cvt_f64_u32_e32 v[18:19], s17
	v_cvt_f64_u32_e32 v[20:21], s16
	s_add_u32 s16, s16, 1
	v_ldexp_f64 v[18:19], v[18:19], 32
	s_addc_u32 s17, s17, 0
	v_add_f64 v[18:19], v[18:19], v[20:21]
	v_cmp_eq_u64_e64 s[0:1], s[16:17], v[14:15]
	v_mul_f64 v[18:19], v[16:17], v[18:19]
	s_or_b64 s[14:15], s[0:1], s[14:15]
	v_pk_mov_b32 v[16:17], v[8:9], v[8:9] op_sel:[0,1]
	v_fma_f64 v[8:9], v[12:13], v[8:9], -v[18:19]
	s_andn2_b64 exec, exec, s[14:15]
	s_cbranch_execnz .LBB20_61
; %bb.62:
	s_or_b64 exec, exec, s[14:15]
.LBB20_63:
	s_or_b64 exec, exec, s[12:13]
                                        ; implicit-def: $vgpr12_vgpr13
.LBB20_64:
	s_andn2_saveexec_b64 s[0:1], s[10:11]
; %bb.65:
	v_pk_mov_b32 v[8:9], v[12:13], v[12:13] op_sel:[0,1]
; %bb.66:
	s_or_b64 exec, exec, s[0:1]
.LBB20_67:
	s_or_b64 exec, exec, s[6:7]
.LBB20_68:
	s_or_b64 exec, exec, s[4:5]
	s_or_b64 exec, exec, s[2:3]
	s_and_saveexec_b64 s[0:1], vcc
	s_xor_b64 s[0:1], exec, s[0:1]
	s_cbranch_execz .LBB20_52
.LBB20_69:
	v_mov_b32_e32 v11, 0
	v_lshlrev_b64 v[10:11], 3, v[10:11]
	v_mov_b32_e32 v0, s9
	v_add_co_u32_e32 v10, vcc, s8, v10
	v_addc_co_u32_e32 v11, vcc, v0, v11, vcc
	v_mov_b32_e32 v0, v1
	global_store_dwordx2 v[10:11], v[2:3], off
	s_or_b64 exec, exec, s[0:1]
	v_cmp_gt_i32_e32 vcc, s19, v0
	s_and_saveexec_b64 s[0:1], vcc
	s_cbranch_execz .LBB20_53
.LBB20_70:
	v_add_u32_e32 v2, 0x100, v0
	v_add_u32_e32 v0, s18, v0
	v_mov_b32_e32 v1, 0
	v_lshlrev_b64 v[0:1], 3, v[0:1]
	v_mov_b32_e32 v3, s9
	v_add_co_u32_e32 v0, vcc, s8, v0
	v_addc_co_u32_e32 v1, vcc, v3, v1, vcc
	global_store_dwordx2 v[0:1], v[4:5], off
	v_mov_b32_e32 v0, v2
	s_or_b64 exec, exec, s[0:1]
	v_cmp_gt_i32_e32 vcc, s19, v0
	s_and_saveexec_b64 s[0:1], vcc
	s_cbranch_execz .LBB20_54
.LBB20_71:
	v_add_u32_e32 v2, 0x100, v0
	v_add_u32_e32 v0, s18, v0
	v_mov_b32_e32 v1, 0
	v_lshlrev_b64 v[0:1], 3, v[0:1]
	v_mov_b32_e32 v3, s9
	v_add_co_u32_e32 v0, vcc, s8, v0
	v_addc_co_u32_e32 v1, vcc, v3, v1, vcc
	global_store_dwordx2 v[0:1], v[6:7], off
	v_mov_b32_e32 v0, v2
	s_or_b64 exec, exec, s[0:1]
	v_cmp_gt_i32_e32 vcc, s19, v0
	s_and_saveexec_b64 s[0:1], vcc
	s_cbranch_execz .LBB20_55
.LBB20_72:
	v_add_u32_e32 v0, s18, v0
	v_mov_b32_e32 v1, 0
	v_lshlrev_b64 v[0:1], 3, v[0:1]
	v_mov_b32_e32 v2, s9
	v_add_co_u32_e32 v0, vcc, s8, v0
	v_addc_co_u32_e32 v1, vcc, v2, v1, vcc
	global_store_dwordx2 v[0:1], v[8:9], off
	s_endpgm
	.section	.rodata,"a",@progbits
	.p2align	6, 0x0
	.amdhsa_kernel _ZN2at6native27unrolled_elementwise_kernelINS0_13BinaryFunctorIdddZZZNS0_12_GLOBAL__N_133hermite_polynomial_he_kernel_cudaERNS_18TensorIteratorBaseEENKUlvE_clEvENKUlvE_clEvEUlddE_EESt5arrayIPcLm3EELi4E23TrivialOffsetCalculatorILi2EjESD_ILi1EjENS0_6memory15LoadWithoutCastENSG_16StoreWithoutCastEEEviT_T0_T2_T3_T4_T5_
		.amdhsa_group_segment_fixed_size 0
		.amdhsa_private_segment_fixed_size 0
		.amdhsa_kernarg_size 36
		.amdhsa_user_sgpr_count 6
		.amdhsa_user_sgpr_private_segment_buffer 1
		.amdhsa_user_sgpr_dispatch_ptr 0
		.amdhsa_user_sgpr_queue_ptr 0
		.amdhsa_user_sgpr_kernarg_segment_ptr 1
		.amdhsa_user_sgpr_dispatch_id 0
		.amdhsa_user_sgpr_flat_scratch_init 0
		.amdhsa_user_sgpr_kernarg_preload_length 0
		.amdhsa_user_sgpr_kernarg_preload_offset 0
		.amdhsa_user_sgpr_private_segment_size 0
		.amdhsa_uses_dynamic_stack 0
		.amdhsa_system_sgpr_private_segment_wavefront_offset 0
		.amdhsa_system_sgpr_workgroup_id_x 1
		.amdhsa_system_sgpr_workgroup_id_y 0
		.amdhsa_system_sgpr_workgroup_id_z 0
		.amdhsa_system_sgpr_workgroup_info 0
		.amdhsa_system_vgpr_workitem_id 0
		.amdhsa_next_free_vgpr 30
		.amdhsa_next_free_sgpr 20
		.amdhsa_accum_offset 32
		.amdhsa_reserve_vcc 1
		.amdhsa_reserve_flat_scratch 0
		.amdhsa_float_round_mode_32 0
		.amdhsa_float_round_mode_16_64 0
		.amdhsa_float_denorm_mode_32 3
		.amdhsa_float_denorm_mode_16_64 3
		.amdhsa_dx10_clamp 1
		.amdhsa_ieee_mode 1
		.amdhsa_fp16_overflow 0
		.amdhsa_tg_split 0
		.amdhsa_exception_fp_ieee_invalid_op 0
		.amdhsa_exception_fp_denorm_src 0
		.amdhsa_exception_fp_ieee_div_zero 0
		.amdhsa_exception_fp_ieee_overflow 0
		.amdhsa_exception_fp_ieee_underflow 0
		.amdhsa_exception_fp_ieee_inexact 0
		.amdhsa_exception_int_div_zero 0
	.end_amdhsa_kernel
	.section	.text._ZN2at6native27unrolled_elementwise_kernelINS0_13BinaryFunctorIdddZZZNS0_12_GLOBAL__N_133hermite_polynomial_he_kernel_cudaERNS_18TensorIteratorBaseEENKUlvE_clEvENKUlvE_clEvEUlddE_EESt5arrayIPcLm3EELi4E23TrivialOffsetCalculatorILi2EjESD_ILi1EjENS0_6memory15LoadWithoutCastENSG_16StoreWithoutCastEEEviT_T0_T2_T3_T4_T5_,"axG",@progbits,_ZN2at6native27unrolled_elementwise_kernelINS0_13BinaryFunctorIdddZZZNS0_12_GLOBAL__N_133hermite_polynomial_he_kernel_cudaERNS_18TensorIteratorBaseEENKUlvE_clEvENKUlvE_clEvEUlddE_EESt5arrayIPcLm3EELi4E23TrivialOffsetCalculatorILi2EjESD_ILi1EjENS0_6memory15LoadWithoutCastENSG_16StoreWithoutCastEEEviT_T0_T2_T3_T4_T5_,comdat
.Lfunc_end20:
	.size	_ZN2at6native27unrolled_elementwise_kernelINS0_13BinaryFunctorIdddZZZNS0_12_GLOBAL__N_133hermite_polynomial_he_kernel_cudaERNS_18TensorIteratorBaseEENKUlvE_clEvENKUlvE_clEvEUlddE_EESt5arrayIPcLm3EELi4E23TrivialOffsetCalculatorILi2EjESD_ILi1EjENS0_6memory15LoadWithoutCastENSG_16StoreWithoutCastEEEviT_T0_T2_T3_T4_T5_, .Lfunc_end20-_ZN2at6native27unrolled_elementwise_kernelINS0_13BinaryFunctorIdddZZZNS0_12_GLOBAL__N_133hermite_polynomial_he_kernel_cudaERNS_18TensorIteratorBaseEENKUlvE_clEvENKUlvE_clEvEUlddE_EESt5arrayIPcLm3EELi4E23TrivialOffsetCalculatorILi2EjESD_ILi1EjENS0_6memory15LoadWithoutCastENSG_16StoreWithoutCastEEEviT_T0_T2_T3_T4_T5_
                                        ; -- End function
	.section	.AMDGPU.csdata,"",@progbits
; Kernel info:
; codeLenInByte = 2024
; NumSgprs: 24
; NumVgprs: 30
; NumAgprs: 0
; TotalNumVgprs: 30
; ScratchSize: 0
; MemoryBound: 0
; FloatMode: 240
; IeeeMode: 1
; LDSByteSize: 0 bytes/workgroup (compile time only)
; SGPRBlocks: 2
; VGPRBlocks: 3
; NumSGPRsForWavesPerEU: 24
; NumVGPRsForWavesPerEU: 30
; AccumOffset: 32
; Occupancy: 8
; WaveLimiterHint : 0
; COMPUTE_PGM_RSRC2:SCRATCH_EN: 0
; COMPUTE_PGM_RSRC2:USER_SGPR: 6
; COMPUTE_PGM_RSRC2:TRAP_HANDLER: 0
; COMPUTE_PGM_RSRC2:TGID_X_EN: 1
; COMPUTE_PGM_RSRC2:TGID_Y_EN: 0
; COMPUTE_PGM_RSRC2:TGID_Z_EN: 0
; COMPUTE_PGM_RSRC2:TIDIG_COMP_CNT: 0
; COMPUTE_PGM_RSRC3_GFX90A:ACCUM_OFFSET: 7
; COMPUTE_PGM_RSRC3_GFX90A:TG_SPLIT: 0
	.section	.text._ZN2at6native32elementwise_kernel_manual_unrollILi128ELi4EZNS0_22gpu_kernel_impl_nocastINS0_13BinaryFunctorIdddZZZNS0_12_GLOBAL__N_133hermite_polynomial_he_kernel_cudaERNS_18TensorIteratorBaseEENKUlvE_clEvENKUlvE_clEvEUlddE_EEEEvS6_RKT_EUlibE_EEviT1_,"axG",@progbits,_ZN2at6native32elementwise_kernel_manual_unrollILi128ELi4EZNS0_22gpu_kernel_impl_nocastINS0_13BinaryFunctorIdddZZZNS0_12_GLOBAL__N_133hermite_polynomial_he_kernel_cudaERNS_18TensorIteratorBaseEENKUlvE_clEvENKUlvE_clEvEUlddE_EEEEvS6_RKT_EUlibE_EEviT1_,comdat
	.globl	_ZN2at6native32elementwise_kernel_manual_unrollILi128ELi4EZNS0_22gpu_kernel_impl_nocastINS0_13BinaryFunctorIdddZZZNS0_12_GLOBAL__N_133hermite_polynomial_he_kernel_cudaERNS_18TensorIteratorBaseEENKUlvE_clEvENKUlvE_clEvEUlddE_EEEEvS6_RKT_EUlibE_EEviT1_ ; -- Begin function _ZN2at6native32elementwise_kernel_manual_unrollILi128ELi4EZNS0_22gpu_kernel_impl_nocastINS0_13BinaryFunctorIdddZZZNS0_12_GLOBAL__N_133hermite_polynomial_he_kernel_cudaERNS_18TensorIteratorBaseEENKUlvE_clEvENKUlvE_clEvEUlddE_EEEEvS6_RKT_EUlibE_EEviT1_
	.p2align	8
	.type	_ZN2at6native32elementwise_kernel_manual_unrollILi128ELi4EZNS0_22gpu_kernel_impl_nocastINS0_13BinaryFunctorIdddZZZNS0_12_GLOBAL__N_133hermite_polynomial_he_kernel_cudaERNS_18TensorIteratorBaseEENKUlvE_clEvENKUlvE_clEvEUlddE_EEEEvS6_RKT_EUlibE_EEviT1_,@function
_ZN2at6native32elementwise_kernel_manual_unrollILi128ELi4EZNS0_22gpu_kernel_impl_nocastINS0_13BinaryFunctorIdddZZZNS0_12_GLOBAL__N_133hermite_polynomial_he_kernel_cudaERNS_18TensorIteratorBaseEENKUlvE_clEvENKUlvE_clEvEUlddE_EEEEvS6_RKT_EUlibE_EEviT1_: ; @_ZN2at6native32elementwise_kernel_manual_unrollILi128ELi4EZNS0_22gpu_kernel_impl_nocastINS0_13BinaryFunctorIdddZZZNS0_12_GLOBAL__N_133hermite_polynomial_he_kernel_cudaERNS_18TensorIteratorBaseEENKUlvE_clEvENKUlvE_clEvEUlddE_EEEEvS6_RKT_EUlibE_EEviT1_
; %bb.0:
	s_load_dword s46, s[4:5], 0x0
	s_load_dword s33, s[4:5], 0x8
	s_or_b32 s4, s4, 8
	v_lshl_or_b32 v14, s6, 9, v0
	v_or_b32_e32 v24, 0x180, v14
	s_waitcnt lgkmcnt(0)
	v_cmp_le_i32_e32 vcc, s46, v24
	s_add_i32 s44, s33, -1
	s_cmp_gt_u32 s44, 1
	s_cselect_b64 s[6:7], -1, 0
	s_and_saveexec_b64 s[0:1], vcc
	s_xor_b64 s[16:17], exec, s[0:1]
	s_cbranch_execz .LBB21_98
; %bb.1:
	s_load_dwordx4 s[12:15], s[4:5], 0x4
	s_load_dwordx2 s[22:23], s[4:5], 0x14
	s_load_dwordx4 s[8:11], s[4:5], 0xc4
	s_load_dwordx2 s[20:21], s[4:5], 0xd4
	s_load_dwordx2 s[18:19], s[4:5], 0x198
	s_load_dwordx4 s[0:3], s[4:5], 0x188
	s_cmp_lg_u32 s33, 0
	s_cselect_b64 s[26:27], -1, 0
	s_min_u32 s45, s44, 15
	s_cmp_gt_u32 s33, 1
	s_cselect_b64 s[24:25], -1, 0
	v_cmp_gt_i32_e32 vcc, s46, v14
	s_and_saveexec_b64 s[28:29], vcc
	s_cbranch_execnz .LBB21_5
; %bb.2:
	s_or_b64 exec, exec, s[28:29]
	v_cmp_gt_i32_e32 vcc, s46, v14
	s_and_saveexec_b64 s[28:29], vcc
	s_cbranch_execnz .LBB21_28
.LBB21_3:
	s_or_b64 exec, exec, s[28:29]
	v_cmp_gt_i32_e32 vcc, s46, v14
	s_and_saveexec_b64 s[28:29], vcc
	s_cbranch_execnz .LBB21_51
.LBB21_4:
	s_or_b64 exec, exec, s[28:29]
	v_cmp_gt_i32_e32 vcc, s46, v14
	s_and_saveexec_b64 s[28:29], vcc
	s_cbranch_execnz .LBB21_74
	s_branch .LBB21_97
.LBB21_5:
	s_andn2_b64 vcc, exec, s[6:7]
	s_cbranch_vccnz .LBB21_12
; %bb.6:
	s_andn2_b64 vcc, exec, s[26:27]
	v_mov_b32_e32 v4, 0
	v_mov_b32_e32 v2, 0
	;; [unrolled: 1-line block ×3, first 2 shown]
	s_cbranch_vccnz .LBB21_11
; %bb.7:
	s_add_i32 s30, s45, 1
	s_and_b32 s34, s30, 30
	s_add_u32 s30, s4, 0xffffffec
	s_addc_u32 s31, s5, -1
	v_mov_b32_e32 v0, 0
	v_mov_b32_e32 v1, v14
	;; [unrolled: 1-line block ×4, first 2 shown]
.LBB21_8:                               ; =>This Inner Loop Header: Depth=1
	s_mov_b64 s[48:49], s[30:31]
	s_load_dwordx4 s[36:39], s[48:49], 0x18
	s_load_dwordx2 s[50:51], s[48:49], 0x28
	s_load_dwordx2 s[52:53], s[48:49], 0xe8
	s_load_dwordx4 s[40:43], s[48:49], 0xd8
	s_add_u32 s30, s48, 24
	s_waitcnt lgkmcnt(0)
	v_mul_hi_u32 v3, s37, v1
	v_add_u32_e32 v3, v1, v3
	v_lshrrev_b32_e32 v3, s38, v3
	v_mul_lo_u32 v5, v3, s36
	v_mul_hi_u32 v6, s50, v3
	v_sub_u32_e32 v1, v1, v5
	v_add_u32_e32 v5, v3, v6
	v_mul_lo_u32 v6, v1, s40
	v_mul_lo_u32 v7, v1, s41
	;; [unrolled: 1-line block ×3, first 2 shown]
	v_lshrrev_b32_e32 v1, s51, v5
	v_mul_lo_u32 v5, v1, s39
	v_sub_u32_e32 v3, v3, v5
	s_addc_u32 s31, s49, 0
	s_add_i32 s34, s34, -2
	v_mul_lo_u32 v5, v3, s43
	v_mul_lo_u32 v9, v3, s52
	;; [unrolled: 1-line block ×3, first 2 shown]
	s_cmp_lg_u32 s34, 0
	v_add3_u32 v0, v6, v0, v5
	v_add3_u32 v4, v8, v4, v3
	v_add3_u32 v2, v7, v2, v9
	s_cbranch_scc1 .LBB21_8
; %bb.9:
	s_bitcmp1_b32 s45, 0
	s_cselect_b64 s[34:35], -1, 0
	s_and_b64 vcc, exec, s[34:35]
	s_cbranch_vccnz .LBB21_11
; %bb.10:
	s_load_dwordx2 s[34:35], s[30:31], 0x18
	s_load_dword s38, s[30:31], 0x20
	s_load_dword s39, s[30:31], 0xe0
	s_load_dwordx2 s[36:37], s[30:31], 0xd8
	s_waitcnt lgkmcnt(0)
	v_mul_hi_u32 v3, s35, v1
	v_add_u32_e32 v3, v1, v3
	v_lshrrev_b32_e32 v3, s38, v3
	v_mul_lo_u32 v3, v3, s34
	v_sub_u32_e32 v5, v1, v3
	v_mad_u64_u32 v[0:1], s[30:31], v5, s36, v[0:1]
	v_mad_u64_u32 v[2:3], s[30:31], v5, s37, v[2:3]
	;; [unrolled: 1-line block ×3, first 2 shown]
.LBB21_11:
	s_cbranch_execz .LBB21_13
	s_branch .LBB21_15
.LBB21_12:
                                        ; implicit-def: $vgpr4
                                        ; implicit-def: $vgpr2
                                        ; implicit-def: $vgpr0
.LBB21_13:
	s_waitcnt lgkmcnt(0)
	v_mul_hi_u32 v0, s13, v14
	v_add_u32_e32 v0, v14, v0
	v_lshrrev_b32_e32 v1, s14, v0
	v_mul_lo_u32 v0, v1, s12
	v_sub_u32_e32 v2, v14, v0
	v_mul_lo_u32 v0, v2, s8
	v_mul_lo_u32 v4, v2, s10
	s_andn2_b64 vcc, exec, s[24:25]
	v_mul_lo_u32 v2, v2, s9
	s_cbranch_vccnz .LBB21_15
; %bb.14:
	v_mul_hi_u32 v3, s22, v1
	v_add_u32_e32 v3, v1, v3
	v_lshrrev_b32_e32 v3, s23, v3
	v_mul_lo_u32 v3, v3, s15
	v_sub_u32_e32 v5, v1, v3
	v_mad_u64_u32 v[0:1], s[30:31], v5, s11, v[0:1]
	v_mad_u64_u32 v[2:3], s[30:31], v5, s20, v[2:3]
	;; [unrolled: 1-line block ×3, first 2 shown]
.LBB21_15:
	s_waitcnt lgkmcnt(0)
	global_load_dwordx2 v[4:5], v4, s[18:19]
	s_movk_i32 s30, 0xffe0
	s_waitcnt vmcnt(0)
	v_trunc_f64_e32 v[6:7], v[4:5]
	v_ldexp_f64 v[4:5], v[6:7], s30
	v_floor_f64_e32 v[4:5], v[4:5]
	v_fmac_f64_e32 v[6:7], 0xc1f00000, v[4:5]
	v_cvt_i32_f64_e32 v5, v[4:5]
	v_cvt_u32_f64_e32 v4, v[6:7]
	v_cmp_lt_i64_e32 vcc, -1, v[4:5]
	v_pk_mov_b32 v[6:7], 0, 0
	s_and_saveexec_b64 s[30:31], vcc
	s_cbranch_execz .LBB21_27
; %bb.16:
	v_mov_b32_e32 v6, 0
	v_cmp_lt_i64_e32 vcc, 0, v[4:5]
	v_mov_b32_e32 v7, 0x3ff00000
	s_and_saveexec_b64 s[34:35], vcc
	s_cbranch_execz .LBB21_26
; %bb.17:
	global_load_dwordx2 v[2:3], v2, s[2:3]
	v_cmp_ne_u64_e32 vcc, 1, v[4:5]
                                        ; implicit-def: $vgpr6_vgpr7
	s_and_saveexec_b64 s[36:37], vcc
	s_xor_b64 s[36:37], exec, s[36:37]
	s_cbranch_execz .LBB21_23
; %bb.18:
	s_mov_b64 s[38:39], 0x201
	v_mov_b32_e32 v6, 0
	v_cmp_gt_u64_e32 vcc, s[38:39], v[4:5]
	v_mov_b32_e32 v7, 0x7ff80000
	s_and_saveexec_b64 s[38:39], vcc
	s_cbranch_execz .LBB21_22
; %bb.19:
	v_mov_b32_e32 v8, 0
	s_mov_b64 s[42:43], 1
	s_mov_b64 s[40:41], 0
	v_mov_b32_e32 v9, 0x3ff00000
	s_waitcnt vmcnt(0)
	v_pk_mov_b32 v[6:7], v[2:3], v[2:3] op_sel:[0,1]
.LBB21_20:                              ; =>This Inner Loop Header: Depth=1
	v_cvt_f64_u32_e32 v[10:11], s43
	v_cvt_f64_u32_e32 v[12:13], s42
	s_add_u32 s42, s42, 1
	v_ldexp_f64 v[10:11], v[10:11], 32
	s_addc_u32 s43, s43, 0
	v_add_f64 v[10:11], v[10:11], v[12:13]
	v_cmp_eq_u64_e32 vcc, s[42:43], v[4:5]
	v_mul_f64 v[10:11], v[8:9], v[10:11]
	s_or_b64 s[40:41], vcc, s[40:41]
	v_pk_mov_b32 v[8:9], v[6:7], v[6:7] op_sel:[0,1]
	v_fma_f64 v[6:7], v[2:3], v[6:7], -v[10:11]
	s_andn2_b64 exec, exec, s[40:41]
	s_cbranch_execnz .LBB21_20
; %bb.21:
	s_or_b64 exec, exec, s[40:41]
.LBB21_22:
	s_or_b64 exec, exec, s[38:39]
                                        ; implicit-def: $vgpr2_vgpr3
.LBB21_23:
	s_andn2_saveexec_b64 s[36:37], s[36:37]
	s_cbranch_execz .LBB21_25
; %bb.24:
	s_waitcnt vmcnt(0)
	v_pk_mov_b32 v[6:7], v[2:3], v[2:3] op_sel:[0,1]
.LBB21_25:
	s_or_b64 exec, exec, s[36:37]
.LBB21_26:
	s_or_b64 exec, exec, s[34:35]
.LBB21_27:
	s_or_b64 exec, exec, s[30:31]
	v_add_u32_e32 v14, 0x80, v14
	global_store_dwordx2 v0, v[6:7], s[0:1]
	s_or_b64 exec, exec, s[28:29]
	v_cmp_gt_i32_e32 vcc, s46, v14
	s_and_saveexec_b64 s[28:29], vcc
	s_cbranch_execz .LBB21_3
.LBB21_28:
	s_andn2_b64 vcc, exec, s[6:7]
	s_cbranch_vccnz .LBB21_35
; %bb.29:
	s_andn2_b64 vcc, exec, s[26:27]
	v_mov_b32_e32 v4, 0
	s_waitcnt vmcnt(1)
	v_mov_b32_e32 v2, 0
	v_mov_b32_e32 v0, 0
	s_cbranch_vccnz .LBB21_34
; %bb.30:
	s_add_i32 s30, s45, 1
	s_and_b32 s34, s30, 30
	s_add_u32 s30, s4, 0xffffffec
	s_addc_u32 s31, s5, -1
	v_mov_b32_e32 v0, 0
	v_mov_b32_e32 v1, v14
	;; [unrolled: 1-line block ×4, first 2 shown]
.LBB21_31:                              ; =>This Inner Loop Header: Depth=1
	s_mov_b64 s[48:49], s[30:31]
	s_load_dwordx4 s[36:39], s[48:49], 0x18
	s_load_dwordx2 s[50:51], s[48:49], 0x28
	s_load_dwordx2 s[52:53], s[48:49], 0xe8
	s_load_dwordx4 s[40:43], s[48:49], 0xd8
	s_add_u32 s30, s48, 24
	s_waitcnt lgkmcnt(0)
	v_mul_hi_u32 v3, s37, v1
	v_add_u32_e32 v3, v1, v3
	v_lshrrev_b32_e32 v3, s38, v3
	v_mul_lo_u32 v5, v3, s36
	v_mul_hi_u32 v6, s50, v3
	v_sub_u32_e32 v1, v1, v5
	v_add_u32_e32 v5, v3, v6
	v_mul_lo_u32 v6, v1, s40
	v_mul_lo_u32 v7, v1, s41
	;; [unrolled: 1-line block ×3, first 2 shown]
	v_lshrrev_b32_e32 v1, s51, v5
	v_mul_lo_u32 v5, v1, s39
	v_sub_u32_e32 v3, v3, v5
	s_addc_u32 s31, s49, 0
	s_add_i32 s34, s34, -2
	v_mul_lo_u32 v5, v3, s43
	v_mul_lo_u32 v9, v3, s52
	;; [unrolled: 1-line block ×3, first 2 shown]
	s_cmp_eq_u32 s34, 0
	v_add3_u32 v0, v6, v0, v5
	v_add3_u32 v4, v8, v4, v3
	;; [unrolled: 1-line block ×3, first 2 shown]
	s_cbranch_scc0 .LBB21_31
; %bb.32:
	s_bitcmp1_b32 s45, 0
	s_cselect_b64 s[34:35], -1, 0
	s_and_b64 vcc, exec, s[34:35]
	s_cbranch_vccnz .LBB21_34
; %bb.33:
	s_load_dwordx2 s[34:35], s[30:31], 0x18
	s_load_dword s38, s[30:31], 0x20
	s_load_dword s39, s[30:31], 0xe0
	s_load_dwordx2 s[36:37], s[30:31], 0xd8
	s_waitcnt lgkmcnt(0)
	v_mul_hi_u32 v3, s35, v1
	v_add_u32_e32 v3, v1, v3
	v_lshrrev_b32_e32 v3, s38, v3
	v_mul_lo_u32 v3, v3, s34
	v_sub_u32_e32 v5, v1, v3
	v_mad_u64_u32 v[0:1], s[30:31], v5, s36, v[0:1]
	v_mad_u64_u32 v[2:3], s[30:31], v5, s37, v[2:3]
	;; [unrolled: 1-line block ×3, first 2 shown]
.LBB21_34:
	s_cbranch_execz .LBB21_36
	s_branch .LBB21_38
.LBB21_35:
                                        ; implicit-def: $vgpr4
                                        ; implicit-def: $vgpr2
                                        ; implicit-def: $vgpr0
.LBB21_36:
	s_waitcnt lgkmcnt(0)
	v_mul_hi_u32 v0, s13, v14
	v_add_u32_e32 v0, v14, v0
	v_lshrrev_b32_e32 v1, s14, v0
	v_mul_lo_u32 v0, v1, s12
	s_waitcnt vmcnt(1)
	v_sub_u32_e32 v2, v14, v0
	v_mul_lo_u32 v0, v2, s8
	v_mul_lo_u32 v4, v2, s10
	s_andn2_b64 vcc, exec, s[24:25]
	v_mul_lo_u32 v2, v2, s9
	s_cbranch_vccnz .LBB21_38
; %bb.37:
	v_mul_hi_u32 v3, s22, v1
	v_add_u32_e32 v3, v1, v3
	v_lshrrev_b32_e32 v3, s23, v3
	v_mul_lo_u32 v3, v3, s15
	v_sub_u32_e32 v5, v1, v3
	v_mad_u64_u32 v[0:1], s[30:31], v5, s11, v[0:1]
	v_mad_u64_u32 v[2:3], s[30:31], v5, s20, v[2:3]
	;; [unrolled: 1-line block ×3, first 2 shown]
.LBB21_38:
	s_waitcnt lgkmcnt(0)
	global_load_dwordx2 v[4:5], v4, s[18:19]
	s_movk_i32 s30, 0xffe0
	s_waitcnt vmcnt(0)
	v_trunc_f64_e32 v[6:7], v[4:5]
	v_ldexp_f64 v[4:5], v[6:7], s30
	v_floor_f64_e32 v[4:5], v[4:5]
	v_fmac_f64_e32 v[6:7], 0xc1f00000, v[4:5]
	v_cvt_i32_f64_e32 v5, v[4:5]
	v_cvt_u32_f64_e32 v4, v[6:7]
	v_cmp_lt_i64_e32 vcc, -1, v[4:5]
	v_pk_mov_b32 v[6:7], 0, 0
	s_and_saveexec_b64 s[30:31], vcc
	s_cbranch_execz .LBB21_50
; %bb.39:
	v_mov_b32_e32 v6, 0
	v_cmp_lt_i64_e32 vcc, 0, v[4:5]
	v_mov_b32_e32 v7, 0x3ff00000
	s_and_saveexec_b64 s[34:35], vcc
	s_cbranch_execz .LBB21_49
; %bb.40:
	global_load_dwordx2 v[2:3], v2, s[2:3]
	v_cmp_ne_u64_e32 vcc, 1, v[4:5]
                                        ; implicit-def: $vgpr6_vgpr7
	s_and_saveexec_b64 s[36:37], vcc
	s_xor_b64 s[36:37], exec, s[36:37]
	s_cbranch_execz .LBB21_46
; %bb.41:
	s_mov_b64 s[38:39], 0x201
	v_mov_b32_e32 v6, 0
	v_cmp_gt_u64_e32 vcc, s[38:39], v[4:5]
	v_mov_b32_e32 v7, 0x7ff80000
	s_and_saveexec_b64 s[38:39], vcc
	s_cbranch_execz .LBB21_45
; %bb.42:
	v_mov_b32_e32 v8, 0
	s_mov_b64 s[42:43], 1
	s_mov_b64 s[40:41], 0
	v_mov_b32_e32 v9, 0x3ff00000
	s_waitcnt vmcnt(0)
	v_pk_mov_b32 v[6:7], v[2:3], v[2:3] op_sel:[0,1]
.LBB21_43:                              ; =>This Inner Loop Header: Depth=1
	v_cvt_f64_u32_e32 v[10:11], s43
	v_cvt_f64_u32_e32 v[12:13], s42
	s_add_u32 s42, s42, 1
	v_ldexp_f64 v[10:11], v[10:11], 32
	s_addc_u32 s43, s43, 0
	v_add_f64 v[10:11], v[10:11], v[12:13]
	v_cmp_eq_u64_e32 vcc, s[42:43], v[4:5]
	v_mul_f64 v[10:11], v[8:9], v[10:11]
	s_or_b64 s[40:41], vcc, s[40:41]
	v_pk_mov_b32 v[8:9], v[6:7], v[6:7] op_sel:[0,1]
	v_fma_f64 v[6:7], v[2:3], v[6:7], -v[10:11]
	s_andn2_b64 exec, exec, s[40:41]
	s_cbranch_execnz .LBB21_43
; %bb.44:
	s_or_b64 exec, exec, s[40:41]
.LBB21_45:
	s_or_b64 exec, exec, s[38:39]
                                        ; implicit-def: $vgpr2_vgpr3
.LBB21_46:
	s_andn2_saveexec_b64 s[36:37], s[36:37]
	s_cbranch_execz .LBB21_48
; %bb.47:
	s_waitcnt vmcnt(0)
	v_pk_mov_b32 v[6:7], v[2:3], v[2:3] op_sel:[0,1]
.LBB21_48:
	s_or_b64 exec, exec, s[36:37]
.LBB21_49:
	s_or_b64 exec, exec, s[34:35]
.LBB21_50:
	s_or_b64 exec, exec, s[30:31]
	v_add_u32_e32 v14, 0x80, v14
	global_store_dwordx2 v0, v[6:7], s[0:1]
	s_or_b64 exec, exec, s[28:29]
	v_cmp_gt_i32_e32 vcc, s46, v14
	s_and_saveexec_b64 s[28:29], vcc
	s_cbranch_execz .LBB21_4
.LBB21_51:
	s_andn2_b64 vcc, exec, s[6:7]
	s_cbranch_vccnz .LBB21_58
; %bb.52:
	s_andn2_b64 vcc, exec, s[26:27]
	v_mov_b32_e32 v4, 0
	s_waitcnt vmcnt(1)
	v_mov_b32_e32 v2, 0
	v_mov_b32_e32 v0, 0
	s_cbranch_vccnz .LBB21_57
; %bb.53:
	s_add_i32 s30, s45, 1
	s_and_b32 s34, s30, 30
	s_add_u32 s30, s4, 0xffffffec
	s_addc_u32 s31, s5, -1
	v_mov_b32_e32 v0, 0
	v_mov_b32_e32 v1, v14
	;; [unrolled: 1-line block ×4, first 2 shown]
.LBB21_54:                              ; =>This Inner Loop Header: Depth=1
	s_mov_b64 s[48:49], s[30:31]
	s_load_dwordx4 s[36:39], s[48:49], 0x18
	s_load_dwordx2 s[50:51], s[48:49], 0x28
	s_load_dwordx2 s[52:53], s[48:49], 0xe8
	s_load_dwordx4 s[40:43], s[48:49], 0xd8
	s_add_u32 s30, s48, 24
	s_waitcnt lgkmcnt(0)
	v_mul_hi_u32 v3, s37, v1
	v_add_u32_e32 v3, v1, v3
	v_lshrrev_b32_e32 v3, s38, v3
	v_mul_lo_u32 v5, v3, s36
	v_mul_hi_u32 v6, s50, v3
	v_sub_u32_e32 v1, v1, v5
	v_add_u32_e32 v5, v3, v6
	v_mul_lo_u32 v6, v1, s40
	v_mul_lo_u32 v7, v1, s41
	v_mul_lo_u32 v8, v1, s42
	v_lshrrev_b32_e32 v1, s51, v5
	v_mul_lo_u32 v5, v1, s39
	v_sub_u32_e32 v3, v3, v5
	s_addc_u32 s31, s49, 0
	s_add_i32 s34, s34, -2
	v_mul_lo_u32 v5, v3, s43
	v_mul_lo_u32 v9, v3, s52
	;; [unrolled: 1-line block ×3, first 2 shown]
	s_cmp_eq_u32 s34, 0
	v_add3_u32 v0, v6, v0, v5
	v_add3_u32 v4, v8, v4, v3
	;; [unrolled: 1-line block ×3, first 2 shown]
	s_cbranch_scc0 .LBB21_54
; %bb.55:
	s_bitcmp1_b32 s45, 0
	s_cselect_b64 s[34:35], -1, 0
	s_and_b64 vcc, exec, s[34:35]
	s_cbranch_vccnz .LBB21_57
; %bb.56:
	s_load_dwordx2 s[34:35], s[30:31], 0x18
	s_load_dword s38, s[30:31], 0x20
	s_load_dword s39, s[30:31], 0xe0
	s_load_dwordx2 s[36:37], s[30:31], 0xd8
	s_waitcnt lgkmcnt(0)
	v_mul_hi_u32 v3, s35, v1
	v_add_u32_e32 v3, v1, v3
	v_lshrrev_b32_e32 v3, s38, v3
	v_mul_lo_u32 v3, v3, s34
	v_sub_u32_e32 v5, v1, v3
	v_mad_u64_u32 v[0:1], s[30:31], v5, s36, v[0:1]
	v_mad_u64_u32 v[2:3], s[30:31], v5, s37, v[2:3]
	;; [unrolled: 1-line block ×3, first 2 shown]
.LBB21_57:
	s_cbranch_execz .LBB21_59
	s_branch .LBB21_61
.LBB21_58:
                                        ; implicit-def: $vgpr4
                                        ; implicit-def: $vgpr2
                                        ; implicit-def: $vgpr0
.LBB21_59:
	s_waitcnt lgkmcnt(0)
	v_mul_hi_u32 v0, s13, v14
	v_add_u32_e32 v0, v14, v0
	v_lshrrev_b32_e32 v1, s14, v0
	v_mul_lo_u32 v0, v1, s12
	s_waitcnt vmcnt(1)
	v_sub_u32_e32 v2, v14, v0
	v_mul_lo_u32 v0, v2, s8
	v_mul_lo_u32 v4, v2, s10
	s_andn2_b64 vcc, exec, s[24:25]
	v_mul_lo_u32 v2, v2, s9
	s_cbranch_vccnz .LBB21_61
; %bb.60:
	v_mul_hi_u32 v3, s22, v1
	v_add_u32_e32 v3, v1, v3
	v_lshrrev_b32_e32 v3, s23, v3
	v_mul_lo_u32 v3, v3, s15
	v_sub_u32_e32 v5, v1, v3
	v_mad_u64_u32 v[0:1], s[30:31], v5, s11, v[0:1]
	v_mad_u64_u32 v[2:3], s[30:31], v5, s20, v[2:3]
	;; [unrolled: 1-line block ×3, first 2 shown]
.LBB21_61:
	s_waitcnt lgkmcnt(0)
	global_load_dwordx2 v[4:5], v4, s[18:19]
	s_movk_i32 s30, 0xffe0
	s_waitcnt vmcnt(0)
	v_trunc_f64_e32 v[6:7], v[4:5]
	v_ldexp_f64 v[4:5], v[6:7], s30
	v_floor_f64_e32 v[4:5], v[4:5]
	v_fmac_f64_e32 v[6:7], 0xc1f00000, v[4:5]
	v_cvt_i32_f64_e32 v5, v[4:5]
	v_cvt_u32_f64_e32 v4, v[6:7]
	v_cmp_lt_i64_e32 vcc, -1, v[4:5]
	v_pk_mov_b32 v[6:7], 0, 0
	s_and_saveexec_b64 s[30:31], vcc
	s_cbranch_execz .LBB21_73
; %bb.62:
	v_mov_b32_e32 v6, 0
	v_cmp_lt_i64_e32 vcc, 0, v[4:5]
	v_mov_b32_e32 v7, 0x3ff00000
	s_and_saveexec_b64 s[34:35], vcc
	s_cbranch_execz .LBB21_72
; %bb.63:
	global_load_dwordx2 v[2:3], v2, s[2:3]
	v_cmp_ne_u64_e32 vcc, 1, v[4:5]
                                        ; implicit-def: $vgpr6_vgpr7
	s_and_saveexec_b64 s[36:37], vcc
	s_xor_b64 s[36:37], exec, s[36:37]
	s_cbranch_execz .LBB21_69
; %bb.64:
	s_mov_b64 s[38:39], 0x201
	v_mov_b32_e32 v6, 0
	v_cmp_gt_u64_e32 vcc, s[38:39], v[4:5]
	v_mov_b32_e32 v7, 0x7ff80000
	s_and_saveexec_b64 s[38:39], vcc
	s_cbranch_execz .LBB21_68
; %bb.65:
	v_mov_b32_e32 v8, 0
	s_mov_b64 s[42:43], 1
	s_mov_b64 s[40:41], 0
	v_mov_b32_e32 v9, 0x3ff00000
	s_waitcnt vmcnt(0)
	v_pk_mov_b32 v[6:7], v[2:3], v[2:3] op_sel:[0,1]
.LBB21_66:                              ; =>This Inner Loop Header: Depth=1
	v_cvt_f64_u32_e32 v[10:11], s43
	v_cvt_f64_u32_e32 v[12:13], s42
	s_add_u32 s42, s42, 1
	v_ldexp_f64 v[10:11], v[10:11], 32
	s_addc_u32 s43, s43, 0
	v_add_f64 v[10:11], v[10:11], v[12:13]
	v_cmp_eq_u64_e32 vcc, s[42:43], v[4:5]
	v_mul_f64 v[10:11], v[8:9], v[10:11]
	s_or_b64 s[40:41], vcc, s[40:41]
	v_pk_mov_b32 v[8:9], v[6:7], v[6:7] op_sel:[0,1]
	v_fma_f64 v[6:7], v[2:3], v[6:7], -v[10:11]
	s_andn2_b64 exec, exec, s[40:41]
	s_cbranch_execnz .LBB21_66
; %bb.67:
	s_or_b64 exec, exec, s[40:41]
.LBB21_68:
	s_or_b64 exec, exec, s[38:39]
                                        ; implicit-def: $vgpr2_vgpr3
.LBB21_69:
	s_andn2_saveexec_b64 s[36:37], s[36:37]
	s_cbranch_execz .LBB21_71
; %bb.70:
	s_waitcnt vmcnt(0)
	v_pk_mov_b32 v[6:7], v[2:3], v[2:3] op_sel:[0,1]
.LBB21_71:
	s_or_b64 exec, exec, s[36:37]
.LBB21_72:
	s_or_b64 exec, exec, s[34:35]
.LBB21_73:
	s_or_b64 exec, exec, s[30:31]
	v_add_u32_e32 v14, 0x80, v14
	global_store_dwordx2 v0, v[6:7], s[0:1]
	s_or_b64 exec, exec, s[28:29]
	v_cmp_gt_i32_e32 vcc, s46, v14
	s_and_saveexec_b64 s[28:29], vcc
	s_cbranch_execz .LBB21_97
.LBB21_74:
	s_andn2_b64 vcc, exec, s[6:7]
	s_cbranch_vccnz .LBB21_81
; %bb.75:
	s_andn2_b64 vcc, exec, s[26:27]
	v_mov_b32_e32 v4, 0
	s_waitcnt vmcnt(1)
	v_mov_b32_e32 v2, 0
	v_mov_b32_e32 v0, 0
	s_cbranch_vccnz .LBB21_80
; %bb.76:
	s_add_i32 s26, s45, 1
	s_and_b32 s30, s26, 30
	s_add_u32 s26, s4, 0xffffffec
	s_addc_u32 s27, s5, -1
	v_mov_b32_e32 v0, 0
	v_mov_b32_e32 v1, v14
	;; [unrolled: 1-line block ×4, first 2 shown]
.LBB21_77:                              ; =>This Inner Loop Header: Depth=1
	s_mov_b64 s[34:35], s[26:27]
	s_load_dwordx4 s[36:39], s[34:35], 0x18
	s_load_dwordx2 s[46:47], s[34:35], 0x28
	s_load_dwordx2 s[48:49], s[34:35], 0xe8
	s_load_dwordx4 s[40:43], s[34:35], 0xd8
	s_add_u32 s26, s34, 24
	s_waitcnt lgkmcnt(0)
	v_mul_hi_u32 v3, s37, v1
	v_add_u32_e32 v3, v1, v3
	v_lshrrev_b32_e32 v3, s38, v3
	v_mul_lo_u32 v5, v3, s36
	v_mul_hi_u32 v6, s46, v3
	v_sub_u32_e32 v1, v1, v5
	v_add_u32_e32 v5, v3, v6
	v_mul_lo_u32 v6, v1, s40
	v_mul_lo_u32 v7, v1, s41
	;; [unrolled: 1-line block ×3, first 2 shown]
	v_lshrrev_b32_e32 v1, s47, v5
	v_mul_lo_u32 v5, v1, s39
	v_sub_u32_e32 v3, v3, v5
	s_addc_u32 s27, s35, 0
	s_add_i32 s30, s30, -2
	v_mul_lo_u32 v5, v3, s43
	v_mul_lo_u32 v9, v3, s48
	;; [unrolled: 1-line block ×3, first 2 shown]
	s_cmp_eq_u32 s30, 0
	v_add3_u32 v0, v6, v0, v5
	v_add3_u32 v4, v8, v4, v3
	;; [unrolled: 1-line block ×3, first 2 shown]
	s_cbranch_scc0 .LBB21_77
; %bb.78:
	s_bitcmp1_b32 s45, 0
	s_cselect_b64 s[30:31], -1, 0
	s_and_b64 vcc, exec, s[30:31]
	s_cbranch_vccnz .LBB21_80
; %bb.79:
	s_load_dwordx2 s[30:31], s[26:27], 0x18
	s_load_dword s36, s[26:27], 0x20
	s_load_dword s37, s[26:27], 0xe0
	s_load_dwordx2 s[34:35], s[26:27], 0xd8
	s_waitcnt lgkmcnt(0)
	v_mul_hi_u32 v3, s31, v1
	v_add_u32_e32 v3, v1, v3
	v_lshrrev_b32_e32 v3, s36, v3
	v_mul_lo_u32 v3, v3, s30
	v_sub_u32_e32 v5, v1, v3
	v_mad_u64_u32 v[0:1], s[26:27], v5, s34, v[0:1]
	v_mad_u64_u32 v[2:3], s[26:27], v5, s35, v[2:3]
	;; [unrolled: 1-line block ×3, first 2 shown]
.LBB21_80:
	s_cbranch_execz .LBB21_82
	s_branch .LBB21_84
.LBB21_81:
                                        ; implicit-def: $vgpr4
                                        ; implicit-def: $vgpr2
                                        ; implicit-def: $vgpr0
.LBB21_82:
	s_waitcnt lgkmcnt(0)
	v_mul_hi_u32 v0, s13, v14
	v_add_u32_e32 v0, v14, v0
	v_lshrrev_b32_e32 v1, s14, v0
	v_mul_lo_u32 v0, v1, s12
	s_waitcnt vmcnt(1)
	v_sub_u32_e32 v2, v14, v0
	v_mul_lo_u32 v0, v2, s8
	v_mul_lo_u32 v4, v2, s10
	s_andn2_b64 vcc, exec, s[24:25]
	v_mul_lo_u32 v2, v2, s9
	s_cbranch_vccnz .LBB21_84
; %bb.83:
	v_mul_hi_u32 v3, s22, v1
	v_add_u32_e32 v3, v1, v3
	v_lshrrev_b32_e32 v3, s23, v3
	v_mul_lo_u32 v3, v3, s15
	v_sub_u32_e32 v5, v1, v3
	v_mad_u64_u32 v[0:1], s[8:9], v5, s11, v[0:1]
	v_mad_u64_u32 v[2:3], s[8:9], v5, s20, v[2:3]
	;; [unrolled: 1-line block ×3, first 2 shown]
.LBB21_84:
	s_waitcnt lgkmcnt(0)
	global_load_dwordx2 v[4:5], v4, s[18:19]
	s_movk_i32 s8, 0xffe0
	s_waitcnt vmcnt(0)
	v_trunc_f64_e32 v[6:7], v[4:5]
	v_ldexp_f64 v[4:5], v[6:7], s8
	v_floor_f64_e32 v[4:5], v[4:5]
	v_fmac_f64_e32 v[6:7], 0xc1f00000, v[4:5]
	v_cvt_i32_f64_e32 v5, v[4:5]
	v_cvt_u32_f64_e32 v4, v[6:7]
	v_cmp_lt_i64_e32 vcc, -1, v[4:5]
	v_pk_mov_b32 v[6:7], 0, 0
	s_and_saveexec_b64 s[8:9], vcc
	s_cbranch_execz .LBB21_96
; %bb.85:
	v_mov_b32_e32 v6, 0
	v_cmp_lt_i64_e32 vcc, 0, v[4:5]
	v_mov_b32_e32 v7, 0x3ff00000
	s_and_saveexec_b64 s[10:11], vcc
	s_cbranch_execz .LBB21_95
; %bb.86:
	global_load_dwordx2 v[2:3], v2, s[2:3]
	v_cmp_ne_u64_e32 vcc, 1, v[4:5]
                                        ; implicit-def: $vgpr6_vgpr7
	s_and_saveexec_b64 s[2:3], vcc
	s_xor_b64 s[2:3], exec, s[2:3]
	s_cbranch_execz .LBB21_92
; %bb.87:
	s_mov_b64 s[12:13], 0x201
	v_mov_b32_e32 v6, 0
	v_cmp_gt_u64_e32 vcc, s[12:13], v[4:5]
	v_mov_b32_e32 v7, 0x7ff80000
	s_and_saveexec_b64 s[12:13], vcc
	s_cbranch_execz .LBB21_91
; %bb.88:
	v_mov_b32_e32 v8, 0
	s_mov_b64 s[18:19], 1
	s_mov_b64 s[14:15], 0
	v_mov_b32_e32 v9, 0x3ff00000
	s_waitcnt vmcnt(0)
	v_pk_mov_b32 v[6:7], v[2:3], v[2:3] op_sel:[0,1]
.LBB21_89:                              ; =>This Inner Loop Header: Depth=1
	v_cvt_f64_u32_e32 v[10:11], s19
	v_cvt_f64_u32_e32 v[12:13], s18
	s_add_u32 s18, s18, 1
	v_ldexp_f64 v[10:11], v[10:11], 32
	s_addc_u32 s19, s19, 0
	v_add_f64 v[10:11], v[10:11], v[12:13]
	v_cmp_eq_u64_e32 vcc, s[18:19], v[4:5]
	v_mul_f64 v[10:11], v[8:9], v[10:11]
	s_or_b64 s[14:15], vcc, s[14:15]
	v_pk_mov_b32 v[8:9], v[6:7], v[6:7] op_sel:[0,1]
	v_fma_f64 v[6:7], v[2:3], v[6:7], -v[10:11]
	s_andn2_b64 exec, exec, s[14:15]
	s_cbranch_execnz .LBB21_89
; %bb.90:
	s_or_b64 exec, exec, s[14:15]
.LBB21_91:
	s_or_b64 exec, exec, s[12:13]
                                        ; implicit-def: $vgpr2_vgpr3
.LBB21_92:
	s_andn2_saveexec_b64 s[2:3], s[2:3]
	s_cbranch_execz .LBB21_94
; %bb.93:
	s_waitcnt vmcnt(0)
	v_pk_mov_b32 v[6:7], v[2:3], v[2:3] op_sel:[0,1]
.LBB21_94:
	s_or_b64 exec, exec, s[2:3]
.LBB21_95:
	s_or_b64 exec, exec, s[10:11]
.LBB21_96:
	s_or_b64 exec, exec, s[8:9]
	global_store_dwordx2 v0, v[6:7], s[0:1]
.LBB21_97:
	s_or_b64 exec, exec, s[28:29]
                                        ; implicit-def: $vgpr24
                                        ; implicit-def: $vgpr14
.LBB21_98:
	s_waitcnt lgkmcnt(0)
	s_andn2_saveexec_b64 s[0:1], s[16:17]
	s_cbranch_execz .LBB21_105
; %bb.99:
	v_cndmask_b32_e64 v0, 0, 1, s[6:7]
	v_cmp_ne_u32_e64 s[0:1], 1, v0
	s_andn2_b64 vcc, exec, s[6:7]
	s_cbranch_vccnz .LBB21_106
; %bb.100:
	s_cmp_lg_u32 s33, 0
	v_mov_b32_e32 v8, 0
	v_mov_b32_e32 v6, 0
	v_mov_b32_e32 v0, 0
	s_cbranch_scc0 .LBB21_107
; %bb.101:
	s_min_u32 s6, s44, 15
	s_add_i32 s2, s6, 1
	s_and_b32 s7, s2, 30
	s_add_u32 s2, s4, 0xffffffec
	s_addc_u32 s3, s5, -1
	v_mov_b32_e32 v0, 0
	v_mov_b32_e32 v1, v14
	;; [unrolled: 1-line block ×4, first 2 shown]
.LBB21_102:                             ; =>This Inner Loop Header: Depth=1
	s_mov_b64 s[16:17], s[2:3]
	s_load_dwordx4 s[8:11], s[16:17], 0x18
	s_load_dwordx2 s[18:19], s[16:17], 0x28
	s_load_dwordx2 s[20:21], s[16:17], 0xe8
	s_load_dwordx4 s[12:15], s[16:17], 0xd8
	s_add_u32 s2, s16, 24
	s_waitcnt vmcnt(1) lgkmcnt(0)
	v_mul_hi_u32 v2, s9, v1
	v_add_u32_e32 v2, v1, v2
	v_lshrrev_b32_e32 v2, s10, v2
	v_mul_lo_u32 v3, v2, s8
	v_mul_hi_u32 v4, s18, v2
	v_sub_u32_e32 v1, v1, v3
	v_add_u32_e32 v3, v2, v4
	v_mul_lo_u32 v4, v1, s12
	v_mul_lo_u32 v5, v1, s13
	;; [unrolled: 1-line block ×3, first 2 shown]
	v_lshrrev_b32_e32 v1, s19, v3
	v_mul_lo_u32 v3, v1, s11
	v_sub_u32_e32 v2, v2, v3
	s_addc_u32 s3, s17, 0
	s_add_i32 s7, s7, -2
	v_mul_lo_u32 v3, v2, s15
	v_mul_lo_u32 v9, v2, s20
	;; [unrolled: 1-line block ×3, first 2 shown]
	s_cmp_lg_u32 s7, 0
	v_add3_u32 v0, v4, v0, v3
	v_add3_u32 v8, v7, v8, v2
	;; [unrolled: 1-line block ×3, first 2 shown]
	s_cbranch_scc1 .LBB21_102
; %bb.103:
	s_bitcmp1_b32 s6, 0
	s_cselect_b64 s[6:7], -1, 0
	s_and_b64 vcc, exec, s[6:7]
	s_cbranch_vccnz .LBB21_107
; %bb.104:
	s_load_dwordx2 s[6:7], s[2:3], 0x18
	s_load_dword s10, s[2:3], 0x20
	s_load_dword s11, s[2:3], 0xe0
	s_load_dwordx2 s[8:9], s[2:3], 0xd8
	s_waitcnt lgkmcnt(0)
	v_mul_hi_u32 v2, s7, v1
	v_add_u32_e32 v2, v1, v2
	v_lshrrev_b32_e32 v2, s10, v2
	v_mul_lo_u32 v2, v2, s6
	v_sub_u32_e32 v2, v1, v2
	v_mad_u64_u32 v[0:1], s[2:3], v2, s8, v[0:1]
	v_mad_u64_u32 v[6:7], s[2:3], v2, s9, v[6:7]
	;; [unrolled: 1-line block ×3, first 2 shown]
	s_cbranch_execz .LBB21_108
	s_branch .LBB21_110
.LBB21_105:
	s_endpgm
.LBB21_106:
                                        ; implicit-def: $vgpr8
                                        ; implicit-def: $vgpr6
                                        ; implicit-def: $vgpr0
	s_branch .LBB21_108
.LBB21_107:
	s_cbranch_execnz .LBB21_110
.LBB21_108:
	s_load_dwordx4 s[8:11], s[4:5], 0x4
	s_load_dwordx4 s[12:15], s[4:5], 0xc4
	s_cmp_lt_u32 s33, 2
	s_waitcnt lgkmcnt(0)
	v_mul_hi_u32 v0, s9, v14
	v_add_u32_e32 v0, v14, v0
	v_lshrrev_b32_e32 v1, s10, v0
	v_mul_lo_u32 v0, v1, s8
	s_waitcnt vmcnt(1)
	v_sub_u32_e32 v2, v14, v0
	v_mul_lo_u32 v0, v2, s12
	v_mul_lo_u32 v8, v2, s14
	;; [unrolled: 1-line block ×3, first 2 shown]
	s_cbranch_scc1 .LBB21_110
; %bb.109:
	s_load_dwordx4 s[8:11], s[4:5], 0x10
	s_load_dwordx4 s[12:15], s[4:5], 0xd0
	s_waitcnt lgkmcnt(0)
	v_mul_hi_u32 v2, s9, v1
	v_add_u32_e32 v2, v1, v2
	v_lshrrev_b32_e32 v2, s10, v2
	v_mul_lo_u32 v2, v2, s8
	v_sub_u32_e32 v2, v1, v2
	v_mad_u64_u32 v[0:1], s[2:3], v2, s12, v[0:1]
	v_mad_u64_u32 v[6:7], s[2:3], v2, s13, v[6:7]
	;; [unrolled: 1-line block ×3, first 2 shown]
.LBB21_110:
	s_and_b64 vcc, exec, s[0:1]
	v_add_u32_e32 v1, 0x80, v14
	s_cbranch_vccnz .LBB21_116
; %bb.111:
	s_cmp_lg_u32 s33, 0
	v_mov_b32_e32 v12, 0
	v_mov_b32_e32 v10, 0
	s_waitcnt vmcnt(1)
	v_mov_b32_e32 v2, 0
	s_cbranch_scc0 .LBB21_117
; %bb.112:
	s_min_u32 s6, s44, 15
	s_add_i32 s2, s6, 1
	s_and_b32 s7, s2, 30
	s_add_u32 s2, s4, 0xffffffec
	s_addc_u32 s3, s5, -1
	v_mov_b32_e32 v2, 0
	v_mov_b32_e32 v3, v1
	;; [unrolled: 1-line block ×4, first 2 shown]
.LBB21_113:                             ; =>This Inner Loop Header: Depth=1
	s_mov_b64 s[16:17], s[2:3]
	s_load_dwordx4 s[8:11], s[16:17], 0x18
	s_load_dwordx2 s[18:19], s[16:17], 0x28
	s_load_dwordx2 s[20:21], s[16:17], 0xe8
	s_load_dwordx4 s[12:15], s[16:17], 0xd8
	s_add_u32 s2, s16, 24
	s_waitcnt lgkmcnt(0)
	v_mul_hi_u32 v4, s9, v3
	v_add_u32_e32 v4, v3, v4
	v_lshrrev_b32_e32 v4, s10, v4
	v_mul_lo_u32 v5, v4, s8
	v_mul_hi_u32 v7, s18, v4
	v_sub_u32_e32 v3, v3, v5
	v_add_u32_e32 v5, v4, v7
	v_mul_lo_u32 v7, v3, s12
	v_mul_lo_u32 v9, v3, s13
	;; [unrolled: 1-line block ×3, first 2 shown]
	v_lshrrev_b32_e32 v3, s19, v5
	v_mul_lo_u32 v5, v3, s11
	v_sub_u32_e32 v4, v4, v5
	s_addc_u32 s3, s17, 0
	s_add_i32 s7, s7, -2
	v_mul_lo_u32 v5, v4, s15
	v_mul_lo_u32 v13, v4, s20
	;; [unrolled: 1-line block ×3, first 2 shown]
	s_cmp_lg_u32 s7, 0
	v_add3_u32 v2, v7, v2, v5
	v_add3_u32 v12, v11, v12, v4
	;; [unrolled: 1-line block ×3, first 2 shown]
	s_cbranch_scc1 .LBB21_113
; %bb.114:
	s_bitcmp1_b32 s6, 0
	s_cselect_b64 s[6:7], -1, 0
	s_and_b64 vcc, exec, s[6:7]
	s_cbranch_vccnz .LBB21_117
; %bb.115:
	s_load_dwordx2 s[6:7], s[2:3], 0x18
	s_load_dword s10, s[2:3], 0x20
	s_load_dword s11, s[2:3], 0xe0
	s_load_dwordx2 s[8:9], s[2:3], 0xd8
	s_waitcnt lgkmcnt(0)
	v_mul_hi_u32 v4, s7, v3
	v_add_u32_e32 v4, v3, v4
	v_lshrrev_b32_e32 v4, s10, v4
	v_mul_lo_u32 v4, v4, s6
	v_sub_u32_e32 v4, v3, v4
	v_mad_u64_u32 v[2:3], s[2:3], v4, s8, v[2:3]
	v_mad_u64_u32 v[10:11], s[2:3], v4, s9, v[10:11]
	;; [unrolled: 1-line block ×3, first 2 shown]
	s_cbranch_execz .LBB21_118
	s_branch .LBB21_120
.LBB21_116:
                                        ; implicit-def: $vgpr12
                                        ; implicit-def: $vgpr10
                                        ; implicit-def: $vgpr2
	s_branch .LBB21_118
.LBB21_117:
	s_cbranch_execnz .LBB21_120
.LBB21_118:
	s_load_dwordx4 s[8:11], s[4:5], 0x4
	s_load_dwordx4 s[12:15], s[4:5], 0xc4
	s_cmp_lt_u32 s33, 2
	s_waitcnt vmcnt(1) lgkmcnt(0)
	v_mul_hi_u32 v2, s9, v1
	v_add_u32_e32 v2, v1, v2
	v_lshrrev_b32_e32 v3, s10, v2
	v_mul_lo_u32 v2, v3, s8
	v_sub_u32_e32 v1, v1, v2
	v_mul_lo_u32 v2, v1, s12
	v_mul_lo_u32 v12, v1, s14
	;; [unrolled: 1-line block ×3, first 2 shown]
	s_cbranch_scc1 .LBB21_120
; %bb.119:
	s_load_dwordx4 s[8:11], s[4:5], 0x10
	s_load_dwordx4 s[12:15], s[4:5], 0xd0
	s_waitcnt lgkmcnt(0)
	v_mul_hi_u32 v1, s9, v3
	v_add_u32_e32 v1, v3, v1
	v_lshrrev_b32_e32 v1, s10, v1
	v_mul_lo_u32 v1, v1, s8
	v_sub_u32_e32 v1, v3, v1
	v_mad_u64_u32 v[2:3], s[2:3], v1, s12, v[2:3]
	v_mad_u64_u32 v[10:11], s[2:3], v1, s13, v[10:11]
	;; [unrolled: 1-line block ×3, first 2 shown]
.LBB21_120:
	s_and_b64 vcc, exec, s[0:1]
	v_add_u32_e32 v1, 0x100, v14
	s_cbranch_vccnz .LBB21_126
; %bb.121:
	s_cmp_lg_u32 s33, 0
	v_mov_b32_e32 v18, 0
	v_mov_b32_e32 v16, 0
	;; [unrolled: 1-line block ×3, first 2 shown]
	s_cbranch_scc0 .LBB21_127
; %bb.122:
	s_min_u32 s6, s44, 15
	s_add_i32 s2, s6, 1
	s_and_b32 s7, s2, 30
	s_add_u32 s2, s4, 0xffffffec
	s_addc_u32 s3, s5, -1
	v_mov_b32_e32 v4, 0
	s_waitcnt vmcnt(1)
	v_mov_b32_e32 v3, v1
	v_mov_b32_e32 v16, 0
	;; [unrolled: 1-line block ×3, first 2 shown]
.LBB21_123:                             ; =>This Inner Loop Header: Depth=1
	s_mov_b64 s[16:17], s[2:3]
	s_load_dwordx4 s[8:11], s[16:17], 0x18
	s_load_dwordx2 s[18:19], s[16:17], 0x28
	s_load_dwordx2 s[20:21], s[16:17], 0xe8
	s_load_dwordx4 s[12:15], s[16:17], 0xd8
	s_add_u32 s2, s16, 24
	s_waitcnt lgkmcnt(0)
	v_mul_hi_u32 v5, s9, v3
	v_add_u32_e32 v5, v3, v5
	v_lshrrev_b32_e32 v5, s10, v5
	v_mul_lo_u32 v7, v5, s8
	v_mul_hi_u32 v9, s18, v5
	v_sub_u32_e32 v3, v3, v7
	v_add_u32_e32 v7, v5, v9
	v_mul_lo_u32 v9, v3, s12
	v_mul_lo_u32 v11, v3, s13
	;; [unrolled: 1-line block ×3, first 2 shown]
	v_lshrrev_b32_e32 v3, s19, v7
	v_mul_lo_u32 v7, v3, s11
	v_sub_u32_e32 v5, v5, v7
	s_addc_u32 s3, s17, 0
	s_add_i32 s7, s7, -2
	v_mul_lo_u32 v7, v5, s15
	v_mul_lo_u32 v14, v5, s20
	v_mul_lo_u32 v5, v5, s21
	s_cmp_lg_u32 s7, 0
	v_add3_u32 v4, v9, v4, v7
	v_add3_u32 v18, v13, v18, v5
	;; [unrolled: 1-line block ×3, first 2 shown]
	s_cbranch_scc1 .LBB21_123
; %bb.124:
	s_bitcmp1_b32 s6, 0
	s_cselect_b64 s[6:7], -1, 0
	s_and_b64 vcc, exec, s[6:7]
	s_cbranch_vccnz .LBB21_127
; %bb.125:
	s_load_dwordx2 s[6:7], s[2:3], 0x18
	s_load_dword s10, s[2:3], 0x20
	s_load_dword s11, s[2:3], 0xe0
	s_load_dwordx2 s[8:9], s[2:3], 0xd8
	s_waitcnt lgkmcnt(0)
	v_mul_hi_u32 v5, s7, v3
	v_add_u32_e32 v5, v3, v5
	v_lshrrev_b32_e32 v5, s10, v5
	v_mul_lo_u32 v5, v5, s6
	v_sub_u32_e32 v3, v3, v5
	v_mad_u64_u32 v[4:5], s[2:3], v3, s8, v[4:5]
	v_mad_u64_u32 v[16:17], s[2:3], v3, s9, v[16:17]
	;; [unrolled: 1-line block ×3, first 2 shown]
	s_cbranch_execz .LBB21_128
	s_branch .LBB21_130
.LBB21_126:
                                        ; implicit-def: $vgpr18
                                        ; implicit-def: $vgpr16
                                        ; implicit-def: $vgpr4
	s_branch .LBB21_128
.LBB21_127:
	s_cbranch_execnz .LBB21_130
.LBB21_128:
	s_load_dwordx4 s[8:11], s[4:5], 0x4
	s_load_dwordx4 s[12:15], s[4:5], 0xc4
	s_cmp_lt_u32 s33, 2
	s_waitcnt vmcnt(1) lgkmcnt(0)
	v_mul_hi_u32 v3, s9, v1
	v_add_u32_e32 v3, v1, v3
	v_lshrrev_b32_e32 v3, s10, v3
	v_mul_lo_u32 v4, v3, s8
	v_sub_u32_e32 v1, v1, v4
	v_mul_lo_u32 v4, v1, s12
	v_mul_lo_u32 v18, v1, s14
	;; [unrolled: 1-line block ×3, first 2 shown]
	s_cbranch_scc1 .LBB21_130
; %bb.129:
	s_load_dwordx4 s[8:11], s[4:5], 0x10
	s_load_dwordx4 s[12:15], s[4:5], 0xd0
	s_waitcnt lgkmcnt(0)
	v_mul_hi_u32 v1, s9, v3
	v_add_u32_e32 v1, v3, v1
	v_lshrrev_b32_e32 v1, s10, v1
	v_mul_lo_u32 v1, v1, s8
	v_sub_u32_e32 v1, v3, v1
	v_mad_u64_u32 v[4:5], s[2:3], v1, s12, v[4:5]
	v_mad_u64_u32 v[16:17], s[2:3], v1, s13, v[16:17]
	;; [unrolled: 1-line block ×3, first 2 shown]
.LBB21_130:
	s_and_b64 vcc, exec, s[0:1]
	s_cbranch_vccnz .LBB21_136
; %bb.131:
	s_cmp_lg_u32 s33, 0
	v_mov_b32_e32 v22, 0
	v_mov_b32_e32 v20, 0
	;; [unrolled: 1-line block ×3, first 2 shown]
	s_cbranch_scc0 .LBB21_137
; %bb.132:
	s_min_u32 s2, s44, 15
	s_add_i32 s0, s2, 1
	s_and_b32 s3, s0, 30
	s_add_u32 s0, s4, 0xffffffec
	s_addc_u32 s1, s5, -1
	v_mov_b32_e32 v14, 0
	v_mov_b32_e32 v1, v24
	;; [unrolled: 1-line block ×4, first 2 shown]
.LBB21_133:                             ; =>This Inner Loop Header: Depth=1
	s_mov_b64 s[6:7], s[0:1]
	s_load_dwordx4 s[8:11], s[6:7], 0x18
	s_load_dwordx2 s[16:17], s[6:7], 0x28
	s_load_dwordx2 s[18:19], s[6:7], 0xe8
	s_load_dwordx4 s[12:15], s[6:7], 0xd8
	s_add_u32 s0, s6, 24
	s_waitcnt vmcnt(1) lgkmcnt(0)
	v_mul_hi_u32 v3, s9, v1
	v_add_u32_e32 v3, v1, v3
	v_lshrrev_b32_e32 v3, s10, v3
	v_mul_lo_u32 v5, v3, s8
	v_mul_hi_u32 v7, s16, v3
	v_sub_u32_e32 v1, v1, v5
	v_add_u32_e32 v5, v3, v7
	v_mul_lo_u32 v7, v1, s12
	v_mul_lo_u32 v9, v1, s13
	;; [unrolled: 1-line block ×3, first 2 shown]
	v_lshrrev_b32_e32 v1, s17, v5
	v_mul_lo_u32 v5, v1, s11
	v_sub_u32_e32 v3, v3, v5
	s_addc_u32 s1, s7, 0
	s_add_i32 s3, s3, -2
	v_mul_lo_u32 v5, v3, s15
	v_mul_lo_u32 v13, v3, s18
	;; [unrolled: 1-line block ×3, first 2 shown]
	s_cmp_lg_u32 s3, 0
	v_add3_u32 v14, v7, v14, v5
	v_add3_u32 v22, v11, v22, v3
	;; [unrolled: 1-line block ×3, first 2 shown]
	s_cbranch_scc1 .LBB21_133
; %bb.134:
	s_bitcmp1_b32 s2, 0
	s_cselect_b64 s[2:3], -1, 0
	s_and_b64 vcc, exec, s[2:3]
	s_cbranch_vccnz .LBB21_137
; %bb.135:
	s_load_dwordx2 s[2:3], s[0:1], 0x18
	s_load_dword s8, s[0:1], 0x20
	s_load_dword s9, s[0:1], 0xe0
	s_load_dwordx2 s[6:7], s[0:1], 0xd8
	s_waitcnt lgkmcnt(0)
	v_mul_hi_u32 v3, s3, v1
	v_add_u32_e32 v3, v1, v3
	v_lshrrev_b32_e32 v3, s8, v3
	v_mul_lo_u32 v3, v3, s2
	v_sub_u32_e32 v1, v1, v3
	v_mad_u64_u32 v[14:15], s[0:1], v1, s6, v[14:15]
	v_mad_u64_u32 v[20:21], s[0:1], v1, s7, v[20:21]
	;; [unrolled: 1-line block ×3, first 2 shown]
	s_cbranch_execz .LBB21_138
	s_branch .LBB21_140
.LBB21_136:
                                        ; implicit-def: $vgpr22
                                        ; implicit-def: $vgpr20
                                        ; implicit-def: $vgpr14
	s_branch .LBB21_138
.LBB21_137:
	s_cbranch_execnz .LBB21_140
.LBB21_138:
	s_load_dwordx4 s[0:3], s[4:5], 0x4
	s_load_dwordx4 s[8:11], s[4:5], 0xc4
	s_cmp_lt_u32 s33, 2
	s_waitcnt lgkmcnt(0)
	v_mul_hi_u32 v1, s1, v24
	v_add_u32_e32 v1, v24, v1
	v_lshrrev_b32_e32 v1, s2, v1
	s_waitcnt vmcnt(1)
	v_mul_lo_u32 v3, v1, s0
	v_sub_u32_e32 v3, v24, v3
	v_mul_lo_u32 v14, v3, s8
	v_mul_lo_u32 v22, v3, s10
	;; [unrolled: 1-line block ×3, first 2 shown]
	s_cbranch_scc1 .LBB21_140
; %bb.139:
	s_load_dwordx4 s[0:3], s[4:5], 0x10
	s_load_dwordx4 s[8:11], s[4:5], 0xd0
	s_waitcnt lgkmcnt(0)
	v_mul_hi_u32 v3, s1, v1
	v_add_u32_e32 v3, v1, v3
	v_lshrrev_b32_e32 v3, s2, v3
	v_mul_lo_u32 v3, v3, s0
	v_sub_u32_e32 v1, v1, v3
	v_mad_u64_u32 v[14:15], s[0:1], v1, s8, v[14:15]
	v_mad_u64_u32 v[20:21], s[0:1], v1, s9, v[20:21]
	;; [unrolled: 1-line block ×3, first 2 shown]
.LBB21_140:
	s_load_dwordx2 s[6:7], s[4:5], 0x198
	s_load_dwordx4 s[0:3], s[4:5], 0x188
	s_movk_i32 s4, 0xffe0
	s_waitcnt lgkmcnt(0)
	global_load_dwordx2 v[8:9], v8, s[6:7]
	s_waitcnt vmcnt(0)
	v_trunc_f64_e32 v[8:9], v[8:9]
	v_ldexp_f64 v[24:25], v[8:9], s4
	v_floor_f64_e32 v[24:25], v[24:25]
	v_fmac_f64_e32 v[8:9], 0xc1f00000, v[24:25]
	v_cvt_i32_f64_e32 v25, v[24:25]
	v_cvt_u32_f64_e32 v24, v[8:9]
	v_cmp_lt_i64_e32 vcc, -1, v[24:25]
	v_pk_mov_b32 v[8:9], 0, 0
	s_and_saveexec_b64 s[4:5], vcc
	s_cbranch_execz .LBB21_152
; %bb.141:
	v_mov_b32_e32 v8, 0
	v_cmp_lt_i64_e32 vcc, 0, v[24:25]
	v_mov_b32_e32 v9, 0x3ff00000
	s_and_saveexec_b64 s[8:9], vcc
	s_cbranch_execz .LBB21_151
; %bb.142:
	global_load_dwordx2 v[6:7], v6, s[2:3]
	v_cmp_ne_u64_e32 vcc, 1, v[24:25]
                                        ; implicit-def: $vgpr8_vgpr9
	s_and_saveexec_b64 s[10:11], vcc
	s_xor_b64 s[10:11], exec, s[10:11]
	s_cbranch_execz .LBB21_148
; %bb.143:
	s_mov_b64 s[12:13], 0x201
	v_mov_b32_e32 v8, 0
	v_cmp_gt_u64_e32 vcc, s[12:13], v[24:25]
	v_mov_b32_e32 v9, 0x7ff80000
	s_and_saveexec_b64 s[12:13], vcc
	s_cbranch_execz .LBB21_147
; %bb.144:
	v_mov_b32_e32 v26, 0
	s_mov_b64 s[16:17], 1
	s_mov_b64 s[14:15], 0
	v_mov_b32_e32 v27, 0x3ff00000
	s_waitcnt vmcnt(0)
	v_pk_mov_b32 v[8:9], v[6:7], v[6:7] op_sel:[0,1]
.LBB21_145:                             ; =>This Inner Loop Header: Depth=1
	v_cvt_f64_u32_e32 v[28:29], s17
	v_cvt_f64_u32_e32 v[30:31], s16
	s_add_u32 s16, s16, 1
	v_ldexp_f64 v[28:29], v[28:29], 32
	s_addc_u32 s17, s17, 0
	v_add_f64 v[28:29], v[28:29], v[30:31]
	v_cmp_eq_u64_e32 vcc, s[16:17], v[24:25]
	v_mul_f64 v[28:29], v[26:27], v[28:29]
	s_or_b64 s[14:15], vcc, s[14:15]
	v_pk_mov_b32 v[26:27], v[8:9], v[8:9] op_sel:[0,1]
	v_fma_f64 v[8:9], v[6:7], v[8:9], -v[28:29]
	s_andn2_b64 exec, exec, s[14:15]
	s_cbranch_execnz .LBB21_145
; %bb.146:
	s_or_b64 exec, exec, s[14:15]
.LBB21_147:
	s_or_b64 exec, exec, s[12:13]
                                        ; implicit-def: $vgpr6_vgpr7
.LBB21_148:
	s_andn2_saveexec_b64 s[10:11], s[10:11]
	s_cbranch_execz .LBB21_150
; %bb.149:
	s_waitcnt vmcnt(0)
	v_pk_mov_b32 v[8:9], v[6:7], v[6:7] op_sel:[0,1]
.LBB21_150:
	s_or_b64 exec, exec, s[10:11]
.LBB21_151:
	s_or_b64 exec, exec, s[8:9]
.LBB21_152:
	s_or_b64 exec, exec, s[4:5]
	global_load_dwordx2 v[6:7], v12, s[6:7]
	s_movk_i32 s4, 0xffe0
	s_waitcnt vmcnt(0)
	v_trunc_f64_e32 v[6:7], v[6:7]
	v_ldexp_f64 v[12:13], v[6:7], s4
	v_floor_f64_e32 v[12:13], v[12:13]
	v_fmac_f64_e32 v[6:7], 0xc1f00000, v[12:13]
	v_cvt_i32_f64_e32 v13, v[12:13]
	v_cvt_u32_f64_e32 v12, v[6:7]
	v_cmp_lt_i64_e32 vcc, -1, v[12:13]
	v_pk_mov_b32 v[6:7], 0, 0
	s_and_saveexec_b64 s[4:5], vcc
	s_cbranch_execz .LBB21_164
; %bb.153:
	v_mov_b32_e32 v6, 0
	v_cmp_lt_i64_e32 vcc, 0, v[12:13]
	v_mov_b32_e32 v7, 0x3ff00000
	s_and_saveexec_b64 s[8:9], vcc
	s_cbranch_execz .LBB21_163
; %bb.154:
	global_load_dwordx2 v[10:11], v10, s[2:3]
	v_cmp_ne_u64_e32 vcc, 1, v[12:13]
                                        ; implicit-def: $vgpr6_vgpr7
	s_and_saveexec_b64 s[10:11], vcc
	s_xor_b64 s[10:11], exec, s[10:11]
	s_cbranch_execz .LBB21_160
; %bb.155:
	s_mov_b64 s[12:13], 0x201
	v_mov_b32_e32 v6, 0
	v_cmp_gt_u64_e32 vcc, s[12:13], v[12:13]
	v_mov_b32_e32 v7, 0x7ff80000
	s_and_saveexec_b64 s[12:13], vcc
	s_cbranch_execz .LBB21_159
; %bb.156:
	v_mov_b32_e32 v24, 0
	s_mov_b64 s[16:17], 1
	s_mov_b64 s[14:15], 0
	v_mov_b32_e32 v25, 0x3ff00000
	s_waitcnt vmcnt(0)
	v_pk_mov_b32 v[6:7], v[10:11], v[10:11] op_sel:[0,1]
.LBB21_157:                             ; =>This Inner Loop Header: Depth=1
	v_cvt_f64_u32_e32 v[26:27], s17
	v_cvt_f64_u32_e32 v[28:29], s16
	s_add_u32 s16, s16, 1
	v_ldexp_f64 v[26:27], v[26:27], 32
	s_addc_u32 s17, s17, 0
	v_add_f64 v[26:27], v[26:27], v[28:29]
	v_cmp_eq_u64_e32 vcc, s[16:17], v[12:13]
	v_mul_f64 v[26:27], v[24:25], v[26:27]
	s_or_b64 s[14:15], vcc, s[14:15]
	v_pk_mov_b32 v[24:25], v[6:7], v[6:7] op_sel:[0,1]
	v_fma_f64 v[6:7], v[10:11], v[6:7], -v[26:27]
	s_andn2_b64 exec, exec, s[14:15]
	s_cbranch_execnz .LBB21_157
; %bb.158:
	s_or_b64 exec, exec, s[14:15]
.LBB21_159:
	s_or_b64 exec, exec, s[12:13]
                                        ; implicit-def: $vgpr10_vgpr11
.LBB21_160:
	s_andn2_saveexec_b64 s[10:11], s[10:11]
	s_cbranch_execz .LBB21_162
; %bb.161:
	s_waitcnt vmcnt(0)
	v_pk_mov_b32 v[6:7], v[10:11], v[10:11] op_sel:[0,1]
.LBB21_162:
	s_or_b64 exec, exec, s[10:11]
.LBB21_163:
	s_or_b64 exec, exec, s[8:9]
.LBB21_164:
	s_or_b64 exec, exec, s[4:5]
	global_load_dwordx2 v[10:11], v18, s[6:7]
	s_movk_i32 s4, 0xffe0
	s_waitcnt vmcnt(0)
	v_trunc_f64_e32 v[10:11], v[10:11]
	v_ldexp_f64 v[12:13], v[10:11], s4
	v_floor_f64_e32 v[12:13], v[12:13]
	v_fmac_f64_e32 v[10:11], 0xc1f00000, v[12:13]
	v_cvt_i32_f64_e32 v13, v[12:13]
	v_cvt_u32_f64_e32 v12, v[10:11]
	v_cmp_lt_i64_e32 vcc, -1, v[12:13]
	v_pk_mov_b32 v[10:11], 0, 0
	s_and_saveexec_b64 s[4:5], vcc
	s_cbranch_execz .LBB21_176
; %bb.165:
	v_mov_b32_e32 v10, 0
	v_cmp_lt_i64_e32 vcc, 0, v[12:13]
	v_mov_b32_e32 v11, 0x3ff00000
	s_and_saveexec_b64 s[8:9], vcc
	s_cbranch_execz .LBB21_175
; %bb.166:
	global_load_dwordx2 v[16:17], v16, s[2:3]
	v_cmp_ne_u64_e32 vcc, 1, v[12:13]
                                        ; implicit-def: $vgpr10_vgpr11
	s_and_saveexec_b64 s[10:11], vcc
	s_xor_b64 s[10:11], exec, s[10:11]
	s_cbranch_execz .LBB21_172
; %bb.167:
	s_mov_b64 s[12:13], 0x201
	v_mov_b32_e32 v10, 0
	v_cmp_gt_u64_e32 vcc, s[12:13], v[12:13]
	v_mov_b32_e32 v11, 0x7ff80000
	s_and_saveexec_b64 s[12:13], vcc
	s_cbranch_execz .LBB21_171
; %bb.168:
	v_mov_b32_e32 v18, 0
	s_mov_b64 s[16:17], 1
	s_mov_b64 s[14:15], 0
	v_mov_b32_e32 v19, 0x3ff00000
	s_waitcnt vmcnt(0)
	v_pk_mov_b32 v[10:11], v[16:17], v[16:17] op_sel:[0,1]
.LBB21_169:                             ; =>This Inner Loop Header: Depth=1
	v_cvt_f64_u32_e32 v[24:25], s17
	v_cvt_f64_u32_e32 v[26:27], s16
	s_add_u32 s16, s16, 1
	v_ldexp_f64 v[24:25], v[24:25], 32
	s_addc_u32 s17, s17, 0
	v_add_f64 v[24:25], v[24:25], v[26:27]
	v_cmp_eq_u64_e32 vcc, s[16:17], v[12:13]
	v_mul_f64 v[24:25], v[18:19], v[24:25]
	s_or_b64 s[14:15], vcc, s[14:15]
	v_pk_mov_b32 v[18:19], v[10:11], v[10:11] op_sel:[0,1]
	v_fma_f64 v[10:11], v[16:17], v[10:11], -v[24:25]
	s_andn2_b64 exec, exec, s[14:15]
	s_cbranch_execnz .LBB21_169
; %bb.170:
	s_or_b64 exec, exec, s[14:15]
.LBB21_171:
	s_or_b64 exec, exec, s[12:13]
                                        ; implicit-def: $vgpr16_vgpr17
.LBB21_172:
	s_andn2_saveexec_b64 s[10:11], s[10:11]
	s_cbranch_execz .LBB21_174
; %bb.173:
	s_waitcnt vmcnt(0)
	v_pk_mov_b32 v[10:11], v[16:17], v[16:17] op_sel:[0,1]
.LBB21_174:
	s_or_b64 exec, exec, s[10:11]
.LBB21_175:
	s_or_b64 exec, exec, s[8:9]
.LBB21_176:
	s_or_b64 exec, exec, s[4:5]
	global_load_dwordx2 v[12:13], v22, s[6:7]
	s_movk_i32 s4, 0xffe0
	s_waitcnt vmcnt(0)
	v_trunc_f64_e32 v[16:17], v[12:13]
	v_ldexp_f64 v[12:13], v[16:17], s4
	v_floor_f64_e32 v[12:13], v[12:13]
	v_fmac_f64_e32 v[16:17], 0xc1f00000, v[12:13]
	v_cvt_i32_f64_e32 v13, v[12:13]
	v_cvt_u32_f64_e32 v12, v[16:17]
	v_cmp_lt_i64_e32 vcc, -1, v[12:13]
	v_pk_mov_b32 v[16:17], 0, 0
	s_and_saveexec_b64 s[4:5], vcc
	s_cbranch_execz .LBB21_188
; %bb.177:
	v_mov_b32_e32 v16, 0
	v_cmp_lt_i64_e32 vcc, 0, v[12:13]
	v_mov_b32_e32 v17, 0x3ff00000
	s_and_saveexec_b64 s[6:7], vcc
	s_cbranch_execz .LBB21_187
; %bb.178:
	global_load_dwordx2 v[18:19], v20, s[2:3]
	v_cmp_ne_u64_e32 vcc, 1, v[12:13]
                                        ; implicit-def: $vgpr16_vgpr17
	s_and_saveexec_b64 s[2:3], vcc
	s_xor_b64 s[2:3], exec, s[2:3]
	s_cbranch_execz .LBB21_184
; %bb.179:
	s_mov_b64 s[8:9], 0x201
	v_mov_b32_e32 v16, 0
	v_cmp_gt_u64_e32 vcc, s[8:9], v[12:13]
	v_mov_b32_e32 v17, 0x7ff80000
	s_and_saveexec_b64 s[8:9], vcc
	s_cbranch_execz .LBB21_183
; %bb.180:
	v_mov_b32_e32 v20, 0
	s_mov_b64 s[12:13], 1
	s_mov_b64 s[10:11], 0
	v_mov_b32_e32 v21, 0x3ff00000
	s_waitcnt vmcnt(0)
	v_pk_mov_b32 v[16:17], v[18:19], v[18:19] op_sel:[0,1]
.LBB21_181:                             ; =>This Inner Loop Header: Depth=1
	v_cvt_f64_u32_e32 v[22:23], s13
	v_cvt_f64_u32_e32 v[24:25], s12
	s_add_u32 s12, s12, 1
	v_ldexp_f64 v[22:23], v[22:23], 32
	s_addc_u32 s13, s13, 0
	v_add_f64 v[22:23], v[22:23], v[24:25]
	v_cmp_eq_u64_e32 vcc, s[12:13], v[12:13]
	v_mul_f64 v[22:23], v[20:21], v[22:23]
	s_or_b64 s[10:11], vcc, s[10:11]
	v_pk_mov_b32 v[20:21], v[16:17], v[16:17] op_sel:[0,1]
	v_fma_f64 v[16:17], v[18:19], v[16:17], -v[22:23]
	s_andn2_b64 exec, exec, s[10:11]
	s_cbranch_execnz .LBB21_181
; %bb.182:
	s_or_b64 exec, exec, s[10:11]
.LBB21_183:
	s_or_b64 exec, exec, s[8:9]
                                        ; implicit-def: $vgpr18_vgpr19
.LBB21_184:
	s_andn2_saveexec_b64 s[2:3], s[2:3]
	s_cbranch_execz .LBB21_186
; %bb.185:
	s_waitcnt vmcnt(0)
	v_pk_mov_b32 v[16:17], v[18:19], v[18:19] op_sel:[0,1]
.LBB21_186:
	s_or_b64 exec, exec, s[2:3]
.LBB21_187:
	s_or_b64 exec, exec, s[6:7]
.LBB21_188:
	s_or_b64 exec, exec, s[4:5]
	global_store_dwordx2 v0, v[8:9], s[0:1]
	global_store_dwordx2 v2, v[6:7], s[0:1]
	;; [unrolled: 1-line block ×4, first 2 shown]
	s_endpgm
	.section	.rodata,"a",@progbits
	.p2align	6, 0x0
	.amdhsa_kernel _ZN2at6native32elementwise_kernel_manual_unrollILi128ELi4EZNS0_22gpu_kernel_impl_nocastINS0_13BinaryFunctorIdddZZZNS0_12_GLOBAL__N_133hermite_polynomial_he_kernel_cudaERNS_18TensorIteratorBaseEENKUlvE_clEvENKUlvE_clEvEUlddE_EEEEvS6_RKT_EUlibE_EEviT1_
		.amdhsa_group_segment_fixed_size 0
		.amdhsa_private_segment_fixed_size 0
		.amdhsa_kernarg_size 432
		.amdhsa_user_sgpr_count 6
		.amdhsa_user_sgpr_private_segment_buffer 1
		.amdhsa_user_sgpr_dispatch_ptr 0
		.amdhsa_user_sgpr_queue_ptr 0
		.amdhsa_user_sgpr_kernarg_segment_ptr 1
		.amdhsa_user_sgpr_dispatch_id 0
		.amdhsa_user_sgpr_flat_scratch_init 0
		.amdhsa_user_sgpr_kernarg_preload_length 0
		.amdhsa_user_sgpr_kernarg_preload_offset 0
		.amdhsa_user_sgpr_private_segment_size 0
		.amdhsa_uses_dynamic_stack 0
		.amdhsa_system_sgpr_private_segment_wavefront_offset 0
		.amdhsa_system_sgpr_workgroup_id_x 1
		.amdhsa_system_sgpr_workgroup_id_y 0
		.amdhsa_system_sgpr_workgroup_id_z 0
		.amdhsa_system_sgpr_workgroup_info 0
		.amdhsa_system_vgpr_workitem_id 0
		.amdhsa_next_free_vgpr 32
		.amdhsa_next_free_sgpr 54
		.amdhsa_accum_offset 32
		.amdhsa_reserve_vcc 1
		.amdhsa_reserve_flat_scratch 0
		.amdhsa_float_round_mode_32 0
		.amdhsa_float_round_mode_16_64 0
		.amdhsa_float_denorm_mode_32 3
		.amdhsa_float_denorm_mode_16_64 3
		.amdhsa_dx10_clamp 1
		.amdhsa_ieee_mode 1
		.amdhsa_fp16_overflow 0
		.amdhsa_tg_split 0
		.amdhsa_exception_fp_ieee_invalid_op 0
		.amdhsa_exception_fp_denorm_src 0
		.amdhsa_exception_fp_ieee_div_zero 0
		.amdhsa_exception_fp_ieee_overflow 0
		.amdhsa_exception_fp_ieee_underflow 0
		.amdhsa_exception_fp_ieee_inexact 0
		.amdhsa_exception_int_div_zero 0
	.end_amdhsa_kernel
	.section	.text._ZN2at6native32elementwise_kernel_manual_unrollILi128ELi4EZNS0_22gpu_kernel_impl_nocastINS0_13BinaryFunctorIdddZZZNS0_12_GLOBAL__N_133hermite_polynomial_he_kernel_cudaERNS_18TensorIteratorBaseEENKUlvE_clEvENKUlvE_clEvEUlddE_EEEEvS6_RKT_EUlibE_EEviT1_,"axG",@progbits,_ZN2at6native32elementwise_kernel_manual_unrollILi128ELi4EZNS0_22gpu_kernel_impl_nocastINS0_13BinaryFunctorIdddZZZNS0_12_GLOBAL__N_133hermite_polynomial_he_kernel_cudaERNS_18TensorIteratorBaseEENKUlvE_clEvENKUlvE_clEvEUlddE_EEEEvS6_RKT_EUlibE_EEviT1_,comdat
.Lfunc_end21:
	.size	_ZN2at6native32elementwise_kernel_manual_unrollILi128ELi4EZNS0_22gpu_kernel_impl_nocastINS0_13BinaryFunctorIdddZZZNS0_12_GLOBAL__N_133hermite_polynomial_he_kernel_cudaERNS_18TensorIteratorBaseEENKUlvE_clEvENKUlvE_clEvEUlddE_EEEEvS6_RKT_EUlibE_EEviT1_, .Lfunc_end21-_ZN2at6native32elementwise_kernel_manual_unrollILi128ELi4EZNS0_22gpu_kernel_impl_nocastINS0_13BinaryFunctorIdddZZZNS0_12_GLOBAL__N_133hermite_polynomial_he_kernel_cudaERNS_18TensorIteratorBaseEENKUlvE_clEvENKUlvE_clEvEUlddE_EEEEvS6_RKT_EUlibE_EEviT1_
                                        ; -- End function
	.section	.AMDGPU.csdata,"",@progbits
; Kernel info:
; codeLenInByte = 6836
; NumSgprs: 58
; NumVgprs: 32
; NumAgprs: 0
; TotalNumVgprs: 32
; ScratchSize: 0
; MemoryBound: 0
; FloatMode: 240
; IeeeMode: 1
; LDSByteSize: 0 bytes/workgroup (compile time only)
; SGPRBlocks: 7
; VGPRBlocks: 3
; NumSGPRsForWavesPerEU: 58
; NumVGPRsForWavesPerEU: 32
; AccumOffset: 32
; Occupancy: 8
; WaveLimiterHint : 1
; COMPUTE_PGM_RSRC2:SCRATCH_EN: 0
; COMPUTE_PGM_RSRC2:USER_SGPR: 6
; COMPUTE_PGM_RSRC2:TRAP_HANDLER: 0
; COMPUTE_PGM_RSRC2:TGID_X_EN: 1
; COMPUTE_PGM_RSRC2:TGID_Y_EN: 0
; COMPUTE_PGM_RSRC2:TGID_Z_EN: 0
; COMPUTE_PGM_RSRC2:TIDIG_COMP_CNT: 0
; COMPUTE_PGM_RSRC3_GFX90A:ACCUM_OFFSET: 7
; COMPUTE_PGM_RSRC3_GFX90A:TG_SPLIT: 0
	.section	.text._ZN2at6native32elementwise_kernel_manual_unrollILi128ELi4EZNS0_15gpu_kernel_implINS0_13BinaryFunctorIdddZZZNS0_12_GLOBAL__N_133hermite_polynomial_he_kernel_cudaERNS_18TensorIteratorBaseEENKUlvE_clEvENKUlvE_clEvEUlddE_EEEEvS6_RKT_EUlibE_EEviT1_,"axG",@progbits,_ZN2at6native32elementwise_kernel_manual_unrollILi128ELi4EZNS0_15gpu_kernel_implINS0_13BinaryFunctorIdddZZZNS0_12_GLOBAL__N_133hermite_polynomial_he_kernel_cudaERNS_18TensorIteratorBaseEENKUlvE_clEvENKUlvE_clEvEUlddE_EEEEvS6_RKT_EUlibE_EEviT1_,comdat
	.globl	_ZN2at6native32elementwise_kernel_manual_unrollILi128ELi4EZNS0_15gpu_kernel_implINS0_13BinaryFunctorIdddZZZNS0_12_GLOBAL__N_133hermite_polynomial_he_kernel_cudaERNS_18TensorIteratorBaseEENKUlvE_clEvENKUlvE_clEvEUlddE_EEEEvS6_RKT_EUlibE_EEviT1_ ; -- Begin function _ZN2at6native32elementwise_kernel_manual_unrollILi128ELi4EZNS0_15gpu_kernel_implINS0_13BinaryFunctorIdddZZZNS0_12_GLOBAL__N_133hermite_polynomial_he_kernel_cudaERNS_18TensorIteratorBaseEENKUlvE_clEvENKUlvE_clEvEUlddE_EEEEvS6_RKT_EUlibE_EEviT1_
	.p2align	8
	.type	_ZN2at6native32elementwise_kernel_manual_unrollILi128ELi4EZNS0_15gpu_kernel_implINS0_13BinaryFunctorIdddZZZNS0_12_GLOBAL__N_133hermite_polynomial_he_kernel_cudaERNS_18TensorIteratorBaseEENKUlvE_clEvENKUlvE_clEvEUlddE_EEEEvS6_RKT_EUlibE_EEviT1_,@function
_ZN2at6native32elementwise_kernel_manual_unrollILi128ELi4EZNS0_15gpu_kernel_implINS0_13BinaryFunctorIdddZZZNS0_12_GLOBAL__N_133hermite_polynomial_he_kernel_cudaERNS_18TensorIteratorBaseEENKUlvE_clEvENKUlvE_clEvEUlddE_EEEEvS6_RKT_EUlibE_EEviT1_: ; @_ZN2at6native32elementwise_kernel_manual_unrollILi128ELi4EZNS0_15gpu_kernel_implINS0_13BinaryFunctorIdddZZZNS0_12_GLOBAL__N_133hermite_polynomial_he_kernel_cudaERNS_18TensorIteratorBaseEENKUlvE_clEvENKUlvE_clEvEUlddE_EEEEvS6_RKT_EUlibE_EEviT1_
; %bb.0:
	v_mov_b32_e32 v1, 0
	global_load_ushort v14, v1, s[4:5] offset:45
	global_load_sbyte v16, v1, s[4:5] offset:47
	s_load_dword s33, s[4:5], 0x0
	s_load_dwordx4 s[8:11], s[4:5], 0x8
	s_load_dwordx2 s[2:3], s[4:5], 0x18
	s_load_dwordx4 s[12:15], s[4:5], 0x20
	v_lshl_or_b32 v15, s6, 9, v0
	v_or_b32_e32 v0, 0x180, v15
	s_mov_b64 s[16:17], 0
	s_waitcnt lgkmcnt(0)
	v_cmp_le_i32_e32 vcc, s33, v0
	s_mov_b64 s[6:7], 0
	s_waitcnt vmcnt(1)
	v_lshrrev_b32_e32 v17, 8, v14
	s_and_saveexec_b64 s[0:1], vcc
	s_xor_b64 s[4:5], exec, s[0:1]
	s_cbranch_execz .LBB22_1592
; %bb.1:
	v_cmp_gt_i32_e32 vcc, s33, v15
	s_mov_b64 s[0:1], -1
	s_mov_b64 s[26:27], 0
	s_mov_b64 s[20:21], 0
	;; [unrolled: 1-line block ×3, first 2 shown]
	s_and_saveexec_b64 s[22:23], vcc
	s_cbranch_execz .LBB22_395
; %bb.2:
	v_mul_lo_u32 v0, v15, s13
	v_ashrrev_i32_e32 v1, 31, v0
	v_mov_b32_e32 v2, s11
	v_add_co_u32_e32 v0, vcc, s10, v0
	v_addc_co_u32_e32 v1, vcc, v2, v1, vcc
	v_mov_b32_e32 v2, 11
	v_cmp_lt_i16_sdwa s[0:1], v17, v2 src0_sel:BYTE_0 src1_sel:DWORD
	s_and_b64 vcc, exec, s[0:1]
	s_cbranch_vccnz .LBB22_9
; %bb.3:
	v_mov_b32_e32 v2, 25
	v_cmp_gt_i16_sdwa s[0:1], v17, v2 src0_sel:BYTE_0 src1_sel:DWORD
	s_and_b64 vcc, exec, s[0:1]
	s_cbranch_vccz .LBB22_18
; %bb.4:
	v_mov_b32_e32 v2, 28
	v_cmp_gt_i16_sdwa s[0:1], v17, v2 src0_sel:BYTE_0 src1_sel:DWORD
	s_and_b64 vcc, exec, s[0:1]
	s_cbranch_vccz .LBB22_40
	;; [unrolled: 5-line block ×4, first 2 shown]
; %bb.7:
	v_mov_b32_e32 v2, 46
	v_cmp_eq_u16_sdwa s[0:1], v17, v2 src0_sel:BYTE_0 src1_sel:DWORD
	s_and_b64 vcc, exec, s[0:1]
	s_cbranch_vccz .LBB22_49
; %bb.8:
	global_load_dword v2, v[0:1], off
	s_mov_b64 s[0:1], -1
	s_waitcnt vmcnt(0)
	v_lshlrev_b32_e32 v2, 16, v2
	v_cvt_f64_f32_e32 v[2:3], v2
	s_branch .LBB22_51
.LBB22_9:
                                        ; implicit-def: $vgpr2_vgpr3
	s_mov_b64 s[0:1], 0
	s_cbranch_execnz .LBB22_117
.LBB22_10:
	s_andn2_b64 vcc, exec, s[0:1]
	s_cbranch_vccnz .LBB22_164
.LBB22_11:
	v_mul_lo_u32 v0, v15, s14
	v_ashrrev_i32_e32 v1, 31, v0
	v_mov_b32_e32 v4, s3
	v_add_co_u32_e32 v0, vcc, s2, v0
	v_addc_co_u32_e32 v1, vcc, v4, v1, vcc
	v_mov_b32_e32 v4, 11
	s_waitcnt vmcnt(0)
	v_cmp_lt_i16_sdwa s[0:1], v16, v4 src0_sel:BYTE_0 src1_sel:DWORD
	s_and_b64 vcc, exec, s[0:1]
	s_cbranch_vccnz .LBB22_19
; %bb.12:
	v_mov_b32_e32 v4, 25
	v_cmp_gt_i16_sdwa s[0:1], v16, v4 src0_sel:BYTE_0 src1_sel:DWORD
	s_and_b64 vcc, exec, s[0:1]
	s_cbranch_vccz .LBB22_41
; %bb.13:
	v_mov_b32_e32 v4, 28
	v_cmp_gt_i16_sdwa s[0:1], v16, v4 src0_sel:BYTE_0 src1_sel:DWORD
	s_and_b64 vcc, exec, s[0:1]
	s_cbranch_vccz .LBB22_44
	;; [unrolled: 5-line block ×4, first 2 shown]
; %bb.16:
	v_mov_b32_e32 v4, 46
	v_cmp_eq_u16_sdwa s[0:1], v16, v4 src0_sel:BYTE_0 src1_sel:DWORD
	s_mov_b64 s[6:7], 0
	s_and_b64 vcc, exec, s[0:1]
	s_cbranch_vccz .LBB22_165
; %bb.17:
	global_load_dword v4, v[0:1], off
	s_mov_b64 s[0:1], -1
	s_mov_b64 s[18:19], 0
	s_waitcnt vmcnt(0)
	v_lshlrev_b32_e32 v4, 16, v4
	v_cvt_f64_f32_e32 v[4:5], v4
	s_branch .LBB22_167
.LBB22_18:
	s_mov_b64 s[0:1], 0
                                        ; implicit-def: $vgpr2_vgpr3
	s_cbranch_execnz .LBB22_82
	s_branch .LBB22_116
.LBB22_19:
	s_mov_b64 s[18:19], 0
                                        ; implicit-def: $vgpr4_vgpr5
	s_mov_b64 s[0:1], 0
	s_cbranch_execnz .LBB22_344
.LBB22_20:
	s_andn2_b64 vcc, exec, s[0:1]
	s_cbranch_vccnz .LBB22_392
.LBB22_21:
	s_waitcnt vmcnt(0)
	v_trunc_f64_e32 v[0:1], v[4:5]
	s_movk_i32 s0, 0xffe0
	v_ldexp_f64 v[4:5], v[0:1], s0
	v_floor_f64_e32 v[6:7], v[4:5]
	v_fmac_f64_e32 v[0:1], 0xc1f00000, v[6:7]
	v_cvt_i32_f64_e32 v5, v[6:7]
	v_cvt_u32_f64_e32 v4, v[0:1]
	v_cmp_lt_i64_e32 vcc, -1, v[4:5]
	v_pk_mov_b32 v[0:1], 0, 0
	s_and_saveexec_b64 s[0:1], vcc
	s_cbranch_execz .LBB22_33
; %bb.22:
	v_mov_b32_e32 v0, 0
	v_cmp_lt_i64_e32 vcc, 0, v[4:5]
	v_mov_b32_e32 v1, 0x3ff00000
	s_and_saveexec_b64 s[6:7], vcc
	s_cbranch_execz .LBB22_32
; %bb.23:
	v_cmp_ne_u64_e32 vcc, 1, v[4:5]
                                        ; implicit-def: $vgpr0_vgpr1
	s_and_saveexec_b64 s[24:25], vcc
	s_xor_b64 s[24:25], exec, s[24:25]
	s_cbranch_execz .LBB22_29
; %bb.24:
	s_mov_b64 s[28:29], 0x201
	v_mov_b32_e32 v0, 0
	v_cmp_gt_u64_e32 vcc, s[28:29], v[4:5]
	v_mov_b32_e32 v1, 0x7ff80000
	s_and_saveexec_b64 s[28:29], vcc
	s_cbranch_execz .LBB22_28
; %bb.25:
	v_mov_b32_e32 v6, 0
	s_mov_b64 s[34:35], 1
	s_mov_b64 s[30:31], 0
	v_mov_b32_e32 v7, 0x3ff00000
	v_pk_mov_b32 v[0:1], v[2:3], v[2:3] op_sel:[0,1]
.LBB22_26:                              ; =>This Inner Loop Header: Depth=1
	v_cvt_f64_u32_e32 v[8:9], s35
	v_cvt_f64_u32_e32 v[10:11], s34
	s_add_u32 s34, s34, 1
	v_ldexp_f64 v[8:9], v[8:9], 32
	s_addc_u32 s35, s35, 0
	v_add_f64 v[8:9], v[8:9], v[10:11]
	v_cmp_eq_u64_e32 vcc, s[34:35], v[4:5]
	v_mul_f64 v[8:9], v[6:7], v[8:9]
	s_or_b64 s[30:31], vcc, s[30:31]
	v_pk_mov_b32 v[6:7], v[0:1], v[0:1] op_sel:[0,1]
	v_fma_f64 v[0:1], v[2:3], v[0:1], -v[8:9]
	s_andn2_b64 exec, exec, s[30:31]
	s_cbranch_execnz .LBB22_26
; %bb.27:
	s_or_b64 exec, exec, s[30:31]
.LBB22_28:
	s_or_b64 exec, exec, s[28:29]
                                        ; implicit-def: $vgpr2_vgpr3
.LBB22_29:
	s_andn2_saveexec_b64 s[24:25], s[24:25]
; %bb.30:
	v_pk_mov_b32 v[0:1], v[2:3], v[2:3] op_sel:[0,1]
; %bb.31:
	s_or_b64 exec, exec, s[24:25]
.LBB22_32:
	s_or_b64 exec, exec, s[6:7]
.LBB22_33:
	s_or_b64 exec, exec, s[0:1]
	v_mul_lo_u32 v2, v15, s12
	v_ashrrev_i32_e32 v3, 31, v2
	v_mov_b32_e32 v5, s9
	v_add_co_u32_e32 v4, vcc, s8, v2
	v_mov_b32_e32 v2, 11
	v_addc_co_u32_e32 v5, vcc, v5, v3, vcc
	v_cmp_lt_i16_sdwa s[0:1], v14, v2 src0_sel:BYTE_0 src1_sel:DWORD
	s_and_b64 vcc, exec, s[0:1]
	s_cbranch_vccnz .LBB22_42
; %bb.34:
	v_mov_b32_e32 v2, 25
	v_cmp_gt_i16_sdwa s[0:1], v14, v2 src0_sel:BYTE_0 src1_sel:DWORD
	s_and_b64 vcc, exec, s[0:1]
	s_cbranch_vccz .LBB22_45
; %bb.35:
	v_mov_b32_e32 v2, 28
	v_cmp_gt_i16_sdwa s[0:1], v14, v2 src0_sel:BYTE_0 src1_sel:DWORD
	s_and_b64 vcc, exec, s[0:1]
	s_cbranch_vccz .LBB22_48
	;; [unrolled: 5-line block ×4, first 2 shown]
; %bb.38:
	v_mov_b32_e32 v2, 46
	v_cmp_eq_u16_sdwa s[6:7], v14, v2 src0_sel:BYTE_0 src1_sel:DWORD
	s_mov_b64 s[24:25], 0
	s_mov_b64 s[0:1], -1
	s_and_b64 vcc, exec, s[6:7]
	s_mov_b64 s[6:7], 0
	s_cbranch_vccz .LBB22_171
; %bb.39:
	v_cvt_f32_f64_e32 v2, v[0:1]
	v_bfe_u32 v3, v2, 16, 1
	s_movk_i32 s0, 0x7fff
	v_add3_u32 v3, v2, v3, s0
	v_lshrrev_b32_e32 v3, 16, v3
	v_mov_b32_e32 v6, 0x7fc0
	v_cmp_o_f32_e32 vcc, v2, v2
	v_cndmask_b32_e32 v2, v6, v3, vcc
	global_store_dword v[4:5], v2, off
	s_mov_b64 s[6:7], -1
	s_mov_b64 s[0:1], 0
	s_branch .LBB22_171
.LBB22_40:
	s_mov_b64 s[6:7], -1
	s_mov_b64 s[0:1], 0
                                        ; implicit-def: $vgpr2_vgpr3
	s_branch .LBB22_63
.LBB22_41:
	s_mov_b64 s[6:7], -1
	s_mov_b64 s[18:19], 0
	s_mov_b64 s[0:1], 0
                                        ; implicit-def: $vgpr4_vgpr5
	s_branch .LBB22_308
.LBB22_42:
	s_mov_b64 s[24:25], -1
	s_mov_b64 s[0:1], 0
	s_mov_b64 s[6:7], 0
	s_branch .LBB22_240
.LBB22_43:
	s_mov_b64 s[6:7], -1
	s_mov_b64 s[0:1], 0
                                        ; implicit-def: $vgpr2_vgpr3
	s_branch .LBB22_58
.LBB22_44:
	s_mov_b64 s[6:7], -1
	s_mov_b64 s[18:19], 0
	s_mov_b64 s[0:1], 0
                                        ; implicit-def: $vgpr4_vgpr5
	s_branch .LBB22_289
.LBB22_45:
	s_mov_b64 s[24:25], -1
	s_mov_b64 s[0:1], 0
	s_mov_b64 s[6:7], 0
	s_branch .LBB22_198
.LBB22_46:
	s_mov_b64 s[6:7], -1
	s_branch .LBB22_50
.LBB22_47:
	s_mov_b64 s[6:7], -1
	s_mov_b64 s[18:19], 0
	s_mov_b64 s[0:1], 0
                                        ; implicit-def: $vgpr4_vgpr5
	s_branch .LBB22_284
.LBB22_48:
	s_mov_b64 s[24:25], -1
	s_mov_b64 s[0:1], 0
	s_mov_b64 s[6:7], 0
	s_branch .LBB22_181
.LBB22_49:
	s_mov_b64 s[20:21], -1
.LBB22_50:
	s_mov_b64 s[0:1], 0
                                        ; implicit-def: $vgpr2_vgpr3
.LBB22_51:
	s_and_b64 vcc, exec, s[6:7]
	s_cbranch_vccz .LBB22_57
; %bb.52:
	v_mov_b32_e32 v2, 44
	v_cmp_eq_u16_sdwa s[6:7], v17, v2 src0_sel:BYTE_0 src1_sel:DWORD
	s_and_b64 vcc, exec, s[6:7]
	s_cbranch_vccz .LBB22_56
; %bb.53:
	global_load_ubyte v4, v[0:1], off
	s_movk_i32 s6, 0xff
	v_bfrev_b32_e32 v5, 4
	v_mov_b32_e32 v6, 0x7ff80000
	v_bfrev_b32_e32 v7, 28
	s_mov_b64 s[0:1], -1
	s_mov_b64 s[20:21], 0
	s_waitcnt vmcnt(0)
	v_lshlrev_b32_e32 v2, 23, v4
	v_cvt_f64_f32_e32 v[2:3], v2
	v_cmp_ne_u32_e32 vcc, s6, v4
	v_cndmask_b32_e32 v2, v5, v2, vcc
	v_cndmask_b32_e32 v3, v6, v3, vcc
	v_cmp_ne_u32_e32 vcc, 0, v4
	v_cndmask_b32_e32 v3, v7, v3, vcc
	v_cndmask_b32_e32 v2, 0, v2, vcc
	s_branch .LBB22_57
.LBB22_54:
	s_mov_b64 s[6:7], -1
	s_mov_b64 s[18:19], 0
	s_branch .LBB22_166
.LBB22_55:
	s_mov_b64 s[24:25], -1
	s_mov_b64 s[0:1], 0
	s_mov_b64 s[6:7], 0
	s_branch .LBB22_177
.LBB22_56:
	s_mov_b64 s[20:21], -1
                                        ; implicit-def: $vgpr2_vgpr3
.LBB22_57:
	s_mov_b64 s[6:7], 0
.LBB22_58:
	s_and_b64 vcc, exec, s[6:7]
	s_cbranch_vccz .LBB22_62
; %bb.59:
	v_mov_b32_e32 v2, 29
	v_cmp_eq_u16_sdwa s[6:7], v17, v2 src0_sel:BYTE_0 src1_sel:DWORD
	s_and_b64 vcc, exec, s[6:7]
	s_cbranch_vccz .LBB22_61
; %bb.60:
	global_load_dwordx2 v[2:3], v[0:1], off
	s_mov_b64 s[0:1], -1
	s_mov_b64 s[20:21], 0
	s_mov_b64 s[6:7], 0
	s_waitcnt vmcnt(0)
	v_cvt_f64_u32_e32 v[4:5], v3
	v_cvt_f64_u32_e32 v[2:3], v2
	v_ldexp_f64 v[4:5], v[4:5], 32
	v_add_f64 v[2:3], v[4:5], v[2:3]
	s_branch .LBB22_63
.LBB22_61:
	s_mov_b64 s[20:21], -1
                                        ; implicit-def: $vgpr2_vgpr3
.LBB22_62:
	s_mov_b64 s[6:7], 0
.LBB22_63:
	s_and_b64 vcc, exec, s[6:7]
	s_cbranch_vccz .LBB22_81
; %bb.64:
	v_mov_b32_e32 v2, 27
	v_cmp_lt_i16_sdwa s[0:1], v17, v2 src0_sel:BYTE_0 src1_sel:DWORD
	s_and_b64 vcc, exec, s[0:1]
	s_cbranch_vccnz .LBB22_67
; %bb.65:
	v_cmp_gt_i16_sdwa s[0:1], v17, v2 src0_sel:BYTE_0 src1_sel:DWORD
	s_and_b64 vcc, exec, s[0:1]
	s_cbranch_vccz .LBB22_68
; %bb.66:
	global_load_dword v2, v[0:1], off
	s_mov_b64 s[0:1], 0
	s_waitcnt vmcnt(0)
	v_cvt_f64_u32_e32 v[2:3], v2
	s_branch .LBB22_69
.LBB22_67:
	s_mov_b64 s[0:1], -1
                                        ; implicit-def: $vgpr2_vgpr3
	s_branch .LBB22_72
.LBB22_68:
	s_mov_b64 s[0:1], -1
                                        ; implicit-def: $vgpr2_vgpr3
.LBB22_69:
	s_andn2_b64 vcc, exec, s[0:1]
	s_cbranch_vccnz .LBB22_71
; %bb.70:
	global_load_ushort v2, v[0:1], off
	s_waitcnt vmcnt(0)
	v_cvt_f64_u32_e32 v[2:3], v2
.LBB22_71:
	s_mov_b64 s[0:1], 0
.LBB22_72:
	s_andn2_b64 vcc, exec, s[0:1]
	s_cbranch_vccnz .LBB22_80
; %bb.73:
	global_load_ubyte v4, v[0:1], off
	s_movk_i32 s0, 0x7f
                                        ; implicit-def: $sgpr6_sgpr7
	s_waitcnt vmcnt(0)
	v_cmp_lt_i16_e32 vcc, s0, v4
	s_mov_b64 s[0:1], 0
	s_and_saveexec_b64 s[18:19], vcc
	s_xor_b64 s[18:19], exec, s[18:19]
	s_cbranch_execz .LBB22_93
; %bb.74:
	s_movk_i32 s0, 0x80
	v_cmp_eq_u16_e32 vcc, s0, v4
	s_mov_b64 s[24:25], -1
                                        ; implicit-def: $sgpr6_sgpr7
	s_and_saveexec_b64 s[0:1], vcc
; %bb.75:
	s_mov_b32 s7, 0x7ff80000
	s_brev_b32 s6, 4
	s_xor_b64 s[24:25], exec, -1
; %bb.76:
	s_or_b64 exec, exec, s[0:1]
	s_and_b64 s[0:1], s[24:25], exec
	s_or_saveexec_b64 s[18:19], s[18:19]
	v_pk_mov_b32 v[2:3], s[6:7], s[6:7] op_sel:[0,1]
	s_xor_b64 exec, exec, s[18:19]
	s_cbranch_execnz .LBB22_94
.LBB22_77:
	s_or_b64 exec, exec, s[18:19]
	s_and_saveexec_b64 s[6:7], s[0:1]
	s_cbranch_execz .LBB22_79
.LBB22_78:
	v_and_b32_e32 v3, 0xffff, v4
	v_lshlrev_b32_e32 v2, 24, v4
	v_and_b32_e32 v4, 7, v3
	v_ffbh_u32_e32 v6, v4
	v_min_u32_e32 v6, 32, v6
	v_subrev_u32_e32 v7, 28, v6
	v_bfe_u32 v5, v3, 3, 4
	v_lshlrev_b32_e32 v3, v7, v3
	v_sub_u32_e32 v6, 29, v6
	v_and_b32_e32 v3, 7, v3
	v_cmp_eq_u32_e32 vcc, 0, v5
	v_cndmask_b32_e32 v5, v5, v6, vcc
	v_cndmask_b32_e32 v3, v4, v3, vcc
	v_mov_b32_e32 v4, 0x3b800000
	v_lshlrev_b32_e32 v3, 20, v3
	v_and_b32_e32 v2, 0x80000000, v2
	v_lshl_add_u32 v4, v5, 23, v4
	v_or3_b32 v2, v2, v4, v3
	v_cvt_f64_f32_e32 v[2:3], v2
.LBB22_79:
	s_or_b64 exec, exec, s[6:7]
.LBB22_80:
	s_mov_b64 s[0:1], -1
.LBB22_81:
	s_branch .LBB22_116
.LBB22_82:
	v_mov_b32_e32 v2, 22
	v_cmp_gt_i16_sdwa s[6:7], v17, v2 src0_sel:BYTE_0 src1_sel:DWORD
	s_and_b64 vcc, exec, s[6:7]
	s_cbranch_vccz .LBB22_92
; %bb.83:
	v_mov_b32_e32 v2, 24
	v_cmp_lt_i16_sdwa s[0:1], v17, v2 src0_sel:BYTE_0 src1_sel:DWORD
	s_and_b64 vcc, exec, s[0:1]
	s_cbranch_vccnz .LBB22_95
; %bb.84:
	v_cmp_gt_i16_sdwa s[0:1], v17, v2 src0_sel:BYTE_0 src1_sel:DWORD
	s_and_b64 vcc, exec, s[0:1]
	s_cbranch_vccz .LBB22_96
; %bb.85:
	global_load_ubyte v4, v[0:1], off
	s_movk_i32 s0, 0x7f
                                        ; implicit-def: $sgpr6_sgpr7
	s_waitcnt vmcnt(0)
	v_cmp_lt_i16_e32 vcc, s0, v4
	s_mov_b64 s[0:1], 0
	s_and_saveexec_b64 s[18:19], vcc
	s_xor_b64 s[18:19], exec, s[18:19]
	s_cbranch_execz .LBB22_108
; %bb.86:
	s_movk_i32 s0, 0x80
	v_cmp_eq_u16_e32 vcc, s0, v4
	s_mov_b64 s[24:25], -1
                                        ; implicit-def: $sgpr6_sgpr7
	s_and_saveexec_b64 s[0:1], vcc
; %bb.87:
	s_mov_b32 s7, 0x7ff80000
	s_brev_b32 s6, 4
	s_xor_b64 s[24:25], exec, -1
; %bb.88:
	s_or_b64 exec, exec, s[0:1]
	s_and_b64 s[0:1], s[24:25], exec
	s_or_saveexec_b64 s[18:19], s[18:19]
	v_pk_mov_b32 v[2:3], s[6:7], s[6:7] op_sel:[0,1]
	s_xor_b64 exec, exec, s[18:19]
	s_cbranch_execnz .LBB22_109
.LBB22_89:
	s_or_b64 exec, exec, s[18:19]
	s_and_saveexec_b64 s[6:7], s[0:1]
	s_cbranch_execz .LBB22_91
.LBB22_90:
	v_and_b32_e32 v3, 0xffff, v4
	v_lshlrev_b32_e32 v2, 24, v4
	v_and_b32_e32 v4, 3, v3
	v_ffbh_u32_e32 v6, v4
	v_min_u32_e32 v6, 32, v6
	v_subrev_u32_e32 v7, 29, v6
	v_bfe_u32 v5, v3, 2, 5
	v_lshlrev_b32_e32 v3, v7, v3
	v_sub_u32_e32 v6, 30, v6
	v_and_b32_e32 v3, 3, v3
	v_cmp_eq_u32_e32 vcc, 0, v5
	v_cndmask_b32_e32 v5, v5, v6, vcc
	v_cndmask_b32_e32 v3, v4, v3, vcc
	v_mov_b32_e32 v4, 0x37800000
	v_lshlrev_b32_e32 v3, 21, v3
	v_and_b32_e32 v2, 0x80000000, v2
	v_lshl_add_u32 v4, v5, 23, v4
	v_or3_b32 v2, v2, v4, v3
	v_cvt_f64_f32_e32 v[2:3], v2
.LBB22_91:
	s_or_b64 exec, exec, s[6:7]
	s_mov_b64 s[0:1], 0
	s_branch .LBB22_97
.LBB22_92:
	s_mov_b64 s[6:7], -1
                                        ; implicit-def: $vgpr2_vgpr3
	s_branch .LBB22_103
.LBB22_93:
	s_or_saveexec_b64 s[18:19], s[18:19]
	v_pk_mov_b32 v[2:3], s[6:7], s[6:7] op_sel:[0,1]
	s_xor_b64 exec, exec, s[18:19]
	s_cbranch_execz .LBB22_77
.LBB22_94:
	v_cmp_ne_u16_e32 vcc, 0, v4
	s_andn2_b64 s[0:1], s[0:1], exec
	s_and_b64 s[6:7], vcc, exec
	v_pk_mov_b32 v[2:3], 0, 0
	s_or_b64 s[0:1], s[0:1], s[6:7]
	s_or_b64 exec, exec, s[18:19]
	s_and_saveexec_b64 s[6:7], s[0:1]
	s_cbranch_execnz .LBB22_78
	s_branch .LBB22_79
.LBB22_95:
	s_mov_b64 s[0:1], -1
                                        ; implicit-def: $vgpr2_vgpr3
	s_branch .LBB22_100
.LBB22_96:
	s_mov_b64 s[0:1], -1
                                        ; implicit-def: $vgpr2_vgpr3
.LBB22_97:
	s_and_b64 vcc, exec, s[0:1]
	s_cbranch_vccz .LBB22_99
; %bb.98:
	global_load_ubyte v2, v[0:1], off
	s_mov_b32 s0, 0x7f800000
	s_waitcnt vmcnt(0)
	v_lshlrev_b32_e32 v2, 24, v2
	v_and_b32_e32 v3, 0x7f000000, v2
	v_ffbh_u32_e32 v4, v3
	v_min_u32_e32 v4, 32, v4
	v_sub_u32_e64 v4, v4, 4 clamp
	v_lshlrev_b32_e32 v6, v4, v3
	v_lshlrev_b32_e32 v4, 23, v4
	v_lshrrev_b32_e32 v6, 4, v6
	v_add_u32_e32 v5, 0x1000000, v3
	v_sub_u32_e32 v4, v6, v4
	v_ashrrev_i32_e32 v5, 8, v5
	v_add_u32_e32 v4, 0x3c000000, v4
	v_and_or_b32 v4, v5, s0, v4
	v_cmp_ne_u32_e32 vcc, 0, v3
	v_cndmask_b32_e32 v3, 0, v4, vcc
	s_brev_b32 s0, 1
	v_and_or_b32 v2, v2, s0, v3
	v_cvt_f64_f32_e32 v[2:3], v2
.LBB22_99:
	s_mov_b64 s[0:1], 0
.LBB22_100:
	s_andn2_b64 vcc, exec, s[0:1]
	s_cbranch_vccnz .LBB22_102
; %bb.101:
	global_load_ubyte v2, v[0:1], off
	s_movk_i32 s0, 0x7f00
	s_brev_b32 s1, 16
	s_waitcnt vmcnt(0)
	v_lshlrev_b16_e32 v3, 8, v2
	v_lshlrev_b32_e32 v2, 25, v2
	v_lshrrev_b32_e32 v4, 4, v2
	v_and_or_b32 v5, v3, s0, 0.5
	v_or_b32_e32 v4, 0x70000000, v4
	v_add_f32_e32 v5, -0.5, v5
	v_mul_f32_e32 v4, 0x7800000, v4
	v_cmp_gt_u32_e32 vcc, s1, v2
	v_bfe_i32 v3, v3, 0, 16
	v_cndmask_b32_e32 v2, v4, v5, vcc
	s_brev_b32 s0, 1
	v_and_or_b32 v2, v3, s0, v2
	v_cvt_f64_f32_e32 v[2:3], v2
.LBB22_102:
	s_mov_b64 s[6:7], 0
	s_mov_b64 s[0:1], -1
.LBB22_103:
	s_andn2_b64 vcc, exec, s[6:7]
	s_cbranch_vccnz .LBB22_116
; %bb.104:
	v_mov_b32_e32 v2, 14
	v_cmp_gt_i16_sdwa s[6:7], v17, v2 src0_sel:BYTE_0 src1_sel:DWORD
	s_and_b64 vcc, exec, s[6:7]
	s_cbranch_vccz .LBB22_107
; %bb.105:
	v_mov_b32_e32 v2, 15
	v_cmp_eq_u16_sdwa s[6:7], v17, v2 src0_sel:BYTE_0 src1_sel:DWORD
	s_and_b64 vcc, exec, s[6:7]
	s_cbranch_vccz .LBB22_110
; %bb.106:
	global_load_ushort v2, v[0:1], off
	s_mov_b64 s[0:1], -1
	s_mov_b64 s[20:21], 0
	s_waitcnt vmcnt(0)
	v_lshlrev_b32_e32 v2, 16, v2
	v_cvt_f64_f32_e32 v[2:3], v2
	s_branch .LBB22_111
.LBB22_107:
	s_mov_b64 s[6:7], -1
                                        ; implicit-def: $vgpr2_vgpr3
	s_branch .LBB22_112
.LBB22_108:
	s_or_saveexec_b64 s[18:19], s[18:19]
	v_pk_mov_b32 v[2:3], s[6:7], s[6:7] op_sel:[0,1]
	s_xor_b64 exec, exec, s[18:19]
	s_cbranch_execz .LBB22_89
.LBB22_109:
	v_cmp_ne_u16_e32 vcc, 0, v4
	s_andn2_b64 s[0:1], s[0:1], exec
	s_and_b64 s[6:7], vcc, exec
	v_pk_mov_b32 v[2:3], 0, 0
	s_or_b64 s[0:1], s[0:1], s[6:7]
	s_or_b64 exec, exec, s[18:19]
	s_and_saveexec_b64 s[6:7], s[0:1]
	s_cbranch_execnz .LBB22_90
	s_branch .LBB22_91
.LBB22_110:
	s_mov_b64 s[20:21], -1
                                        ; implicit-def: $vgpr2_vgpr3
.LBB22_111:
	s_mov_b64 s[6:7], 0
.LBB22_112:
	s_and_b64 vcc, exec, s[6:7]
	s_cbranch_vccz .LBB22_116
; %bb.113:
	v_mov_b32_e32 v2, 11
	v_cmp_eq_u16_sdwa s[6:7], v17, v2 src0_sel:BYTE_0 src1_sel:DWORD
	s_and_b64 vcc, exec, s[6:7]
	s_cbranch_vccz .LBB22_115
; %bb.114:
	global_load_ubyte v3, v[0:1], off
	v_mov_b32_e32 v4, 0x3ff00000
	v_mov_b32_e32 v2, 0
	s_mov_b64 s[0:1], -1
	s_mov_b64 s[20:21], 0
	s_waitcnt vmcnt(0)
	v_cmp_ne_u16_e32 vcc, 0, v3
	v_cndmask_b32_e32 v3, 0, v4, vcc
	s_branch .LBB22_116
.LBB22_115:
	s_mov_b64 s[20:21], -1
                                        ; implicit-def: $vgpr2_vgpr3
.LBB22_116:
	s_branch .LBB22_10
.LBB22_117:
	v_mov_b32_e32 v2, 5
	v_cmp_lt_i16_sdwa s[0:1], v17, v2 src0_sel:BYTE_0 src1_sel:DWORD
	s_and_b64 vcc, exec, s[0:1]
	s_cbranch_vccnz .LBB22_122
; %bb.118:
	v_mov_b32_e32 v2, 8
	v_cmp_lt_i16_sdwa s[0:1], v17, v2 src0_sel:BYTE_0 src1_sel:DWORD
	s_and_b64 vcc, exec, s[0:1]
	s_cbranch_vccnz .LBB22_123
; %bb.119:
	;; [unrolled: 5-line block ×3, first 2 shown]
	v_cmp_gt_i16_sdwa s[0:1], v17, v2 src0_sel:BYTE_0 src1_sel:DWORD
	s_and_b64 vcc, exec, s[0:1]
	s_cbranch_vccz .LBB22_125
; %bb.121:
	global_load_dwordx2 v[2:3], v[0:1], off
	s_mov_b64 s[0:1], 0
	s_branch .LBB22_126
.LBB22_122:
                                        ; implicit-def: $vgpr2_vgpr3
	s_branch .LBB22_144
.LBB22_123:
	s_mov_b64 s[0:1], -1
                                        ; implicit-def: $vgpr2_vgpr3
	s_branch .LBB22_132
.LBB22_124:
	s_mov_b64 s[0:1], -1
                                        ; implicit-def: $vgpr2_vgpr3
	s_branch .LBB22_129
.LBB22_125:
	s_mov_b64 s[0:1], -1
                                        ; implicit-def: $vgpr2_vgpr3
.LBB22_126:
	s_andn2_b64 vcc, exec, s[0:1]
	s_cbranch_vccnz .LBB22_128
; %bb.127:
	global_load_dword v2, v[0:1], off
	s_waitcnt vmcnt(0)
	v_cvt_f64_f32_e32 v[2:3], v2
.LBB22_128:
	s_mov_b64 s[0:1], 0
.LBB22_129:
	s_andn2_b64 vcc, exec, s[0:1]
	s_cbranch_vccnz .LBB22_131
; %bb.130:
	global_load_dword v2, v[0:1], off
	s_waitcnt vmcnt(0)
	v_cvt_f32_f16_e32 v2, v2
	v_cvt_f64_f32_e32 v[2:3], v2
.LBB22_131:
	s_mov_b64 s[0:1], 0
.LBB22_132:
	s_andn2_b64 vcc, exec, s[0:1]
	s_cbranch_vccnz .LBB22_143
; %bb.133:
	s_waitcnt vmcnt(0)
	v_mov_b32_e32 v2, 6
	v_cmp_lt_i16_sdwa s[0:1], v17, v2 src0_sel:BYTE_0 src1_sel:DWORD
	s_and_b64 vcc, exec, s[0:1]
	s_cbranch_vccnz .LBB22_136
; %bb.134:
	v_cmp_gt_i16_sdwa s[0:1], v17, v2 src0_sel:BYTE_0 src1_sel:DWORD
	s_and_b64 vcc, exec, s[0:1]
	s_cbranch_vccz .LBB22_137
; %bb.135:
	global_load_dwordx2 v[2:3], v[0:1], off
	s_mov_b64 s[0:1], 0
	s_branch .LBB22_138
.LBB22_136:
	s_mov_b64 s[0:1], -1
                                        ; implicit-def: $vgpr2_vgpr3
	s_branch .LBB22_141
.LBB22_137:
	s_mov_b64 s[0:1], -1
                                        ; implicit-def: $vgpr2_vgpr3
.LBB22_138:
	s_andn2_b64 vcc, exec, s[0:1]
	s_cbranch_vccnz .LBB22_140
; %bb.139:
	global_load_dword v2, v[0:1], off
	s_waitcnt vmcnt(0)
	v_cvt_f64_f32_e32 v[2:3], v2
.LBB22_140:
	s_mov_b64 s[0:1], 0
.LBB22_141:
	s_andn2_b64 vcc, exec, s[0:1]
	s_cbranch_vccnz .LBB22_143
; %bb.142:
	global_load_ushort v2, v[0:1], off
	s_waitcnt vmcnt(0)
	v_cvt_f32_f16_e32 v2, v2
	v_cvt_f64_f32_e32 v[2:3], v2
.LBB22_143:
	s_cbranch_execnz .LBB22_163
.LBB22_144:
	s_waitcnt vmcnt(0)
	v_mov_b32_e32 v2, 2
	v_cmp_lt_i16_sdwa s[0:1], v17, v2 src0_sel:BYTE_0 src1_sel:DWORD
	s_and_b64 vcc, exec, s[0:1]
	s_cbranch_vccnz .LBB22_148
; %bb.145:
	v_mov_b32_e32 v2, 3
	v_cmp_lt_i16_sdwa s[0:1], v17, v2 src0_sel:BYTE_0 src1_sel:DWORD
	s_and_b64 vcc, exec, s[0:1]
	s_cbranch_vccnz .LBB22_149
; %bb.146:
	v_cmp_gt_i16_sdwa s[0:1], v17, v2 src0_sel:BYTE_0 src1_sel:DWORD
	s_and_b64 vcc, exec, s[0:1]
	s_cbranch_vccz .LBB22_150
; %bb.147:
	global_load_dwordx2 v[2:3], v[0:1], off
	s_mov_b64 s[0:1], 0
	s_waitcnt vmcnt(0)
	v_cvt_f64_i32_e32 v[4:5], v3
	v_cvt_f64_u32_e32 v[2:3], v2
	v_ldexp_f64 v[4:5], v[4:5], 32
	v_add_f64 v[2:3], v[4:5], v[2:3]
	s_branch .LBB22_151
.LBB22_148:
	s_mov_b64 s[0:1], -1
                                        ; implicit-def: $vgpr2_vgpr3
	s_branch .LBB22_157
.LBB22_149:
	s_mov_b64 s[0:1], -1
                                        ; implicit-def: $vgpr2_vgpr3
	s_branch .LBB22_154
.LBB22_150:
	s_mov_b64 s[0:1], -1
                                        ; implicit-def: $vgpr2_vgpr3
.LBB22_151:
	s_andn2_b64 vcc, exec, s[0:1]
	s_cbranch_vccnz .LBB22_153
; %bb.152:
	global_load_dword v2, v[0:1], off
	s_waitcnt vmcnt(0)
	v_cvt_f64_i32_e32 v[2:3], v2
.LBB22_153:
	s_mov_b64 s[0:1], 0
.LBB22_154:
	s_andn2_b64 vcc, exec, s[0:1]
	s_cbranch_vccnz .LBB22_156
; %bb.155:
	global_load_sshort v2, v[0:1], off
	s_waitcnt vmcnt(0)
	v_cvt_f64_i32_e32 v[2:3], v2
.LBB22_156:
	s_mov_b64 s[0:1], 0
.LBB22_157:
	s_andn2_b64 vcc, exec, s[0:1]
	s_cbranch_vccnz .LBB22_163
; %bb.158:
	v_mov_b32_e32 v2, 0
	v_cmp_gt_i16_sdwa s[0:1], v17, v2 src0_sel:BYTE_0 src1_sel:DWORD
	s_and_b64 vcc, exec, s[0:1]
	s_cbranch_vccz .LBB22_160
; %bb.159:
	global_load_sbyte v2, v[0:1], off
	s_mov_b64 s[0:1], 0
	s_waitcnt vmcnt(0)
	v_cvt_f64_i32_e32 v[2:3], v2
	s_branch .LBB22_161
.LBB22_160:
	s_mov_b64 s[0:1], -1
                                        ; implicit-def: $vgpr2_vgpr3
.LBB22_161:
	s_andn2_b64 vcc, exec, s[0:1]
	s_cbranch_vccnz .LBB22_163
; %bb.162:
	global_load_ubyte v0, v[0:1], off
	s_waitcnt vmcnt(0)
	v_cvt_f64_u32_e32 v[2:3], v0
.LBB22_163:
	s_branch .LBB22_11
.LBB22_164:
	s_mov_b64 s[0:1], 0
	s_mov_b64 s[18:19], 0
	s_branch .LBB22_393
.LBB22_165:
	s_mov_b64 s[18:19], -1
.LBB22_166:
	s_mov_b64 s[0:1], 0
                                        ; implicit-def: $vgpr4_vgpr5
.LBB22_167:
	s_and_b64 vcc, exec, s[6:7]
	s_cbranch_vccz .LBB22_283
; %bb.168:
	v_mov_b32_e32 v4, 44
	v_cmp_eq_u16_sdwa s[6:7], v16, v4 src0_sel:BYTE_0 src1_sel:DWORD
	s_and_b64 vcc, exec, s[6:7]
	s_cbranch_vccz .LBB22_282
; %bb.169:
	global_load_ubyte v6, v[0:1], off
	s_movk_i32 s6, 0xff
	v_bfrev_b32_e32 v7, 4
	v_mov_b32_e32 v8, 0x7ff80000
	v_bfrev_b32_e32 v9, 28
	s_mov_b64 s[0:1], -1
	s_mov_b64 s[18:19], 0
	s_waitcnt vmcnt(0)
	v_lshlrev_b32_e32 v4, 23, v6
	v_cvt_f64_f32_e32 v[4:5], v4
	v_cmp_ne_u32_e32 vcc, s6, v6
	v_cndmask_b32_e32 v4, v7, v4, vcc
	v_cndmask_b32_e32 v5, v8, v5, vcc
	v_cmp_ne_u32_e32 vcc, 0, v6
	v_cndmask_b32_e32 v5, v9, v5, vcc
	v_cndmask_b32_e32 v4, 0, v4, vcc
	s_branch .LBB22_283
.LBB22_170:
	s_mov_b64 s[24:25], -1
	s_mov_b64 s[0:1], 0
	s_mov_b64 s[6:7], 0
.LBB22_171:
	s_and_b64 vcc, exec, s[24:25]
	s_cbranch_vccz .LBB22_176
; %bb.172:
	v_mov_b32_e32 v2, 44
	v_cmp_eq_u16_sdwa s[24:25], v14, v2 src0_sel:BYTE_0 src1_sel:DWORD
	s_mov_b64 s[0:1], -1
	s_and_b64 vcc, exec, s[24:25]
	s_cbranch_vccz .LBB22_176
; %bb.173:
	v_cvt_f32_f64_e32 v2, v[0:1]
	v_bfe_u32 v3, v2, 23, 8
	s_movk_i32 s0, 0xff
	v_cmp_ne_u32_e32 vcc, s0, v3
	v_mov_b32_e32 v6, 0xff
	s_and_saveexec_b64 s[6:7], vcc
; %bb.174:
	s_mov_b32 s0, 0x3fffff
	v_lshrrev_b32_e32 v6, 23, v2
	v_and_b32_e32 v7, 0x400000, v2
	v_and_or_b32 v2, v2, s0, v3
	v_cmp_ne_u32_e32 vcc, 0, v7
	v_cmp_ne_u32_e64 s[0:1], 0, v2
	s_and_b64 s[0:1], vcc, s[0:1]
	v_cndmask_b32_e64 v2, 0, 1, s[0:1]
	v_add_u32_e32 v6, v6, v2
; %bb.175:
	s_or_b64 exec, exec, s[6:7]
	s_mov_b64 s[6:7], -1
	s_mov_b64 s[0:1], 0
	global_store_byte v[4:5], v6, off
.LBB22_176:
	s_mov_b64 s[24:25], 0
.LBB22_177:
	s_and_b64 vcc, exec, s[24:25]
	s_cbranch_vccz .LBB22_180
; %bb.178:
	v_mov_b32_e32 v2, 29
	v_cmp_eq_u16_sdwa s[24:25], v14, v2 src0_sel:BYTE_0 src1_sel:DWORD
	s_mov_b64 s[0:1], -1
	s_and_b64 vcc, exec, s[24:25]
	s_cbranch_vccz .LBB22_180
; %bb.179:
	v_trunc_f64_e32 v[2:3], v[0:1]
	s_movk_i32 s0, 0xffe0
	v_ldexp_f64 v[6:7], v[2:3], s0
	v_floor_f64_e32 v[6:7], v[6:7]
	v_fmac_f64_e32 v[2:3], 0xc1f00000, v[6:7]
	v_cvt_u32_f64_e32 v9, v[6:7]
	v_cvt_u32_f64_e32 v8, v[2:3]
	global_store_dwordx2 v[4:5], v[8:9], off
	s_mov_b64 s[6:7], -1
	s_mov_b64 s[0:1], 0
.LBB22_180:
	s_mov_b64 s[24:25], 0
.LBB22_181:
	s_and_b64 vcc, exec, s[24:25]
	s_cbranch_vccz .LBB22_197
; %bb.182:
	v_mov_b32_e32 v2, 27
	v_cmp_lt_i16_sdwa s[24:25], v14, v2 src0_sel:BYTE_0 src1_sel:DWORD
	s_mov_b64 s[6:7], -1
	s_and_b64 vcc, exec, s[24:25]
	s_cbranch_vccnz .LBB22_188
; %bb.183:
	v_cmp_gt_i16_sdwa s[24:25], v14, v2 src0_sel:BYTE_0 src1_sel:DWORD
	s_and_b64 vcc, exec, s[24:25]
	v_cvt_u32_f64_e32 v2, v[0:1]
	s_cbranch_vccz .LBB22_185
; %bb.184:
	s_mov_b64 s[6:7], 0
	global_store_dword v[4:5], v2, off
.LBB22_185:
	s_andn2_b64 vcc, exec, s[6:7]
	s_cbranch_vccnz .LBB22_187
; %bb.186:
	global_store_short v[4:5], v2, off
.LBB22_187:
	s_mov_b64 s[6:7], 0
.LBB22_188:
	s_andn2_b64 vcc, exec, s[6:7]
	s_cbranch_vccnz .LBB22_196
; %bb.189:
	v_cvt_f32_f64_e32 v2, v[0:1]
	v_and_b32_e32 v3, 0x7fffffff, v2
	s_mov_b32 s6, 0x43800000
	v_cmp_gt_u32_e32 vcc, s6, v3
	v_mov_b32_e32 v6, 0x80
	s_and_saveexec_b64 s[6:7], vcc
	s_cbranch_execz .LBB22_195
; %bb.190:
	s_mov_b32 s15, 0x3bffffff
	v_cmp_lt_u32_e32 vcc, s15, v3
	s_mov_b64 s[24:25], 0
                                        ; implicit-def: $vgpr3
	s_and_saveexec_b64 s[28:29], vcc
	s_xor_b64 s[28:29], exec, s[28:29]
	s_cbranch_execz .LBB22_424
; %bb.191:
	v_bfe_u32 v3, v2, 20, 1
	s_mov_b32 s15, 0x487ffff
	v_add3_u32 v3, v2, v3, s15
	s_mov_b64 s[24:25], exec
	v_lshrrev_b32_e32 v3, 20, v3
	s_or_saveexec_b64 s[28:29], s[28:29]
                                        ; implicit-def: $sgpr15
	s_xor_b64 exec, exec, s[28:29]
	s_cbranch_execnz .LBB22_425
.LBB22_192:
	s_or_b64 exec, exec, s[28:29]
	v_mov_b32_e32 v6, s15
	s_and_saveexec_b64 s[28:29], s[24:25]
.LBB22_193:
	v_lshrrev_b32_e32 v2, 24, v2
	s_movk_i32 s15, 0x80
	v_and_or_b32 v6, v2, s15, v3
.LBB22_194:
	s_or_b64 exec, exec, s[28:29]
.LBB22_195:
	s_or_b64 exec, exec, s[6:7]
	global_store_byte v[4:5], v6, off
.LBB22_196:
	s_mov_b64 s[6:7], -1
.LBB22_197:
	s_mov_b64 s[24:25], 0
.LBB22_198:
	s_and_b64 vcc, exec, s[24:25]
	s_cbranch_vccz .LBB22_239
; %bb.199:
	v_mov_b32_e32 v2, 22
	v_cmp_gt_i16_sdwa s[28:29], v14, v2 src0_sel:BYTE_0 src1_sel:DWORD
	s_mov_b64 s[24:25], -1
	s_and_b64 vcc, exec, s[28:29]
	s_cbranch_vccz .LBB22_231
; %bb.200:
	v_mov_b32_e32 v2, 24
	v_cmp_lt_i16_sdwa s[24:25], v14, v2 src0_sel:BYTE_0 src1_sel:DWORD
	s_mov_b64 s[6:7], -1
	s_and_b64 vcc, exec, s[24:25]
	s_cbranch_vccnz .LBB22_220
; %bb.201:
	v_cmp_gt_i16_sdwa s[24:25], v14, v2 src0_sel:BYTE_0 src1_sel:DWORD
	s_and_b64 vcc, exec, s[24:25]
	s_cbranch_vccz .LBB22_209
; %bb.202:
	v_cvt_f32_f64_e32 v2, v[0:1]
	v_and_b32_e32 v3, 0x7fffffff, v2
	s_mov_b32 s6, 0x47800000
	v_cmp_gt_u32_e32 vcc, s6, v3
	v_mov_b32_e32 v6, 0x80
	s_and_saveexec_b64 s[6:7], vcc
	s_cbranch_execz .LBB22_208
; %bb.203:
	s_mov_b32 s15, 0x37ffffff
	v_cmp_lt_u32_e32 vcc, s15, v3
	s_mov_b64 s[24:25], 0
                                        ; implicit-def: $vgpr3
	s_and_saveexec_b64 s[28:29], vcc
	s_xor_b64 s[28:29], exec, s[28:29]
	s_cbranch_execz .LBB22_543
; %bb.204:
	v_bfe_u32 v3, v2, 21, 1
	s_mov_b32 s15, 0x88fffff
	v_add3_u32 v3, v2, v3, s15
	s_mov_b64 s[24:25], exec
	v_lshrrev_b32_e32 v3, 21, v3
	s_or_saveexec_b64 s[28:29], s[28:29]
                                        ; implicit-def: $sgpr15
	s_xor_b64 exec, exec, s[28:29]
	s_cbranch_execnz .LBB22_544
.LBB22_205:
	s_or_b64 exec, exec, s[28:29]
	v_mov_b32_e32 v6, s15
	s_and_saveexec_b64 s[28:29], s[24:25]
.LBB22_206:
	v_lshrrev_b32_e32 v2, 24, v2
	s_movk_i32 s15, 0x80
	v_and_or_b32 v6, v2, s15, v3
.LBB22_207:
	s_or_b64 exec, exec, s[28:29]
.LBB22_208:
	s_or_b64 exec, exec, s[6:7]
	s_mov_b64 s[6:7], 0
	global_store_byte v[4:5], v6, off
.LBB22_209:
	s_and_b64 vcc, exec, s[6:7]
	s_cbranch_vccz .LBB22_219
; %bb.210:
	v_cvt_f32_f64_e32 v2, v[0:1]
	v_and_b32_e32 v6, 0x7fffffff, v2
	s_mov_b32 s6, 0x43f00000
	v_cmp_gt_u32_e32 vcc, s6, v6
                                        ; implicit-def: $vgpr3
	s_and_saveexec_b64 s[6:7], vcc
	s_xor_b64 s[6:7], exec, s[6:7]
	s_cbranch_execz .LBB22_216
; %bb.211:
	s_mov_b32 s15, 0x3c7fffff
	v_cmp_lt_u32_e32 vcc, s15, v6
                                        ; implicit-def: $vgpr3
	s_and_saveexec_b64 s[24:25], vcc
	s_xor_b64 s[24:25], exec, s[24:25]
; %bb.212:
	v_bfe_u32 v3, v2, 20, 1
	s_mov_b32 s15, 0x407ffff
	v_add3_u32 v3, v2, v3, s15
	v_lshrrev_b32_e32 v6, 20, v3
	v_and_b32_e32 v3, 0xff00000, v3
	s_mov_b32 s15, 0x7f00000
	v_mov_b32_e32 v7, 0x7e
	v_cmp_ne_u32_e32 vcc, s15, v3
	v_cndmask_b32_e32 v3, v7, v6, vcc
; %bb.213:
	s_andn2_saveexec_b64 s[24:25], s[24:25]
; %bb.214:
	s_mov_b32 s15, 0x46800000
	v_add_f32_e64 v3, |v2|, s15
; %bb.215:
	s_or_b64 exec, exec, s[24:25]
                                        ; implicit-def: $vgpr6
.LBB22_216:
	s_andn2_saveexec_b64 s[6:7], s[6:7]
; %bb.217:
	s_mov_b32 s15, 0x7f800000
	v_mov_b32_e32 v3, 0x7e
	v_mov_b32_e32 v7, 0x7f
	v_cmp_lt_u32_e32 vcc, s15, v6
	v_cndmask_b32_e32 v3, v3, v7, vcc
; %bb.218:
	s_or_b64 exec, exec, s[6:7]
	v_lshrrev_b32_e32 v2, 24, v2
	s_movk_i32 s6, 0x80
	v_and_or_b32 v2, v2, s6, v3
	global_store_byte v[4:5], v2, off
.LBB22_219:
	s_mov_b64 s[6:7], 0
.LBB22_220:
	s_andn2_b64 vcc, exec, s[6:7]
	s_cbranch_vccnz .LBB22_230
; %bb.221:
	v_cvt_f32_f64_e32 v2, v[0:1]
	v_and_b32_e32 v6, 0x7fffffff, v2
	s_mov_b32 s6, 0x47800000
	v_cmp_gt_u32_e32 vcc, s6, v6
                                        ; implicit-def: $vgpr3
	s_and_saveexec_b64 s[6:7], vcc
	s_xor_b64 s[6:7], exec, s[6:7]
	s_cbranch_execz .LBB22_227
; %bb.222:
	s_mov_b32 s15, 0x387fffff
	v_cmp_lt_u32_e32 vcc, s15, v6
                                        ; implicit-def: $vgpr3
	s_and_saveexec_b64 s[24:25], vcc
	s_xor_b64 s[24:25], exec, s[24:25]
; %bb.223:
	v_bfe_u32 v3, v2, 21, 1
	s_mov_b32 s15, 0x80fffff
	v_add3_u32 v3, v2, v3, s15
	v_lshrrev_b32_e32 v3, 21, v3
; %bb.224:
	s_andn2_saveexec_b64 s[24:25], s[24:25]
; %bb.225:
	s_mov_b32 s15, 0x43000000
	v_add_f32_e64 v3, |v2|, s15
; %bb.226:
	s_or_b64 exec, exec, s[24:25]
                                        ; implicit-def: $vgpr6
.LBB22_227:
	s_andn2_saveexec_b64 s[6:7], s[6:7]
; %bb.228:
	s_mov_b32 s15, 0x7f800000
	v_mov_b32_e32 v3, 0x7c
	v_mov_b32_e32 v7, 0x7f
	v_cmp_lt_u32_e32 vcc, s15, v6
	v_cndmask_b32_e32 v3, v3, v7, vcc
; %bb.229:
	s_or_b64 exec, exec, s[6:7]
	v_lshrrev_b32_e32 v2, 24, v2
	s_movk_i32 s6, 0x80
	v_and_or_b32 v2, v2, s6, v3
	global_store_byte v[4:5], v2, off
.LBB22_230:
	s_mov_b64 s[24:25], 0
	s_mov_b64 s[6:7], -1
.LBB22_231:
	s_andn2_b64 vcc, exec, s[24:25]
	s_cbranch_vccnz .LBB22_239
; %bb.232:
	v_mov_b32_e32 v2, 14
	v_cmp_gt_i16_sdwa s[28:29], v14, v2 src0_sel:BYTE_0 src1_sel:DWORD
	s_mov_b64 s[24:25], -1
	s_and_b64 vcc, exec, s[28:29]
	s_cbranch_vccz .LBB22_236
; %bb.233:
	v_mov_b32_e32 v2, 15
	v_cmp_eq_u16_sdwa s[24:25], v14, v2 src0_sel:BYTE_0 src1_sel:DWORD
	s_mov_b64 s[0:1], -1
	s_and_b64 vcc, exec, s[24:25]
	s_cbranch_vccz .LBB22_235
; %bb.234:
	v_cvt_f32_f64_e32 v2, v[0:1]
	v_bfe_u32 v3, v2, 16, 1
	s_movk_i32 s0, 0x7fff
	v_add3_u32 v3, v2, v3, s0
	v_lshrrev_b32_e32 v3, 16, v3
	v_mov_b32_e32 v6, 0x7fc0
	v_cmp_o_f32_e32 vcc, v2, v2
	v_cndmask_b32_e32 v2, v6, v3, vcc
	global_store_short v[4:5], v2, off
	s_mov_b64 s[6:7], -1
	s_mov_b64 s[0:1], 0
.LBB22_235:
	s_mov_b64 s[24:25], 0
.LBB22_236:
	s_and_b64 vcc, exec, s[24:25]
	s_cbranch_vccz .LBB22_239
; %bb.237:
	v_mov_b32_e32 v2, 11
	v_cmp_eq_u16_sdwa s[24:25], v14, v2 src0_sel:BYTE_0 src1_sel:DWORD
	s_mov_b64 s[0:1], -1
	s_and_b64 vcc, exec, s[24:25]
	s_cbranch_vccz .LBB22_239
; %bb.238:
	v_cmp_neq_f64_e32 vcc, 0, v[0:1]
	s_mov_b64 s[0:1], 0
	v_cndmask_b32_e64 v2, 0, 1, vcc
	s_mov_b64 s[6:7], -1
	global_store_byte v[4:5], v2, off
.LBB22_239:
	s_mov_b64 s[24:25], 0
.LBB22_240:
	s_and_b64 vcc, exec, s[24:25]
	s_cbranch_vccz .LBB22_279
; %bb.241:
	v_mov_b32_e32 v2, 5
	v_cmp_lt_i16_sdwa s[24:25], v14, v2 src0_sel:BYTE_0 src1_sel:DWORD
	s_mov_b64 s[6:7], -1
	s_and_b64 vcc, exec, s[24:25]
	s_cbranch_vccnz .LBB22_262
; %bb.242:
	v_mov_b32_e32 v2, 8
	v_cmp_lt_i16_sdwa s[24:25], v14, v2 src0_sel:BYTE_0 src1_sel:DWORD
	s_and_b64 vcc, exec, s[24:25]
	s_cbranch_vccnz .LBB22_252
; %bb.243:
	v_mov_b32_e32 v2, 9
	v_cmp_lt_i16_sdwa s[24:25], v14, v2 src0_sel:BYTE_0 src1_sel:DWORD
	s_and_b64 vcc, exec, s[24:25]
	s_cbranch_vccnz .LBB22_249
; %bb.244:
	v_cmp_gt_i16_sdwa s[24:25], v14, v2 src0_sel:BYTE_0 src1_sel:DWORD
	s_and_b64 vcc, exec, s[24:25]
	s_cbranch_vccz .LBB22_246
; %bb.245:
	v_mov_b32_e32 v2, 0
	v_mov_b32_e32 v3, v2
	global_store_dwordx4 v[4:5], v[0:3], off
	s_mov_b64 s[6:7], 0
.LBB22_246:
	s_andn2_b64 vcc, exec, s[6:7]
	s_cbranch_vccnz .LBB22_248
; %bb.247:
	v_cvt_f32_f64_e32 v2, v[0:1]
	v_mov_b32_e32 v3, 0
	global_store_dwordx2 v[4:5], v[2:3], off
.LBB22_248:
	s_mov_b64 s[6:7], 0
.LBB22_249:
	s_andn2_b64 vcc, exec, s[6:7]
	s_cbranch_vccnz .LBB22_251
; %bb.250:
	v_cvt_f32_f64_e32 v2, v[0:1]
	v_cvt_f16_f32_e32 v2, v2
	global_store_dword v[4:5], v2, off
.LBB22_251:
	s_mov_b64 s[6:7], 0
.LBB22_252:
	s_andn2_b64 vcc, exec, s[6:7]
	s_cbranch_vccnz .LBB22_261
; %bb.253:
	v_mov_b32_e32 v2, 6
	v_cmp_lt_i16_sdwa s[24:25], v14, v2 src0_sel:BYTE_0 src1_sel:DWORD
	s_mov_b64 s[6:7], -1
	s_and_b64 vcc, exec, s[24:25]
	s_cbranch_vccnz .LBB22_259
; %bb.254:
	v_cmp_gt_i16_sdwa s[24:25], v14, v2 src0_sel:BYTE_0 src1_sel:DWORD
	s_and_b64 vcc, exec, s[24:25]
	s_cbranch_vccz .LBB22_256
; %bb.255:
	global_store_dwordx2 v[4:5], v[0:1], off
	s_mov_b64 s[6:7], 0
.LBB22_256:
	s_andn2_b64 vcc, exec, s[6:7]
	s_cbranch_vccnz .LBB22_258
; %bb.257:
	v_cvt_f32_f64_e32 v2, v[0:1]
	global_store_dword v[4:5], v2, off
.LBB22_258:
	s_mov_b64 s[6:7], 0
.LBB22_259:
	s_andn2_b64 vcc, exec, s[6:7]
	s_cbranch_vccnz .LBB22_261
; %bb.260:
	v_cvt_f32_f64_e32 v2, v[0:1]
	v_cvt_f16_f32_e32 v2, v2
	global_store_short v[4:5], v2, off
.LBB22_261:
	s_mov_b64 s[6:7], 0
.LBB22_262:
	s_andn2_b64 vcc, exec, s[6:7]
	s_cbranch_vccnz .LBB22_278
; %bb.263:
	v_mov_b32_e32 v2, 2
	v_cmp_lt_i16_sdwa s[24:25], v14, v2 src0_sel:BYTE_0 src1_sel:DWORD
	s_mov_b64 s[6:7], -1
	s_and_b64 vcc, exec, s[24:25]
	s_cbranch_vccnz .LBB22_273
; %bb.264:
	v_mov_b32_e32 v2, 3
	v_cmp_lt_i16_sdwa s[24:25], v14, v2 src0_sel:BYTE_0 src1_sel:DWORD
	s_and_b64 vcc, exec, s[24:25]
	s_cbranch_vccnz .LBB22_270
; %bb.265:
	v_cmp_gt_i16_sdwa s[24:25], v14, v2 src0_sel:BYTE_0 src1_sel:DWORD
	s_and_b64 vcc, exec, s[24:25]
	s_cbranch_vccz .LBB22_267
; %bb.266:
	v_trunc_f64_e32 v[2:3], v[0:1]
	s_movk_i32 s6, 0xffe0
	v_ldexp_f64 v[6:7], v[2:3], s6
	v_floor_f64_e32 v[6:7], v[6:7]
	v_fmac_f64_e32 v[2:3], 0xc1f00000, v[6:7]
	v_cvt_i32_f64_e32 v9, v[6:7]
	v_cvt_u32_f64_e32 v8, v[2:3]
	global_store_dwordx2 v[4:5], v[8:9], off
	s_mov_b64 s[6:7], 0
.LBB22_267:
	s_andn2_b64 vcc, exec, s[6:7]
	s_cbranch_vccnz .LBB22_269
; %bb.268:
	v_cvt_i32_f64_e32 v2, v[0:1]
	global_store_dword v[4:5], v2, off
.LBB22_269:
	s_mov_b64 s[6:7], 0
.LBB22_270:
	s_andn2_b64 vcc, exec, s[6:7]
	s_cbranch_vccnz .LBB22_272
; %bb.271:
	v_cvt_i32_f64_e32 v2, v[0:1]
	global_store_short v[4:5], v2, off
.LBB22_272:
	s_mov_b64 s[6:7], 0
.LBB22_273:
	s_andn2_b64 vcc, exec, s[6:7]
	s_cbranch_vccnz .LBB22_278
; %bb.274:
	v_mov_b32_e32 v2, 0
	v_cmp_gt_i16_sdwa s[24:25], v14, v2 src0_sel:BYTE_0 src1_sel:DWORD
	s_mov_b64 s[6:7], -1
	s_and_b64 vcc, exec, s[24:25]
	s_cbranch_vccz .LBB22_276
; %bb.275:
	v_cvt_i32_f64_e32 v2, v[0:1]
	global_store_byte v[4:5], v2, off
	s_mov_b64 s[6:7], 0
.LBB22_276:
	s_andn2_b64 vcc, exec, s[6:7]
	s_cbranch_vccnz .LBB22_278
; %bb.277:
	v_trunc_f64_e32 v[0:1], v[0:1]
	s_movk_i32 s6, 0xffe0
	v_ldexp_f64 v[2:3], v[0:1], s6
	v_floor_f64_e32 v[2:3], v[2:3]
	v_fmac_f64_e32 v[0:1], 0xc1f00000, v[2:3]
	v_cvt_u32_f64_e32 v0, v[0:1]
	global_store_byte v[4:5], v0, off
.LBB22_278:
	s_mov_b64 s[6:7], -1
.LBB22_279:
	s_andn2_b64 vcc, exec, s[6:7]
	s_cbranch_vccnz .LBB22_281
; %bb.280:
	v_add_u32_e32 v15, 0x80, v15
	s_mov_b64 s[24:25], -1
	s_branch .LBB22_394
.LBB22_281:
	s_mov_b64 s[24:25], 0
                                        ; implicit-def: $vgpr15
	s_branch .LBB22_394
.LBB22_282:
	s_mov_b64 s[18:19], -1
                                        ; implicit-def: $vgpr4_vgpr5
.LBB22_283:
	s_mov_b64 s[6:7], 0
.LBB22_284:
	s_and_b64 vcc, exec, s[6:7]
	s_cbranch_vccz .LBB22_288
; %bb.285:
	v_mov_b32_e32 v4, 29
	v_cmp_eq_u16_sdwa s[6:7], v16, v4 src0_sel:BYTE_0 src1_sel:DWORD
	s_and_b64 vcc, exec, s[6:7]
	s_cbranch_vccz .LBB22_287
; %bb.286:
	global_load_dwordx2 v[4:5], v[0:1], off
	s_mov_b64 s[0:1], -1
	s_mov_b64 s[18:19], 0
	s_mov_b64 s[6:7], 0
	s_waitcnt vmcnt(0)
	v_cvt_f64_u32_e32 v[6:7], v5
	v_cvt_f64_u32_e32 v[4:5], v4
	v_ldexp_f64 v[6:7], v[6:7], 32
	v_add_f64 v[4:5], v[6:7], v[4:5]
	s_branch .LBB22_289
.LBB22_287:
	s_mov_b64 s[18:19], -1
                                        ; implicit-def: $vgpr4_vgpr5
.LBB22_288:
	s_mov_b64 s[6:7], 0
.LBB22_289:
	s_and_b64 vcc, exec, s[6:7]
	s_cbranch_vccz .LBB22_307
; %bb.290:
	v_mov_b32_e32 v4, 27
	v_cmp_lt_i16_sdwa s[0:1], v16, v4 src0_sel:BYTE_0 src1_sel:DWORD
	s_and_b64 vcc, exec, s[0:1]
	s_cbranch_vccnz .LBB22_293
; %bb.291:
	v_cmp_gt_i16_sdwa s[0:1], v16, v4 src0_sel:BYTE_0 src1_sel:DWORD
	s_and_b64 vcc, exec, s[0:1]
	s_cbranch_vccz .LBB22_294
; %bb.292:
	global_load_dword v4, v[0:1], off
	s_mov_b64 s[0:1], 0
	s_waitcnt vmcnt(0)
	v_cvt_f64_u32_e32 v[4:5], v4
	s_branch .LBB22_295
.LBB22_293:
	s_mov_b64 s[0:1], -1
                                        ; implicit-def: $vgpr4_vgpr5
	s_branch .LBB22_298
.LBB22_294:
	s_mov_b64 s[0:1], -1
                                        ; implicit-def: $vgpr4_vgpr5
.LBB22_295:
	s_andn2_b64 vcc, exec, s[0:1]
	s_cbranch_vccnz .LBB22_297
; %bb.296:
	global_load_ushort v4, v[0:1], off
	s_waitcnt vmcnt(0)
	v_cvt_f64_u32_e32 v[4:5], v4
.LBB22_297:
	s_mov_b64 s[0:1], 0
.LBB22_298:
	s_andn2_b64 vcc, exec, s[0:1]
	s_cbranch_vccnz .LBB22_306
; %bb.299:
	global_load_ubyte v6, v[0:1], off
	s_movk_i32 s0, 0x7f
                                        ; implicit-def: $sgpr6_sgpr7
	s_waitcnt vmcnt(0)
	v_cmp_lt_i16_e32 vcc, s0, v6
	s_mov_b64 s[0:1], 0
	s_and_saveexec_b64 s[24:25], vcc
	s_xor_b64 s[24:25], exec, s[24:25]
	s_cbranch_execz .LBB22_320
; %bb.300:
	s_movk_i32 s0, 0x80
	v_cmp_eq_u16_e32 vcc, s0, v6
	s_mov_b64 s[28:29], -1
                                        ; implicit-def: $sgpr6_sgpr7
	s_and_saveexec_b64 s[0:1], vcc
; %bb.301:
	s_mov_b32 s7, 0x7ff80000
	s_brev_b32 s6, 4
	s_xor_b64 s[28:29], exec, -1
; %bb.302:
	s_or_b64 exec, exec, s[0:1]
	s_and_b64 s[0:1], s[28:29], exec
	s_or_saveexec_b64 s[24:25], s[24:25]
	v_pk_mov_b32 v[4:5], s[6:7], s[6:7] op_sel:[0,1]
	s_xor_b64 exec, exec, s[24:25]
	s_cbranch_execnz .LBB22_321
.LBB22_303:
	s_or_b64 exec, exec, s[24:25]
	s_and_saveexec_b64 s[6:7], s[0:1]
	s_cbranch_execz .LBB22_305
.LBB22_304:
	v_and_b32_e32 v5, 0xffff, v6
	v_lshlrev_b32_e32 v4, 24, v6
	v_and_b32_e32 v6, 7, v5
	v_ffbh_u32_e32 v8, v6
	v_min_u32_e32 v8, 32, v8
	v_subrev_u32_e32 v9, 28, v8
	v_bfe_u32 v7, v5, 3, 4
	v_lshlrev_b32_e32 v5, v9, v5
	v_sub_u32_e32 v8, 29, v8
	v_and_b32_e32 v5, 7, v5
	v_cmp_eq_u32_e32 vcc, 0, v7
	v_cndmask_b32_e32 v7, v7, v8, vcc
	v_cndmask_b32_e32 v5, v6, v5, vcc
	v_mov_b32_e32 v6, 0x3b800000
	v_lshlrev_b32_e32 v5, 20, v5
	v_and_b32_e32 v4, 0x80000000, v4
	v_lshl_add_u32 v6, v7, 23, v6
	v_or3_b32 v4, v4, v6, v5
	v_cvt_f64_f32_e32 v[4:5], v4
.LBB22_305:
	s_or_b64 exec, exec, s[6:7]
.LBB22_306:
	s_mov_b64 s[0:1], -1
.LBB22_307:
	s_mov_b64 s[6:7], 0
.LBB22_308:
	s_and_b64 vcc, exec, s[6:7]
	s_cbranch_vccz .LBB22_343
; %bb.309:
	v_mov_b32_e32 v4, 22
	v_cmp_gt_i16_sdwa s[6:7], v16, v4 src0_sel:BYTE_0 src1_sel:DWORD
	s_and_b64 vcc, exec, s[6:7]
	s_cbranch_vccz .LBB22_319
; %bb.310:
	v_mov_b32_e32 v4, 24
	v_cmp_lt_i16_sdwa s[0:1], v16, v4 src0_sel:BYTE_0 src1_sel:DWORD
	s_and_b64 vcc, exec, s[0:1]
	s_cbranch_vccnz .LBB22_322
; %bb.311:
	v_cmp_gt_i16_sdwa s[0:1], v16, v4 src0_sel:BYTE_0 src1_sel:DWORD
	s_and_b64 vcc, exec, s[0:1]
	s_cbranch_vccz .LBB22_323
; %bb.312:
	global_load_ubyte v6, v[0:1], off
	s_movk_i32 s0, 0x7f
                                        ; implicit-def: $sgpr6_sgpr7
	s_waitcnt vmcnt(0)
	v_cmp_lt_i16_e32 vcc, s0, v6
	s_mov_b64 s[0:1], 0
	s_and_saveexec_b64 s[24:25], vcc
	s_xor_b64 s[24:25], exec, s[24:25]
	s_cbranch_execz .LBB22_335
; %bb.313:
	s_movk_i32 s0, 0x80
	v_cmp_eq_u16_e32 vcc, s0, v6
	s_mov_b64 s[28:29], -1
                                        ; implicit-def: $sgpr6_sgpr7
	s_and_saveexec_b64 s[0:1], vcc
; %bb.314:
	s_mov_b32 s7, 0x7ff80000
	s_brev_b32 s6, 4
	s_xor_b64 s[28:29], exec, -1
; %bb.315:
	s_or_b64 exec, exec, s[0:1]
	s_and_b64 s[0:1], s[28:29], exec
	s_or_saveexec_b64 s[24:25], s[24:25]
	v_pk_mov_b32 v[4:5], s[6:7], s[6:7] op_sel:[0,1]
	s_xor_b64 exec, exec, s[24:25]
	s_cbranch_execnz .LBB22_336
.LBB22_316:
	s_or_b64 exec, exec, s[24:25]
	s_and_saveexec_b64 s[6:7], s[0:1]
	s_cbranch_execz .LBB22_318
.LBB22_317:
	v_and_b32_e32 v5, 0xffff, v6
	v_lshlrev_b32_e32 v4, 24, v6
	v_and_b32_e32 v6, 3, v5
	v_ffbh_u32_e32 v8, v6
	v_min_u32_e32 v8, 32, v8
	v_subrev_u32_e32 v9, 29, v8
	v_bfe_u32 v7, v5, 2, 5
	v_lshlrev_b32_e32 v5, v9, v5
	v_sub_u32_e32 v8, 30, v8
	v_and_b32_e32 v5, 3, v5
	v_cmp_eq_u32_e32 vcc, 0, v7
	v_cndmask_b32_e32 v7, v7, v8, vcc
	v_cndmask_b32_e32 v5, v6, v5, vcc
	v_mov_b32_e32 v6, 0x37800000
	v_lshlrev_b32_e32 v5, 21, v5
	v_and_b32_e32 v4, 0x80000000, v4
	v_lshl_add_u32 v6, v7, 23, v6
	v_or3_b32 v4, v4, v6, v5
	v_cvt_f64_f32_e32 v[4:5], v4
.LBB22_318:
	s_or_b64 exec, exec, s[6:7]
	s_mov_b64 s[0:1], 0
	s_branch .LBB22_324
.LBB22_319:
	s_mov_b64 s[6:7], -1
                                        ; implicit-def: $vgpr4_vgpr5
	s_branch .LBB22_330
.LBB22_320:
	s_or_saveexec_b64 s[24:25], s[24:25]
	v_pk_mov_b32 v[4:5], s[6:7], s[6:7] op_sel:[0,1]
	s_xor_b64 exec, exec, s[24:25]
	s_cbranch_execz .LBB22_303
.LBB22_321:
	v_cmp_ne_u16_e32 vcc, 0, v6
	s_andn2_b64 s[0:1], s[0:1], exec
	s_and_b64 s[6:7], vcc, exec
	v_pk_mov_b32 v[4:5], 0, 0
	s_or_b64 s[0:1], s[0:1], s[6:7]
	s_or_b64 exec, exec, s[24:25]
	s_and_saveexec_b64 s[6:7], s[0:1]
	s_cbranch_execnz .LBB22_304
	s_branch .LBB22_305
.LBB22_322:
	s_mov_b64 s[0:1], -1
                                        ; implicit-def: $vgpr4_vgpr5
	s_branch .LBB22_327
.LBB22_323:
	s_mov_b64 s[0:1], -1
                                        ; implicit-def: $vgpr4_vgpr5
.LBB22_324:
	s_and_b64 vcc, exec, s[0:1]
	s_cbranch_vccz .LBB22_326
; %bb.325:
	global_load_ubyte v4, v[0:1], off
	s_mov_b32 s0, 0x7f800000
	s_waitcnt vmcnt(0)
	v_lshlrev_b32_e32 v4, 24, v4
	v_and_b32_e32 v5, 0x7f000000, v4
	v_ffbh_u32_e32 v6, v5
	v_min_u32_e32 v6, 32, v6
	v_sub_u32_e64 v6, v6, 4 clamp
	v_lshlrev_b32_e32 v8, v6, v5
	v_lshlrev_b32_e32 v6, 23, v6
	v_lshrrev_b32_e32 v8, 4, v8
	v_add_u32_e32 v7, 0x1000000, v5
	v_sub_u32_e32 v6, v8, v6
	v_ashrrev_i32_e32 v7, 8, v7
	v_add_u32_e32 v6, 0x3c000000, v6
	v_and_or_b32 v6, v7, s0, v6
	v_cmp_ne_u32_e32 vcc, 0, v5
	v_cndmask_b32_e32 v5, 0, v6, vcc
	s_brev_b32 s0, 1
	v_and_or_b32 v4, v4, s0, v5
	v_cvt_f64_f32_e32 v[4:5], v4
.LBB22_326:
	s_mov_b64 s[0:1], 0
.LBB22_327:
	s_andn2_b64 vcc, exec, s[0:1]
	s_cbranch_vccnz .LBB22_329
; %bb.328:
	global_load_ubyte v4, v[0:1], off
	s_movk_i32 s0, 0x7f00
	s_brev_b32 s1, 16
	s_waitcnt vmcnt(0)
	v_lshlrev_b16_e32 v5, 8, v4
	v_lshlrev_b32_e32 v4, 25, v4
	v_lshrrev_b32_e32 v6, 4, v4
	v_and_or_b32 v7, v5, s0, 0.5
	v_or_b32_e32 v6, 0x70000000, v6
	v_add_f32_e32 v7, -0.5, v7
	v_mul_f32_e32 v6, 0x7800000, v6
	v_cmp_gt_u32_e32 vcc, s1, v4
	v_bfe_i32 v5, v5, 0, 16
	v_cndmask_b32_e32 v4, v6, v7, vcc
	s_brev_b32 s0, 1
	v_and_or_b32 v4, v5, s0, v4
	v_cvt_f64_f32_e32 v[4:5], v4
.LBB22_329:
	s_mov_b64 s[6:7], 0
	s_mov_b64 s[0:1], -1
.LBB22_330:
	s_andn2_b64 vcc, exec, s[6:7]
	s_cbranch_vccnz .LBB22_343
; %bb.331:
	v_mov_b32_e32 v4, 14
	v_cmp_gt_i16_sdwa s[6:7], v16, v4 src0_sel:BYTE_0 src1_sel:DWORD
	s_and_b64 vcc, exec, s[6:7]
	s_cbranch_vccz .LBB22_334
; %bb.332:
	v_mov_b32_e32 v4, 15
	v_cmp_eq_u16_sdwa s[6:7], v16, v4 src0_sel:BYTE_0 src1_sel:DWORD
	s_and_b64 vcc, exec, s[6:7]
	s_cbranch_vccz .LBB22_337
; %bb.333:
	global_load_ushort v4, v[0:1], off
	s_mov_b64 s[0:1], -1
	s_mov_b64 s[18:19], 0
	s_waitcnt vmcnt(0)
	v_lshlrev_b32_e32 v4, 16, v4
	v_cvt_f64_f32_e32 v[4:5], v4
	s_branch .LBB22_338
.LBB22_334:
	s_mov_b64 s[6:7], -1
                                        ; implicit-def: $vgpr4_vgpr5
	s_branch .LBB22_339
.LBB22_335:
	s_or_saveexec_b64 s[24:25], s[24:25]
	v_pk_mov_b32 v[4:5], s[6:7], s[6:7] op_sel:[0,1]
	s_xor_b64 exec, exec, s[24:25]
	s_cbranch_execz .LBB22_316
.LBB22_336:
	v_cmp_ne_u16_e32 vcc, 0, v6
	s_andn2_b64 s[0:1], s[0:1], exec
	s_and_b64 s[6:7], vcc, exec
	v_pk_mov_b32 v[4:5], 0, 0
	s_or_b64 s[0:1], s[0:1], s[6:7]
	s_or_b64 exec, exec, s[24:25]
	s_and_saveexec_b64 s[6:7], s[0:1]
	s_cbranch_execnz .LBB22_317
	s_branch .LBB22_318
.LBB22_337:
	s_mov_b64 s[18:19], -1
                                        ; implicit-def: $vgpr4_vgpr5
.LBB22_338:
	s_mov_b64 s[6:7], 0
.LBB22_339:
	s_and_b64 vcc, exec, s[6:7]
	s_cbranch_vccz .LBB22_343
; %bb.340:
	v_mov_b32_e32 v4, 11
	v_cmp_eq_u16_sdwa s[6:7], v16, v4 src0_sel:BYTE_0 src1_sel:DWORD
	s_and_b64 vcc, exec, s[6:7]
	s_cbranch_vccz .LBB22_342
; %bb.341:
	global_load_ubyte v5, v[0:1], off
	v_mov_b32_e32 v6, 0x3ff00000
	v_mov_b32_e32 v4, 0
	s_mov_b64 s[0:1], -1
	s_mov_b64 s[18:19], 0
	s_waitcnt vmcnt(0)
	v_cmp_ne_u16_e32 vcc, 0, v5
	v_cndmask_b32_e32 v5, 0, v6, vcc
	s_branch .LBB22_343
.LBB22_342:
	s_mov_b64 s[18:19], -1
                                        ; implicit-def: $vgpr4_vgpr5
.LBB22_343:
	s_branch .LBB22_20
.LBB22_344:
	v_mov_b32_e32 v4, 5
	v_cmp_lt_i16_sdwa s[0:1], v16, v4 src0_sel:BYTE_0 src1_sel:DWORD
	s_and_b64 vcc, exec, s[0:1]
	s_cbranch_vccnz .LBB22_349
; %bb.345:
	v_mov_b32_e32 v4, 8
	v_cmp_lt_i16_sdwa s[0:1], v16, v4 src0_sel:BYTE_0 src1_sel:DWORD
	s_and_b64 vcc, exec, s[0:1]
	s_cbranch_vccnz .LBB22_350
; %bb.346:
	v_mov_b32_e32 v4, 9
	v_cmp_lt_i16_sdwa s[0:1], v16, v4 src0_sel:BYTE_0 src1_sel:DWORD
	s_and_b64 vcc, exec, s[0:1]
	s_cbranch_vccnz .LBB22_351
; %bb.347:
	v_cmp_gt_i16_sdwa s[0:1], v16, v4 src0_sel:BYTE_0 src1_sel:DWORD
	s_and_b64 vcc, exec, s[0:1]
	s_cbranch_vccz .LBB22_352
; %bb.348:
	global_load_dwordx2 v[4:5], v[0:1], off
	s_mov_b64 s[0:1], 0
	s_branch .LBB22_353
.LBB22_349:
	s_mov_b64 s[0:1], -1
                                        ; implicit-def: $vgpr4_vgpr5
	s_branch .LBB22_371
.LBB22_350:
	s_mov_b64 s[0:1], -1
                                        ; implicit-def: $vgpr4_vgpr5
	s_branch .LBB22_359
.LBB22_351:
	s_mov_b64 s[0:1], -1
                                        ; implicit-def: $vgpr4_vgpr5
	s_branch .LBB22_356
.LBB22_352:
	s_mov_b64 s[0:1], -1
                                        ; implicit-def: $vgpr4_vgpr5
.LBB22_353:
	s_andn2_b64 vcc, exec, s[0:1]
	s_cbranch_vccnz .LBB22_355
; %bb.354:
	global_load_dword v4, v[0:1], off
	s_waitcnt vmcnt(0)
	v_cvt_f64_f32_e32 v[4:5], v4
.LBB22_355:
	s_mov_b64 s[0:1], 0
.LBB22_356:
	s_andn2_b64 vcc, exec, s[0:1]
	s_cbranch_vccnz .LBB22_358
; %bb.357:
	global_load_dword v4, v[0:1], off
	s_waitcnt vmcnt(0)
	v_cvt_f32_f16_e32 v4, v4
	v_cvt_f64_f32_e32 v[4:5], v4
.LBB22_358:
	s_mov_b64 s[0:1], 0
.LBB22_359:
	s_andn2_b64 vcc, exec, s[0:1]
	s_cbranch_vccnz .LBB22_370
; %bb.360:
	s_waitcnt vmcnt(0)
	v_mov_b32_e32 v4, 6
	v_cmp_lt_i16_sdwa s[0:1], v16, v4 src0_sel:BYTE_0 src1_sel:DWORD
	s_and_b64 vcc, exec, s[0:1]
	s_cbranch_vccnz .LBB22_363
; %bb.361:
	v_cmp_gt_i16_sdwa s[0:1], v16, v4 src0_sel:BYTE_0 src1_sel:DWORD
	s_and_b64 vcc, exec, s[0:1]
	s_cbranch_vccz .LBB22_364
; %bb.362:
	global_load_dwordx2 v[4:5], v[0:1], off
	s_mov_b64 s[0:1], 0
	s_branch .LBB22_365
.LBB22_363:
	s_mov_b64 s[0:1], -1
                                        ; implicit-def: $vgpr4_vgpr5
	s_branch .LBB22_368
.LBB22_364:
	s_mov_b64 s[0:1], -1
                                        ; implicit-def: $vgpr4_vgpr5
.LBB22_365:
	s_andn2_b64 vcc, exec, s[0:1]
	s_cbranch_vccnz .LBB22_367
; %bb.366:
	global_load_dword v4, v[0:1], off
	s_waitcnt vmcnt(0)
	v_cvt_f64_f32_e32 v[4:5], v4
.LBB22_367:
	s_mov_b64 s[0:1], 0
.LBB22_368:
	s_andn2_b64 vcc, exec, s[0:1]
	s_cbranch_vccnz .LBB22_370
; %bb.369:
	global_load_ushort v4, v[0:1], off
	s_waitcnt vmcnt(0)
	v_cvt_f32_f16_e32 v4, v4
	v_cvt_f64_f32_e32 v[4:5], v4
.LBB22_370:
	s_mov_b64 s[0:1], 0
.LBB22_371:
	s_andn2_b64 vcc, exec, s[0:1]
	s_cbranch_vccnz .LBB22_391
; %bb.372:
	s_waitcnt vmcnt(0)
	v_mov_b32_e32 v4, 2
	v_cmp_lt_i16_sdwa s[0:1], v16, v4 src0_sel:BYTE_0 src1_sel:DWORD
	s_and_b64 vcc, exec, s[0:1]
	s_cbranch_vccnz .LBB22_376
; %bb.373:
	v_mov_b32_e32 v4, 3
	v_cmp_lt_i16_sdwa s[0:1], v16, v4 src0_sel:BYTE_0 src1_sel:DWORD
	s_and_b64 vcc, exec, s[0:1]
	s_cbranch_vccnz .LBB22_377
; %bb.374:
	v_cmp_gt_i16_sdwa s[0:1], v16, v4 src0_sel:BYTE_0 src1_sel:DWORD
	s_and_b64 vcc, exec, s[0:1]
	s_cbranch_vccz .LBB22_378
; %bb.375:
	global_load_dwordx2 v[4:5], v[0:1], off
	s_mov_b64 s[0:1], 0
	s_waitcnt vmcnt(0)
	v_cvt_f64_i32_e32 v[6:7], v5
	v_cvt_f64_u32_e32 v[4:5], v4
	v_ldexp_f64 v[6:7], v[6:7], 32
	v_add_f64 v[4:5], v[6:7], v[4:5]
	s_branch .LBB22_379
.LBB22_376:
	s_mov_b64 s[0:1], -1
                                        ; implicit-def: $vgpr4_vgpr5
	s_branch .LBB22_385
.LBB22_377:
	s_mov_b64 s[0:1], -1
                                        ; implicit-def: $vgpr4_vgpr5
	s_branch .LBB22_382
.LBB22_378:
	s_mov_b64 s[0:1], -1
                                        ; implicit-def: $vgpr4_vgpr5
.LBB22_379:
	s_andn2_b64 vcc, exec, s[0:1]
	s_cbranch_vccnz .LBB22_381
; %bb.380:
	global_load_dword v4, v[0:1], off
	s_waitcnt vmcnt(0)
	v_cvt_f64_i32_e32 v[4:5], v4
.LBB22_381:
	s_mov_b64 s[0:1], 0
.LBB22_382:
	s_andn2_b64 vcc, exec, s[0:1]
	s_cbranch_vccnz .LBB22_384
; %bb.383:
	global_load_sshort v4, v[0:1], off
	s_waitcnt vmcnt(0)
	v_cvt_f64_i32_e32 v[4:5], v4
.LBB22_384:
	s_mov_b64 s[0:1], 0
.LBB22_385:
	s_andn2_b64 vcc, exec, s[0:1]
	s_cbranch_vccnz .LBB22_391
; %bb.386:
	v_mov_b32_e32 v4, 0
	v_cmp_gt_i16_sdwa s[0:1], v16, v4 src0_sel:BYTE_0 src1_sel:DWORD
	s_and_b64 vcc, exec, s[0:1]
	s_cbranch_vccz .LBB22_388
; %bb.387:
	global_load_sbyte v4, v[0:1], off
	s_mov_b64 s[0:1], 0
	s_waitcnt vmcnt(0)
	v_cvt_f64_i32_e32 v[4:5], v4
	s_branch .LBB22_389
.LBB22_388:
	s_mov_b64 s[0:1], -1
                                        ; implicit-def: $vgpr4_vgpr5
.LBB22_389:
	s_andn2_b64 vcc, exec, s[0:1]
	s_cbranch_vccnz .LBB22_391
; %bb.390:
	global_load_ubyte v0, v[0:1], off
	s_waitcnt vmcnt(0)
	v_cvt_f64_u32_e32 v[4:5], v0
.LBB22_391:
	s_branch .LBB22_21
.LBB22_392:
	s_mov_b64 s[0:1], 0
.LBB22_393:
                                        ; implicit-def: $vgpr15
	s_mov_b64 s[24:25], 0
.LBB22_394:
	s_and_b64 s[6:7], s[0:1], exec
	s_and_b64 s[18:19], s[18:19], exec
	;; [unrolled: 1-line block ×3, first 2 shown]
	s_orn2_b64 s[0:1], s[24:25], exec
.LBB22_395:
	s_or_b64 exec, exec, s[22:23]
	s_mov_b64 s[30:31], 0
	s_mov_b64 s[28:29], 0
                                        ; implicit-def: $vgpr4
                                        ; implicit-def: $vgpr0_vgpr1
                                        ; implicit-def: $vgpr2_vgpr3
	s_and_saveexec_b64 s[22:23], s[0:1]
	s_cbranch_execz .LBB22_404
; %bb.396:
	v_cmp_gt_i32_e32 vcc, s33, v15
	s_mov_b64 s[0:1], -1
	s_mov_b64 s[24:25], s[20:21]
	s_mov_b64 s[26:27], s[18:19]
	;; [unrolled: 1-line block ×3, first 2 shown]
	s_and_saveexec_b64 s[30:31], vcc
	s_cbranch_execz .LBB22_797
; %bb.397:
	v_mul_lo_u32 v0, v15, s13
	v_ashrrev_i32_e32 v1, 31, v0
	s_waitcnt vmcnt(0)
	v_mov_b32_e32 v2, s11
	v_add_co_u32_e32 v0, vcc, s10, v0
	v_addc_co_u32_e32 v1, vcc, v2, v1, vcc
	v_mov_b32_e32 v2, 11
	v_cmp_lt_i16_sdwa s[0:1], v17, v2 src0_sel:BYTE_0 src1_sel:DWORD
	s_and_b64 vcc, exec, s[0:1]
	s_cbranch_vccnz .LBB22_407
; %bb.398:
	v_mov_b32_e32 v2, 25
	v_cmp_gt_i16_sdwa s[0:1], v17, v2 src0_sel:BYTE_0 src1_sel:DWORD
	s_and_b64 vcc, exec, s[0:1]
	s_cbranch_vccz .LBB22_416
; %bb.399:
	v_mov_b32_e32 v2, 28
	v_cmp_gt_i16_sdwa s[0:1], v17, v2 src0_sel:BYTE_0 src1_sel:DWORD
	s_and_b64 vcc, exec, s[0:1]
	s_cbranch_vccz .LBB22_418
	;; [unrolled: 5-line block ×4, first 2 shown]
; %bb.402:
	v_mov_b32_e32 v2, 46
	v_cmp_eq_u16_sdwa s[0:1], v17, v2 src0_sel:BYTE_0 src1_sel:DWORD
	s_mov_b64 s[26:27], 0
	s_and_b64 vcc, exec, s[0:1]
	s_cbranch_vccz .LBB22_426
; %bb.403:
	global_load_dword v2, v[0:1], off
	s_mov_b64 s[0:1], -1
	s_mov_b64 s[24:25], 0
	s_waitcnt vmcnt(0)
	v_lshlrev_b32_e32 v2, 16, v2
	v_cvt_f64_f32_e32 v[2:3], v2
	s_branch .LBB22_427
.LBB22_404:
	s_or_b64 exec, exec, s[22:23]
	s_mov_b64 s[22:23], 0
	s_and_saveexec_b64 s[0:1], s[20:21]
	s_cbranch_execnz .LBB22_1284
.LBB22_405:
	s_or_b64 exec, exec, s[0:1]
	s_and_saveexec_b64 s[0:1], s[26:27]
	s_xor_b64 s[0:1], exec, s[0:1]
	s_cbranch_execz .LBB22_1285
.LBB22_406:
	global_load_ubyte v3, v[0:1], off
	s_waitcnt vmcnt(1)
	v_mov_b32_e32 v5, 0x3ff00000
	v_mov_b32_e32 v2, 0
	s_or_b64 s[28:29], s[28:29], exec
	s_waitcnt vmcnt(0)
	v_cmp_ne_u16_e32 vcc, 0, v3
	v_cndmask_b32_e32 v3, 0, v5, vcc
	s_or_b64 exec, exec, s[0:1]
	s_and_saveexec_b64 s[0:1], s[30:31]
	s_cbranch_execz .LBB22_1331
	s_branch .LBB22_1286
.LBB22_407:
	s_mov_b64 s[0:1], 0
                                        ; implicit-def: $vgpr2_vgpr3
	s_mov_b64 s[24:25], s[20:21]
	s_cbranch_execnz .LBB22_493
.LBB22_408:
	s_andn2_b64 vcc, exec, s[0:1]
	s_cbranch_vccnz .LBB22_541
.LBB22_409:
	v_mul_lo_u32 v0, v15, s14
	v_ashrrev_i32_e32 v1, 31, v0
	v_mov_b32_e32 v4, s3
	v_add_co_u32_e32 v0, vcc, s2, v0
	v_addc_co_u32_e32 v1, vcc, v4, v1, vcc
	v_mov_b32_e32 v4, 11
	v_cmp_lt_i16_sdwa s[0:1], v16, v4 src0_sel:BYTE_0 src1_sel:DWORD
	s_and_b64 vcc, exec, s[0:1]
	s_cbranch_vccnz .LBB22_417
; %bb.410:
	v_mov_b32_e32 v4, 25
	v_cmp_gt_i16_sdwa s[0:1], v16, v4 src0_sel:BYTE_0 src1_sel:DWORD
	s_and_b64 vcc, exec, s[0:1]
	s_cbranch_vccz .LBB22_419
; %bb.411:
	v_mov_b32_e32 v4, 28
	v_cmp_gt_i16_sdwa s[0:1], v16, v4 src0_sel:BYTE_0 src1_sel:DWORD
	s_and_b64 vcc, exec, s[0:1]
	s_cbranch_vccz .LBB22_421
	;; [unrolled: 5-line block ×4, first 2 shown]
; %bb.414:
	v_mov_b32_e32 v4, 46
	v_cmp_eq_u16_sdwa s[0:1], v16, v4 src0_sel:BYTE_0 src1_sel:DWORD
	s_mov_b64 s[28:29], 0
	s_and_b64 vcc, exec, s[0:1]
	s_cbranch_vccz .LBB22_545
; %bb.415:
	global_load_dword v4, v[0:1], off
	s_mov_b64 s[0:1], -1
	s_mov_b64 s[26:27], 0
	s_waitcnt vmcnt(0)
	v_lshlrev_b32_e32 v4, 16, v4
	v_cvt_f64_f32_e32 v[4:5], v4
	s_branch .LBB22_546
.LBB22_416:
	s_mov_b64 s[26:27], -1
	s_mov_b64 s[0:1], 0
	s_mov_b64 s[24:25], s[20:21]
                                        ; implicit-def: $vgpr2_vgpr3
	s_branch .LBB22_457
.LBB22_417:
	s_mov_b64 s[28:29], -1
	s_mov_b64 s[0:1], 0
                                        ; implicit-def: $vgpr4_vgpr5
	s_mov_b64 s[26:27], s[18:19]
	s_branch .LBB22_611
.LBB22_418:
	s_mov_b64 s[26:27], -1
	s_mov_b64 s[0:1], 0
	s_mov_b64 s[24:25], s[20:21]
                                        ; implicit-def: $vgpr2_vgpr3
	s_branch .LBB22_438
.LBB22_419:
	s_mov_b64 s[28:29], -1
	s_mov_b64 s[0:1], 0
	s_mov_b64 s[26:27], s[18:19]
                                        ; implicit-def: $vgpr4_vgpr5
	s_branch .LBB22_575
.LBB22_420:
	s_mov_b64 s[26:27], -1
	s_mov_b64 s[0:1], 0
	s_mov_b64 s[24:25], s[20:21]
                                        ; implicit-def: $vgpr2_vgpr3
	s_branch .LBB22_433
.LBB22_421:
	s_mov_b64 s[28:29], -1
	s_mov_b64 s[0:1], 0
	s_mov_b64 s[26:27], s[18:19]
                                        ; implicit-def: $vgpr4_vgpr5
	s_branch .LBB22_556
.LBB22_422:
	s_mov_b64 s[26:27], -1
	s_mov_b64 s[0:1], 0
	s_mov_b64 s[24:25], s[20:21]
                                        ; implicit-def: $vgpr2_vgpr3
	s_branch .LBB22_427
.LBB22_423:
	s_mov_b64 s[28:29], -1
	s_mov_b64 s[0:1], 0
	s_mov_b64 s[26:27], s[18:19]
                                        ; implicit-def: $vgpr4_vgpr5
	s_branch .LBB22_551
.LBB22_424:
	s_or_saveexec_b64 s[28:29], s[28:29]
                                        ; implicit-def: $sgpr15
	s_xor_b64 exec, exec, s[28:29]
	s_cbranch_execz .LBB22_192
.LBB22_425:
	s_mov_b32 s15, 0x46000000
	v_add_f32_e64 v3, |v2|, s15
	v_and_b32_e32 v3, 0xff, v3
	v_cmp_ne_u32_e32 vcc, 0, v3
	s_andn2_b64 s[24:25], s[24:25], exec
	s_and_b64 s[30:31], vcc, exec
	s_mov_b32 s15, 0
	s_or_b64 s[24:25], s[24:25], s[30:31]
	s_or_b64 exec, exec, s[28:29]
	v_mov_b32_e32 v6, s15
	s_and_saveexec_b64 s[28:29], s[24:25]
	s_cbranch_execnz .LBB22_193
	s_branch .LBB22_194
.LBB22_426:
	s_mov_b64 s[24:25], -1
                                        ; implicit-def: $vgpr2_vgpr3
	s_mov_b64 s[0:1], 0
.LBB22_427:
	s_and_b64 vcc, exec, s[26:27]
	s_cbranch_vccz .LBB22_432
; %bb.428:
	v_mov_b32_e32 v2, 44
	v_cmp_eq_u16_sdwa s[24:25], v17, v2 src0_sel:BYTE_0 src1_sel:DWORD
	s_and_b64 vcc, exec, s[24:25]
	s_cbranch_vccz .LBB22_431
; %bb.429:
	global_load_ubyte v4, v[0:1], off
	s_movk_i32 s15, 0xff
	v_bfrev_b32_e32 v5, 4
	v_mov_b32_e32 v6, 0x7ff80000
	v_bfrev_b32_e32 v7, 28
	s_mov_b64 s[0:1], -1
	s_mov_b64 s[24:25], 0
	s_waitcnt vmcnt(0)
	v_lshlrev_b32_e32 v2, 23, v4
	v_cvt_f64_f32_e32 v[2:3], v2
	v_cmp_ne_u32_e32 vcc, s15, v4
	v_cndmask_b32_e32 v2, v5, v2, vcc
	v_cndmask_b32_e32 v3, v6, v3, vcc
	v_cmp_ne_u32_e32 vcc, 0, v4
	v_cndmask_b32_e32 v3, v7, v3, vcc
	v_cndmask_b32_e32 v2, 0, v2, vcc
	s_branch .LBB22_432
.LBB22_430:
	s_mov_b64 s[28:29], -1
	s_mov_b64 s[0:1], 0
	s_mov_b64 s[26:27], s[18:19]
                                        ; implicit-def: $vgpr4_vgpr5
	s_branch .LBB22_546
.LBB22_431:
	s_mov_b64 s[24:25], -1
                                        ; implicit-def: $vgpr2_vgpr3
.LBB22_432:
	s_mov_b64 s[26:27], 0
.LBB22_433:
	s_and_b64 vcc, exec, s[26:27]
	s_cbranch_vccz .LBB22_437
; %bb.434:
	v_mov_b32_e32 v2, 29
	v_cmp_eq_u16_sdwa s[24:25], v17, v2 src0_sel:BYTE_0 src1_sel:DWORD
	s_and_b64 vcc, exec, s[24:25]
	s_cbranch_vccz .LBB22_436
; %bb.435:
	global_load_dwordx2 v[2:3], v[0:1], off
	s_mov_b64 s[0:1], -1
	s_mov_b64 s[24:25], 0
	s_mov_b64 s[26:27], 0
	s_waitcnt vmcnt(0)
	v_cvt_f64_u32_e32 v[4:5], v3
	v_cvt_f64_u32_e32 v[2:3], v2
	v_ldexp_f64 v[4:5], v[4:5], 32
	v_add_f64 v[2:3], v[4:5], v[2:3]
	s_branch .LBB22_438
.LBB22_436:
	s_mov_b64 s[24:25], -1
                                        ; implicit-def: $vgpr2_vgpr3
.LBB22_437:
	s_mov_b64 s[26:27], 0
.LBB22_438:
	s_and_b64 vcc, exec, s[26:27]
	s_cbranch_vccz .LBB22_456
; %bb.439:
	v_mov_b32_e32 v2, 27
	v_cmp_lt_i16_sdwa s[0:1], v17, v2 src0_sel:BYTE_0 src1_sel:DWORD
	s_and_b64 vcc, exec, s[0:1]
	s_cbranch_vccnz .LBB22_442
; %bb.440:
	v_cmp_gt_i16_sdwa s[0:1], v17, v2 src0_sel:BYTE_0 src1_sel:DWORD
	s_and_b64 vcc, exec, s[0:1]
	s_cbranch_vccz .LBB22_443
; %bb.441:
	global_load_dword v2, v[0:1], off
	s_mov_b64 s[0:1], 0
	s_waitcnt vmcnt(0)
	v_cvt_f64_u32_e32 v[2:3], v2
	s_branch .LBB22_444
.LBB22_442:
	s_mov_b64 s[0:1], -1
                                        ; implicit-def: $vgpr2_vgpr3
	s_branch .LBB22_447
.LBB22_443:
	s_mov_b64 s[0:1], -1
                                        ; implicit-def: $vgpr2_vgpr3
.LBB22_444:
	s_andn2_b64 vcc, exec, s[0:1]
	s_cbranch_vccnz .LBB22_446
; %bb.445:
	global_load_ushort v2, v[0:1], off
	s_waitcnt vmcnt(0)
	v_cvt_f64_u32_e32 v[2:3], v2
.LBB22_446:
	s_mov_b64 s[0:1], 0
.LBB22_447:
	s_andn2_b64 vcc, exec, s[0:1]
	s_cbranch_vccnz .LBB22_455
; %bb.448:
	global_load_ubyte v4, v[0:1], off
	s_movk_i32 s0, 0x7f
                                        ; implicit-def: $sgpr26_sgpr27
	s_waitcnt vmcnt(0)
	v_cmp_lt_i16_e32 vcc, s0, v4
	s_mov_b64 s[0:1], 0
	s_and_saveexec_b64 s[28:29], vcc
	s_xor_b64 s[28:29], exec, s[28:29]
	s_cbranch_execz .LBB22_469
; %bb.449:
	s_movk_i32 s0, 0x80
	v_cmp_eq_u16_e32 vcc, s0, v4
	s_mov_b64 s[34:35], -1
                                        ; implicit-def: $sgpr26_sgpr27
	s_and_saveexec_b64 s[0:1], vcc
; %bb.450:
	s_mov_b32 s27, 0x7ff80000
	s_brev_b32 s26, 4
	s_xor_b64 s[34:35], exec, -1
; %bb.451:
	s_or_b64 exec, exec, s[0:1]
	s_and_b64 s[0:1], s[34:35], exec
	s_or_saveexec_b64 s[28:29], s[28:29]
	v_pk_mov_b32 v[2:3], s[26:27], s[26:27] op_sel:[0,1]
	s_xor_b64 exec, exec, s[28:29]
	s_cbranch_execnz .LBB22_470
.LBB22_452:
	s_or_b64 exec, exec, s[28:29]
	s_and_saveexec_b64 s[26:27], s[0:1]
	s_cbranch_execz .LBB22_454
.LBB22_453:
	v_and_b32_e32 v3, 0xffff, v4
	v_lshlrev_b32_e32 v2, 24, v4
	v_and_b32_e32 v4, 7, v3
	v_ffbh_u32_e32 v6, v4
	v_min_u32_e32 v6, 32, v6
	v_subrev_u32_e32 v7, 28, v6
	v_bfe_u32 v5, v3, 3, 4
	v_lshlrev_b32_e32 v3, v7, v3
	v_sub_u32_e32 v6, 29, v6
	v_and_b32_e32 v3, 7, v3
	v_cmp_eq_u32_e32 vcc, 0, v5
	v_cndmask_b32_e32 v5, v5, v6, vcc
	v_cndmask_b32_e32 v3, v4, v3, vcc
	v_mov_b32_e32 v4, 0x3b800000
	v_lshlrev_b32_e32 v3, 20, v3
	v_and_b32_e32 v2, 0x80000000, v2
	v_lshl_add_u32 v4, v5, 23, v4
	v_or3_b32 v2, v2, v4, v3
	v_cvt_f64_f32_e32 v[2:3], v2
.LBB22_454:
	s_or_b64 exec, exec, s[26:27]
.LBB22_455:
	s_mov_b64 s[0:1], -1
.LBB22_456:
	s_mov_b64 s[26:27], 0
.LBB22_457:
	s_and_b64 vcc, exec, s[26:27]
	s_cbranch_vccz .LBB22_492
; %bb.458:
	v_mov_b32_e32 v2, 22
	v_cmp_gt_i16_sdwa s[26:27], v17, v2 src0_sel:BYTE_0 src1_sel:DWORD
	s_and_b64 vcc, exec, s[26:27]
	s_cbranch_vccz .LBB22_468
; %bb.459:
	v_mov_b32_e32 v2, 24
	v_cmp_lt_i16_sdwa s[0:1], v17, v2 src0_sel:BYTE_0 src1_sel:DWORD
	s_and_b64 vcc, exec, s[0:1]
	s_cbranch_vccnz .LBB22_471
; %bb.460:
	v_cmp_gt_i16_sdwa s[0:1], v17, v2 src0_sel:BYTE_0 src1_sel:DWORD
	s_and_b64 vcc, exec, s[0:1]
	s_cbranch_vccz .LBB22_472
; %bb.461:
	global_load_ubyte v4, v[0:1], off
	s_movk_i32 s0, 0x7f
                                        ; implicit-def: $sgpr26_sgpr27
	s_waitcnt vmcnt(0)
	v_cmp_lt_i16_e32 vcc, s0, v4
	s_mov_b64 s[0:1], 0
	s_and_saveexec_b64 s[28:29], vcc
	s_xor_b64 s[28:29], exec, s[28:29]
	s_cbranch_execz .LBB22_484
; %bb.462:
	s_movk_i32 s0, 0x80
	v_cmp_eq_u16_e32 vcc, s0, v4
	s_mov_b64 s[34:35], -1
                                        ; implicit-def: $sgpr26_sgpr27
	s_and_saveexec_b64 s[0:1], vcc
; %bb.463:
	s_mov_b32 s27, 0x7ff80000
	s_brev_b32 s26, 4
	s_xor_b64 s[34:35], exec, -1
; %bb.464:
	s_or_b64 exec, exec, s[0:1]
	s_and_b64 s[0:1], s[34:35], exec
	s_or_saveexec_b64 s[28:29], s[28:29]
	v_pk_mov_b32 v[2:3], s[26:27], s[26:27] op_sel:[0,1]
	s_xor_b64 exec, exec, s[28:29]
	s_cbranch_execnz .LBB22_485
.LBB22_465:
	s_or_b64 exec, exec, s[28:29]
	s_and_saveexec_b64 s[26:27], s[0:1]
	s_cbranch_execz .LBB22_467
.LBB22_466:
	v_and_b32_e32 v3, 0xffff, v4
	v_lshlrev_b32_e32 v2, 24, v4
	v_and_b32_e32 v4, 3, v3
	v_ffbh_u32_e32 v6, v4
	v_min_u32_e32 v6, 32, v6
	v_subrev_u32_e32 v7, 29, v6
	v_bfe_u32 v5, v3, 2, 5
	v_lshlrev_b32_e32 v3, v7, v3
	v_sub_u32_e32 v6, 30, v6
	v_and_b32_e32 v3, 3, v3
	v_cmp_eq_u32_e32 vcc, 0, v5
	v_cndmask_b32_e32 v5, v5, v6, vcc
	v_cndmask_b32_e32 v3, v4, v3, vcc
	v_mov_b32_e32 v4, 0x37800000
	v_lshlrev_b32_e32 v3, 21, v3
	v_and_b32_e32 v2, 0x80000000, v2
	v_lshl_add_u32 v4, v5, 23, v4
	v_or3_b32 v2, v2, v4, v3
	v_cvt_f64_f32_e32 v[2:3], v2
.LBB22_467:
	s_or_b64 exec, exec, s[26:27]
	s_mov_b64 s[0:1], 0
	s_branch .LBB22_473
.LBB22_468:
	s_mov_b64 s[26:27], -1
                                        ; implicit-def: $vgpr2_vgpr3
	s_branch .LBB22_479
.LBB22_469:
	s_or_saveexec_b64 s[28:29], s[28:29]
	v_pk_mov_b32 v[2:3], s[26:27], s[26:27] op_sel:[0,1]
	s_xor_b64 exec, exec, s[28:29]
	s_cbranch_execz .LBB22_452
.LBB22_470:
	v_cmp_ne_u16_e32 vcc, 0, v4
	s_andn2_b64 s[0:1], s[0:1], exec
	s_and_b64 s[26:27], vcc, exec
	v_pk_mov_b32 v[2:3], 0, 0
	s_or_b64 s[0:1], s[0:1], s[26:27]
	s_or_b64 exec, exec, s[28:29]
	s_and_saveexec_b64 s[26:27], s[0:1]
	s_cbranch_execnz .LBB22_453
	s_branch .LBB22_454
.LBB22_471:
	s_mov_b64 s[0:1], -1
                                        ; implicit-def: $vgpr2_vgpr3
	s_branch .LBB22_476
.LBB22_472:
	s_mov_b64 s[0:1], -1
                                        ; implicit-def: $vgpr2_vgpr3
.LBB22_473:
	s_and_b64 vcc, exec, s[0:1]
	s_cbranch_vccz .LBB22_475
; %bb.474:
	global_load_ubyte v2, v[0:1], off
	s_mov_b32 s0, 0x7f800000
	s_waitcnt vmcnt(0)
	v_lshlrev_b32_e32 v2, 24, v2
	v_and_b32_e32 v3, 0x7f000000, v2
	v_ffbh_u32_e32 v4, v3
	v_min_u32_e32 v4, 32, v4
	v_sub_u32_e64 v4, v4, 4 clamp
	v_lshlrev_b32_e32 v6, v4, v3
	v_lshlrev_b32_e32 v4, 23, v4
	v_lshrrev_b32_e32 v6, 4, v6
	v_add_u32_e32 v5, 0x1000000, v3
	v_sub_u32_e32 v4, v6, v4
	v_ashrrev_i32_e32 v5, 8, v5
	v_add_u32_e32 v4, 0x3c000000, v4
	v_and_or_b32 v4, v5, s0, v4
	v_cmp_ne_u32_e32 vcc, 0, v3
	v_cndmask_b32_e32 v3, 0, v4, vcc
	s_brev_b32 s0, 1
	v_and_or_b32 v2, v2, s0, v3
	v_cvt_f64_f32_e32 v[2:3], v2
.LBB22_475:
	s_mov_b64 s[0:1], 0
.LBB22_476:
	s_andn2_b64 vcc, exec, s[0:1]
	s_cbranch_vccnz .LBB22_478
; %bb.477:
	global_load_ubyte v2, v[0:1], off
	s_movk_i32 s0, 0x7f00
	s_brev_b32 s1, 16
	s_waitcnt vmcnt(0)
	v_lshlrev_b16_e32 v3, 8, v2
	v_lshlrev_b32_e32 v2, 25, v2
	v_lshrrev_b32_e32 v4, 4, v2
	v_and_or_b32 v5, v3, s0, 0.5
	v_or_b32_e32 v4, 0x70000000, v4
	v_add_f32_e32 v5, -0.5, v5
	v_mul_f32_e32 v4, 0x7800000, v4
	v_cmp_gt_u32_e32 vcc, s1, v2
	v_bfe_i32 v3, v3, 0, 16
	v_cndmask_b32_e32 v2, v4, v5, vcc
	s_brev_b32 s0, 1
	v_and_or_b32 v2, v3, s0, v2
	v_cvt_f64_f32_e32 v[2:3], v2
.LBB22_478:
	s_mov_b64 s[26:27], 0
	s_mov_b64 s[0:1], -1
.LBB22_479:
	s_andn2_b64 vcc, exec, s[26:27]
	s_cbranch_vccnz .LBB22_492
; %bb.480:
	v_mov_b32_e32 v2, 14
	v_cmp_gt_i16_sdwa s[26:27], v17, v2 src0_sel:BYTE_0 src1_sel:DWORD
	s_and_b64 vcc, exec, s[26:27]
	s_cbranch_vccz .LBB22_483
; %bb.481:
	v_mov_b32_e32 v2, 15
	v_cmp_eq_u16_sdwa s[24:25], v17, v2 src0_sel:BYTE_0 src1_sel:DWORD
	s_and_b64 vcc, exec, s[24:25]
	s_cbranch_vccz .LBB22_486
; %bb.482:
	global_load_ushort v2, v[0:1], off
	s_mov_b64 s[0:1], -1
	s_mov_b64 s[24:25], 0
	s_waitcnt vmcnt(0)
	v_lshlrev_b32_e32 v2, 16, v2
	v_cvt_f64_f32_e32 v[2:3], v2
	s_branch .LBB22_487
.LBB22_483:
	s_mov_b64 s[26:27], -1
                                        ; implicit-def: $vgpr2_vgpr3
	s_branch .LBB22_488
.LBB22_484:
	s_or_saveexec_b64 s[28:29], s[28:29]
	v_pk_mov_b32 v[2:3], s[26:27], s[26:27] op_sel:[0,1]
	s_xor_b64 exec, exec, s[28:29]
	s_cbranch_execz .LBB22_465
.LBB22_485:
	v_cmp_ne_u16_e32 vcc, 0, v4
	s_andn2_b64 s[0:1], s[0:1], exec
	s_and_b64 s[26:27], vcc, exec
	v_pk_mov_b32 v[2:3], 0, 0
	s_or_b64 s[0:1], s[0:1], s[26:27]
	s_or_b64 exec, exec, s[28:29]
	s_and_saveexec_b64 s[26:27], s[0:1]
	s_cbranch_execnz .LBB22_466
	s_branch .LBB22_467
.LBB22_486:
	s_mov_b64 s[24:25], -1
                                        ; implicit-def: $vgpr2_vgpr3
.LBB22_487:
	s_mov_b64 s[26:27], 0
.LBB22_488:
	s_and_b64 vcc, exec, s[26:27]
	s_cbranch_vccz .LBB22_492
; %bb.489:
	v_mov_b32_e32 v2, 11
	v_cmp_eq_u16_sdwa s[24:25], v17, v2 src0_sel:BYTE_0 src1_sel:DWORD
	s_and_b64 vcc, exec, s[24:25]
	s_cbranch_vccz .LBB22_491
; %bb.490:
	global_load_ubyte v3, v[0:1], off
	v_mov_b32_e32 v4, 0x3ff00000
	v_mov_b32_e32 v2, 0
	s_mov_b64 s[0:1], -1
	s_mov_b64 s[24:25], 0
	s_waitcnt vmcnt(0)
	v_cmp_ne_u16_e32 vcc, 0, v3
	v_cndmask_b32_e32 v3, 0, v4, vcc
	s_branch .LBB22_492
.LBB22_491:
	s_mov_b64 s[24:25], -1
                                        ; implicit-def: $vgpr2_vgpr3
.LBB22_492:
	s_branch .LBB22_408
.LBB22_493:
	v_mov_b32_e32 v2, 5
	v_cmp_lt_i16_sdwa s[0:1], v17, v2 src0_sel:BYTE_0 src1_sel:DWORD
	s_and_b64 vcc, exec, s[0:1]
	s_cbranch_vccnz .LBB22_498
; %bb.494:
	v_mov_b32_e32 v2, 8
	v_cmp_lt_i16_sdwa s[0:1], v17, v2 src0_sel:BYTE_0 src1_sel:DWORD
	s_and_b64 vcc, exec, s[0:1]
	s_cbranch_vccnz .LBB22_499
; %bb.495:
	;; [unrolled: 5-line block ×3, first 2 shown]
	v_cmp_gt_i16_sdwa s[0:1], v17, v2 src0_sel:BYTE_0 src1_sel:DWORD
	s_and_b64 vcc, exec, s[0:1]
	s_cbranch_vccz .LBB22_501
; %bb.497:
	global_load_dwordx2 v[2:3], v[0:1], off
	s_mov_b64 s[0:1], 0
	s_branch .LBB22_502
.LBB22_498:
	s_mov_b64 s[0:1], -1
                                        ; implicit-def: $vgpr2_vgpr3
	s_branch .LBB22_520
.LBB22_499:
	s_mov_b64 s[0:1], -1
                                        ; implicit-def: $vgpr2_vgpr3
	s_branch .LBB22_508
.LBB22_500:
	s_mov_b64 s[0:1], -1
                                        ; implicit-def: $vgpr2_vgpr3
	s_branch .LBB22_505
.LBB22_501:
	s_mov_b64 s[0:1], -1
                                        ; implicit-def: $vgpr2_vgpr3
.LBB22_502:
	s_andn2_b64 vcc, exec, s[0:1]
	s_cbranch_vccnz .LBB22_504
; %bb.503:
	global_load_dword v2, v[0:1], off
	s_waitcnt vmcnt(0)
	v_cvt_f64_f32_e32 v[2:3], v2
.LBB22_504:
	s_mov_b64 s[0:1], 0
.LBB22_505:
	s_andn2_b64 vcc, exec, s[0:1]
	s_cbranch_vccnz .LBB22_507
; %bb.506:
	global_load_dword v2, v[0:1], off
	s_waitcnt vmcnt(0)
	v_cvt_f32_f16_e32 v2, v2
	v_cvt_f64_f32_e32 v[2:3], v2
.LBB22_507:
	s_mov_b64 s[0:1], 0
.LBB22_508:
	s_andn2_b64 vcc, exec, s[0:1]
	s_cbranch_vccnz .LBB22_519
; %bb.509:
	s_waitcnt vmcnt(0)
	v_mov_b32_e32 v2, 6
	v_cmp_lt_i16_sdwa s[0:1], v17, v2 src0_sel:BYTE_0 src1_sel:DWORD
	s_and_b64 vcc, exec, s[0:1]
	s_cbranch_vccnz .LBB22_512
; %bb.510:
	v_cmp_gt_i16_sdwa s[0:1], v17, v2 src0_sel:BYTE_0 src1_sel:DWORD
	s_and_b64 vcc, exec, s[0:1]
	s_cbranch_vccz .LBB22_513
; %bb.511:
	global_load_dwordx2 v[2:3], v[0:1], off
	s_mov_b64 s[0:1], 0
	s_branch .LBB22_514
.LBB22_512:
	s_mov_b64 s[0:1], -1
                                        ; implicit-def: $vgpr2_vgpr3
	s_branch .LBB22_517
.LBB22_513:
	s_mov_b64 s[0:1], -1
                                        ; implicit-def: $vgpr2_vgpr3
.LBB22_514:
	s_andn2_b64 vcc, exec, s[0:1]
	s_cbranch_vccnz .LBB22_516
; %bb.515:
	global_load_dword v2, v[0:1], off
	s_waitcnt vmcnt(0)
	v_cvt_f64_f32_e32 v[2:3], v2
.LBB22_516:
	s_mov_b64 s[0:1], 0
.LBB22_517:
	s_andn2_b64 vcc, exec, s[0:1]
	s_cbranch_vccnz .LBB22_519
; %bb.518:
	global_load_ushort v2, v[0:1], off
	s_waitcnt vmcnt(0)
	v_cvt_f32_f16_e32 v2, v2
	v_cvt_f64_f32_e32 v[2:3], v2
.LBB22_519:
	s_mov_b64 s[0:1], 0
.LBB22_520:
	s_andn2_b64 vcc, exec, s[0:1]
	s_cbranch_vccnz .LBB22_540
; %bb.521:
	s_waitcnt vmcnt(0)
	v_mov_b32_e32 v2, 2
	v_cmp_lt_i16_sdwa s[0:1], v17, v2 src0_sel:BYTE_0 src1_sel:DWORD
	s_and_b64 vcc, exec, s[0:1]
	s_cbranch_vccnz .LBB22_525
; %bb.522:
	v_mov_b32_e32 v2, 3
	v_cmp_lt_i16_sdwa s[0:1], v17, v2 src0_sel:BYTE_0 src1_sel:DWORD
	s_and_b64 vcc, exec, s[0:1]
	s_cbranch_vccnz .LBB22_526
; %bb.523:
	v_cmp_gt_i16_sdwa s[0:1], v17, v2 src0_sel:BYTE_0 src1_sel:DWORD
	s_and_b64 vcc, exec, s[0:1]
	s_cbranch_vccz .LBB22_527
; %bb.524:
	global_load_dwordx2 v[2:3], v[0:1], off
	s_mov_b64 s[0:1], 0
	s_waitcnt vmcnt(0)
	v_cvt_f64_i32_e32 v[4:5], v3
	v_cvt_f64_u32_e32 v[2:3], v2
	v_ldexp_f64 v[4:5], v[4:5], 32
	v_add_f64 v[2:3], v[4:5], v[2:3]
	s_branch .LBB22_528
.LBB22_525:
	s_mov_b64 s[0:1], -1
                                        ; implicit-def: $vgpr2_vgpr3
	s_branch .LBB22_534
.LBB22_526:
	s_mov_b64 s[0:1], -1
                                        ; implicit-def: $vgpr2_vgpr3
	s_branch .LBB22_531
.LBB22_527:
	s_mov_b64 s[0:1], -1
                                        ; implicit-def: $vgpr2_vgpr3
.LBB22_528:
	s_andn2_b64 vcc, exec, s[0:1]
	s_cbranch_vccnz .LBB22_530
; %bb.529:
	global_load_dword v2, v[0:1], off
	s_waitcnt vmcnt(0)
	v_cvt_f64_i32_e32 v[2:3], v2
.LBB22_530:
	s_mov_b64 s[0:1], 0
.LBB22_531:
	s_andn2_b64 vcc, exec, s[0:1]
	s_cbranch_vccnz .LBB22_533
; %bb.532:
	global_load_sshort v2, v[0:1], off
	s_waitcnt vmcnt(0)
	v_cvt_f64_i32_e32 v[2:3], v2
.LBB22_533:
	s_mov_b64 s[0:1], 0
.LBB22_534:
	s_andn2_b64 vcc, exec, s[0:1]
	s_cbranch_vccnz .LBB22_540
; %bb.535:
	v_mov_b32_e32 v2, 0
	v_cmp_gt_i16_sdwa s[0:1], v17, v2 src0_sel:BYTE_0 src1_sel:DWORD
	s_and_b64 vcc, exec, s[0:1]
	s_cbranch_vccz .LBB22_537
; %bb.536:
	global_load_sbyte v2, v[0:1], off
	s_mov_b64 s[0:1], 0
	s_waitcnt vmcnt(0)
	v_cvt_f64_i32_e32 v[2:3], v2
	s_branch .LBB22_538
.LBB22_537:
	s_mov_b64 s[0:1], -1
                                        ; implicit-def: $vgpr2_vgpr3
.LBB22_538:
	s_andn2_b64 vcc, exec, s[0:1]
	s_cbranch_vccnz .LBB22_540
; %bb.539:
	global_load_ubyte v0, v[0:1], off
	s_waitcnt vmcnt(0)
	v_cvt_f64_u32_e32 v[2:3], v0
.LBB22_540:
	s_branch .LBB22_409
.LBB22_541:
	s_mov_b64 s[34:35], 0
	s_mov_b64 s[0:1], s[6:7]
	;; [unrolled: 1-line block ×3, first 2 shown]
.LBB22_542:
                                        ; implicit-def: $vgpr15
	s_branch .LBB22_796
.LBB22_543:
	s_or_saveexec_b64 s[28:29], s[28:29]
                                        ; implicit-def: $sgpr15
	s_xor_b64 exec, exec, s[28:29]
	s_cbranch_execz .LBB22_205
.LBB22_544:
	s_mov_b32 s15, 0x42800000
	v_add_f32_e64 v3, |v2|, s15
	v_and_b32_e32 v3, 0xff, v3
	v_cmp_ne_u32_e32 vcc, 0, v3
	s_andn2_b64 s[24:25], s[24:25], exec
	s_and_b64 s[30:31], vcc, exec
	s_mov_b32 s15, 0
	s_or_b64 s[24:25], s[24:25], s[30:31]
	s_or_b64 exec, exec, s[28:29]
	v_mov_b32_e32 v6, s15
	s_and_saveexec_b64 s[28:29], s[24:25]
	s_cbranch_execnz .LBB22_206
	s_branch .LBB22_207
.LBB22_545:
	s_mov_b64 s[26:27], -1
                                        ; implicit-def: $vgpr4_vgpr5
	s_mov_b64 s[0:1], 0
.LBB22_546:
	s_and_b64 vcc, exec, s[28:29]
	s_cbranch_vccz .LBB22_550
; %bb.547:
	v_mov_b32_e32 v4, 44
	v_cmp_eq_u16_sdwa s[26:27], v16, v4 src0_sel:BYTE_0 src1_sel:DWORD
	s_and_b64 vcc, exec, s[26:27]
	s_cbranch_vccz .LBB22_549
; %bb.548:
	global_load_ubyte v6, v[0:1], off
	s_movk_i32 s15, 0xff
	v_bfrev_b32_e32 v7, 4
	v_mov_b32_e32 v8, 0x7ff80000
	v_bfrev_b32_e32 v9, 28
	s_mov_b64 s[0:1], -1
	s_mov_b64 s[26:27], 0
	s_waitcnt vmcnt(0)
	v_lshlrev_b32_e32 v4, 23, v6
	v_cvt_f64_f32_e32 v[4:5], v4
	v_cmp_ne_u32_e32 vcc, s15, v6
	v_cndmask_b32_e32 v4, v7, v4, vcc
	v_cndmask_b32_e32 v5, v8, v5, vcc
	v_cmp_ne_u32_e32 vcc, 0, v6
	v_cndmask_b32_e32 v5, v9, v5, vcc
	v_cndmask_b32_e32 v4, 0, v4, vcc
	s_branch .LBB22_550
.LBB22_549:
	s_mov_b64 s[26:27], -1
                                        ; implicit-def: $vgpr4_vgpr5
.LBB22_550:
	s_mov_b64 s[28:29], 0
.LBB22_551:
	s_and_b64 vcc, exec, s[28:29]
	s_cbranch_vccz .LBB22_555
; %bb.552:
	v_mov_b32_e32 v4, 29
	v_cmp_eq_u16_sdwa s[26:27], v16, v4 src0_sel:BYTE_0 src1_sel:DWORD
	s_and_b64 vcc, exec, s[26:27]
	s_cbranch_vccz .LBB22_554
; %bb.553:
	global_load_dwordx2 v[4:5], v[0:1], off
	s_mov_b64 s[0:1], -1
	s_mov_b64 s[26:27], 0
	s_mov_b64 s[28:29], 0
	s_waitcnt vmcnt(0)
	v_cvt_f64_u32_e32 v[6:7], v5
	v_cvt_f64_u32_e32 v[4:5], v4
	v_ldexp_f64 v[6:7], v[6:7], 32
	v_add_f64 v[4:5], v[6:7], v[4:5]
	s_branch .LBB22_556
.LBB22_554:
	s_mov_b64 s[26:27], -1
                                        ; implicit-def: $vgpr4_vgpr5
.LBB22_555:
	s_mov_b64 s[28:29], 0
.LBB22_556:
	s_and_b64 vcc, exec, s[28:29]
	s_cbranch_vccz .LBB22_574
; %bb.557:
	v_mov_b32_e32 v4, 27
	v_cmp_lt_i16_sdwa s[0:1], v16, v4 src0_sel:BYTE_0 src1_sel:DWORD
	s_and_b64 vcc, exec, s[0:1]
	s_cbranch_vccnz .LBB22_560
; %bb.558:
	v_cmp_gt_i16_sdwa s[0:1], v16, v4 src0_sel:BYTE_0 src1_sel:DWORD
	s_and_b64 vcc, exec, s[0:1]
	s_cbranch_vccz .LBB22_561
; %bb.559:
	global_load_dword v4, v[0:1], off
	s_mov_b64 s[0:1], 0
	s_waitcnt vmcnt(0)
	v_cvt_f64_u32_e32 v[4:5], v4
	s_branch .LBB22_562
.LBB22_560:
	s_mov_b64 s[0:1], -1
                                        ; implicit-def: $vgpr4_vgpr5
	s_branch .LBB22_565
.LBB22_561:
	s_mov_b64 s[0:1], -1
                                        ; implicit-def: $vgpr4_vgpr5
.LBB22_562:
	s_andn2_b64 vcc, exec, s[0:1]
	s_cbranch_vccnz .LBB22_564
; %bb.563:
	global_load_ushort v4, v[0:1], off
	s_waitcnt vmcnt(0)
	v_cvt_f64_u32_e32 v[4:5], v4
.LBB22_564:
	s_mov_b64 s[0:1], 0
.LBB22_565:
	s_andn2_b64 vcc, exec, s[0:1]
	s_cbranch_vccnz .LBB22_573
; %bb.566:
	global_load_ubyte v6, v[0:1], off
	s_movk_i32 s0, 0x7f
                                        ; implicit-def: $sgpr28_sgpr29
	s_waitcnt vmcnt(0)
	v_cmp_lt_i16_e32 vcc, s0, v6
	s_mov_b64 s[0:1], 0
	s_and_saveexec_b64 s[34:35], vcc
	s_xor_b64 s[34:35], exec, s[34:35]
	s_cbranch_execz .LBB22_587
; %bb.567:
	s_movk_i32 s0, 0x80
	v_cmp_eq_u16_e32 vcc, s0, v6
	s_mov_b64 s[36:37], -1
                                        ; implicit-def: $sgpr28_sgpr29
	s_and_saveexec_b64 s[0:1], vcc
; %bb.568:
	s_mov_b32 s29, 0x7ff80000
	s_brev_b32 s28, 4
	s_xor_b64 s[36:37], exec, -1
; %bb.569:
	s_or_b64 exec, exec, s[0:1]
	s_and_b64 s[0:1], s[36:37], exec
	s_or_saveexec_b64 s[34:35], s[34:35]
	v_pk_mov_b32 v[4:5], s[28:29], s[28:29] op_sel:[0,1]
	s_xor_b64 exec, exec, s[34:35]
	s_cbranch_execnz .LBB22_588
.LBB22_570:
	s_or_b64 exec, exec, s[34:35]
	s_and_saveexec_b64 s[28:29], s[0:1]
	s_cbranch_execz .LBB22_572
.LBB22_571:
	v_and_b32_e32 v5, 0xffff, v6
	v_lshlrev_b32_e32 v4, 24, v6
	v_and_b32_e32 v6, 7, v5
	v_ffbh_u32_e32 v8, v6
	v_min_u32_e32 v8, 32, v8
	v_subrev_u32_e32 v9, 28, v8
	v_bfe_u32 v7, v5, 3, 4
	v_lshlrev_b32_e32 v5, v9, v5
	v_sub_u32_e32 v8, 29, v8
	v_and_b32_e32 v5, 7, v5
	v_cmp_eq_u32_e32 vcc, 0, v7
	v_cndmask_b32_e32 v7, v7, v8, vcc
	v_cndmask_b32_e32 v5, v6, v5, vcc
	v_mov_b32_e32 v6, 0x3b800000
	v_lshlrev_b32_e32 v5, 20, v5
	v_and_b32_e32 v4, 0x80000000, v4
	v_lshl_add_u32 v6, v7, 23, v6
	v_or3_b32 v4, v4, v6, v5
	v_cvt_f64_f32_e32 v[4:5], v4
.LBB22_572:
	s_or_b64 exec, exec, s[28:29]
.LBB22_573:
	s_mov_b64 s[0:1], -1
.LBB22_574:
	s_mov_b64 s[28:29], 0
.LBB22_575:
	s_and_b64 vcc, exec, s[28:29]
	s_cbranch_vccz .LBB22_610
; %bb.576:
	v_mov_b32_e32 v4, 22
	v_cmp_gt_i16_sdwa s[28:29], v16, v4 src0_sel:BYTE_0 src1_sel:DWORD
	s_and_b64 vcc, exec, s[28:29]
	s_cbranch_vccz .LBB22_586
; %bb.577:
	v_mov_b32_e32 v4, 24
	v_cmp_lt_i16_sdwa s[0:1], v16, v4 src0_sel:BYTE_0 src1_sel:DWORD
	s_and_b64 vcc, exec, s[0:1]
	s_cbranch_vccnz .LBB22_589
; %bb.578:
	v_cmp_gt_i16_sdwa s[0:1], v16, v4 src0_sel:BYTE_0 src1_sel:DWORD
	s_and_b64 vcc, exec, s[0:1]
	s_cbranch_vccz .LBB22_590
; %bb.579:
	global_load_ubyte v6, v[0:1], off
	s_movk_i32 s0, 0x7f
                                        ; implicit-def: $sgpr28_sgpr29
	s_waitcnt vmcnt(0)
	v_cmp_lt_i16_e32 vcc, s0, v6
	s_mov_b64 s[0:1], 0
	s_and_saveexec_b64 s[34:35], vcc
	s_xor_b64 s[34:35], exec, s[34:35]
	s_cbranch_execz .LBB22_602
; %bb.580:
	s_movk_i32 s0, 0x80
	v_cmp_eq_u16_e32 vcc, s0, v6
	s_mov_b64 s[36:37], -1
                                        ; implicit-def: $sgpr28_sgpr29
	s_and_saveexec_b64 s[0:1], vcc
; %bb.581:
	s_mov_b32 s29, 0x7ff80000
	s_brev_b32 s28, 4
	s_xor_b64 s[36:37], exec, -1
; %bb.582:
	s_or_b64 exec, exec, s[0:1]
	s_and_b64 s[0:1], s[36:37], exec
	s_or_saveexec_b64 s[34:35], s[34:35]
	v_pk_mov_b32 v[4:5], s[28:29], s[28:29] op_sel:[0,1]
	s_xor_b64 exec, exec, s[34:35]
	s_cbranch_execnz .LBB22_603
.LBB22_583:
	s_or_b64 exec, exec, s[34:35]
	s_and_saveexec_b64 s[28:29], s[0:1]
	s_cbranch_execz .LBB22_585
.LBB22_584:
	v_and_b32_e32 v5, 0xffff, v6
	v_lshlrev_b32_e32 v4, 24, v6
	v_and_b32_e32 v6, 3, v5
	v_ffbh_u32_e32 v8, v6
	v_min_u32_e32 v8, 32, v8
	v_subrev_u32_e32 v9, 29, v8
	v_bfe_u32 v7, v5, 2, 5
	v_lshlrev_b32_e32 v5, v9, v5
	v_sub_u32_e32 v8, 30, v8
	v_and_b32_e32 v5, 3, v5
	v_cmp_eq_u32_e32 vcc, 0, v7
	v_cndmask_b32_e32 v7, v7, v8, vcc
	v_cndmask_b32_e32 v5, v6, v5, vcc
	v_mov_b32_e32 v6, 0x37800000
	v_lshlrev_b32_e32 v5, 21, v5
	v_and_b32_e32 v4, 0x80000000, v4
	v_lshl_add_u32 v6, v7, 23, v6
	v_or3_b32 v4, v4, v6, v5
	v_cvt_f64_f32_e32 v[4:5], v4
.LBB22_585:
	s_or_b64 exec, exec, s[28:29]
	s_mov_b64 s[0:1], 0
	s_branch .LBB22_591
.LBB22_586:
	s_mov_b64 s[28:29], -1
                                        ; implicit-def: $vgpr4_vgpr5
	s_branch .LBB22_597
.LBB22_587:
	s_or_saveexec_b64 s[34:35], s[34:35]
	v_pk_mov_b32 v[4:5], s[28:29], s[28:29] op_sel:[0,1]
	s_xor_b64 exec, exec, s[34:35]
	s_cbranch_execz .LBB22_570
.LBB22_588:
	v_cmp_ne_u16_e32 vcc, 0, v6
	s_andn2_b64 s[0:1], s[0:1], exec
	s_and_b64 s[28:29], vcc, exec
	v_pk_mov_b32 v[4:5], 0, 0
	s_or_b64 s[0:1], s[0:1], s[28:29]
	s_or_b64 exec, exec, s[34:35]
	s_and_saveexec_b64 s[28:29], s[0:1]
	s_cbranch_execnz .LBB22_571
	s_branch .LBB22_572
.LBB22_589:
	s_mov_b64 s[0:1], -1
                                        ; implicit-def: $vgpr4_vgpr5
	s_branch .LBB22_594
.LBB22_590:
	s_mov_b64 s[0:1], -1
                                        ; implicit-def: $vgpr4_vgpr5
.LBB22_591:
	s_and_b64 vcc, exec, s[0:1]
	s_cbranch_vccz .LBB22_593
; %bb.592:
	global_load_ubyte v4, v[0:1], off
	s_mov_b32 s0, 0x7f800000
	s_waitcnt vmcnt(0)
	v_lshlrev_b32_e32 v4, 24, v4
	v_and_b32_e32 v5, 0x7f000000, v4
	v_ffbh_u32_e32 v6, v5
	v_min_u32_e32 v6, 32, v6
	v_sub_u32_e64 v6, v6, 4 clamp
	v_lshlrev_b32_e32 v8, v6, v5
	v_lshlrev_b32_e32 v6, 23, v6
	v_lshrrev_b32_e32 v8, 4, v8
	v_add_u32_e32 v7, 0x1000000, v5
	v_sub_u32_e32 v6, v8, v6
	v_ashrrev_i32_e32 v7, 8, v7
	v_add_u32_e32 v6, 0x3c000000, v6
	v_and_or_b32 v6, v7, s0, v6
	v_cmp_ne_u32_e32 vcc, 0, v5
	v_cndmask_b32_e32 v5, 0, v6, vcc
	s_brev_b32 s0, 1
	v_and_or_b32 v4, v4, s0, v5
	v_cvt_f64_f32_e32 v[4:5], v4
.LBB22_593:
	s_mov_b64 s[0:1], 0
.LBB22_594:
	s_andn2_b64 vcc, exec, s[0:1]
	s_cbranch_vccnz .LBB22_596
; %bb.595:
	global_load_ubyte v4, v[0:1], off
	s_movk_i32 s0, 0x7f00
	s_brev_b32 s1, 16
	s_waitcnt vmcnt(0)
	v_lshlrev_b16_e32 v5, 8, v4
	v_lshlrev_b32_e32 v4, 25, v4
	v_lshrrev_b32_e32 v6, 4, v4
	v_and_or_b32 v7, v5, s0, 0.5
	v_or_b32_e32 v6, 0x70000000, v6
	v_add_f32_e32 v7, -0.5, v7
	v_mul_f32_e32 v6, 0x7800000, v6
	v_cmp_gt_u32_e32 vcc, s1, v4
	v_bfe_i32 v5, v5, 0, 16
	v_cndmask_b32_e32 v4, v6, v7, vcc
	s_brev_b32 s0, 1
	v_and_or_b32 v4, v5, s0, v4
	v_cvt_f64_f32_e32 v[4:5], v4
.LBB22_596:
	s_mov_b64 s[28:29], 0
	s_mov_b64 s[0:1], -1
.LBB22_597:
	s_andn2_b64 vcc, exec, s[28:29]
	s_cbranch_vccnz .LBB22_610
; %bb.598:
	v_mov_b32_e32 v4, 14
	v_cmp_gt_i16_sdwa s[28:29], v16, v4 src0_sel:BYTE_0 src1_sel:DWORD
	s_and_b64 vcc, exec, s[28:29]
	s_cbranch_vccz .LBB22_601
; %bb.599:
	v_mov_b32_e32 v4, 15
	v_cmp_eq_u16_sdwa s[26:27], v16, v4 src0_sel:BYTE_0 src1_sel:DWORD
	s_and_b64 vcc, exec, s[26:27]
	s_cbranch_vccz .LBB22_604
; %bb.600:
	global_load_ushort v4, v[0:1], off
	s_mov_b64 s[0:1], -1
	s_mov_b64 s[26:27], 0
	s_waitcnt vmcnt(0)
	v_lshlrev_b32_e32 v4, 16, v4
	v_cvt_f64_f32_e32 v[4:5], v4
	s_branch .LBB22_605
.LBB22_601:
	s_mov_b64 s[28:29], -1
                                        ; implicit-def: $vgpr4_vgpr5
	s_branch .LBB22_606
.LBB22_602:
	s_or_saveexec_b64 s[34:35], s[34:35]
	v_pk_mov_b32 v[4:5], s[28:29], s[28:29] op_sel:[0,1]
	s_xor_b64 exec, exec, s[34:35]
	s_cbranch_execz .LBB22_583
.LBB22_603:
	v_cmp_ne_u16_e32 vcc, 0, v6
	s_andn2_b64 s[0:1], s[0:1], exec
	s_and_b64 s[28:29], vcc, exec
	v_pk_mov_b32 v[4:5], 0, 0
	s_or_b64 s[0:1], s[0:1], s[28:29]
	s_or_b64 exec, exec, s[34:35]
	s_and_saveexec_b64 s[28:29], s[0:1]
	s_cbranch_execnz .LBB22_584
	s_branch .LBB22_585
.LBB22_604:
	s_mov_b64 s[26:27], -1
                                        ; implicit-def: $vgpr4_vgpr5
.LBB22_605:
	s_mov_b64 s[28:29], 0
.LBB22_606:
	s_and_b64 vcc, exec, s[28:29]
	s_cbranch_vccz .LBB22_610
; %bb.607:
	v_mov_b32_e32 v4, 11
	v_cmp_eq_u16_sdwa s[26:27], v16, v4 src0_sel:BYTE_0 src1_sel:DWORD
	s_and_b64 vcc, exec, s[26:27]
	s_cbranch_vccz .LBB22_609
; %bb.608:
	global_load_ubyte v5, v[0:1], off
	v_mov_b32_e32 v6, 0x3ff00000
	v_mov_b32_e32 v4, 0
	s_mov_b64 s[0:1], -1
	s_mov_b64 s[26:27], 0
	s_waitcnt vmcnt(0)
	v_cmp_ne_u16_e32 vcc, 0, v5
	v_cndmask_b32_e32 v5, 0, v6, vcc
	s_branch .LBB22_610
.LBB22_609:
	s_mov_b64 s[26:27], -1
                                        ; implicit-def: $vgpr4_vgpr5
.LBB22_610:
	s_mov_b64 s[28:29], 0
.LBB22_611:
	s_and_b64 vcc, exec, s[28:29]
	s_cbranch_vccz .LBB22_660
; %bb.612:
	v_mov_b32_e32 v4, 5
	v_cmp_lt_i16_sdwa s[0:1], v16, v4 src0_sel:BYTE_0 src1_sel:DWORD
	s_and_b64 vcc, exec, s[0:1]
	s_cbranch_vccnz .LBB22_617
; %bb.613:
	v_mov_b32_e32 v4, 8
	v_cmp_lt_i16_sdwa s[0:1], v16, v4 src0_sel:BYTE_0 src1_sel:DWORD
	s_and_b64 vcc, exec, s[0:1]
	s_cbranch_vccnz .LBB22_618
	;; [unrolled: 5-line block ×3, first 2 shown]
; %bb.615:
	v_cmp_gt_i16_sdwa s[0:1], v16, v4 src0_sel:BYTE_0 src1_sel:DWORD
	s_and_b64 vcc, exec, s[0:1]
	s_cbranch_vccz .LBB22_620
; %bb.616:
	global_load_dwordx2 v[4:5], v[0:1], off
	s_mov_b64 s[0:1], 0
	s_branch .LBB22_621
.LBB22_617:
	s_mov_b64 s[0:1], -1
                                        ; implicit-def: $vgpr4_vgpr5
	s_branch .LBB22_639
.LBB22_618:
	s_mov_b64 s[0:1], -1
                                        ; implicit-def: $vgpr4_vgpr5
	s_branch .LBB22_627
.LBB22_619:
	s_mov_b64 s[0:1], -1
                                        ; implicit-def: $vgpr4_vgpr5
	s_branch .LBB22_624
.LBB22_620:
	s_mov_b64 s[0:1], -1
                                        ; implicit-def: $vgpr4_vgpr5
.LBB22_621:
	s_andn2_b64 vcc, exec, s[0:1]
	s_cbranch_vccnz .LBB22_623
; %bb.622:
	global_load_dword v4, v[0:1], off
	s_waitcnt vmcnt(0)
	v_cvt_f64_f32_e32 v[4:5], v4
.LBB22_623:
	s_mov_b64 s[0:1], 0
.LBB22_624:
	s_andn2_b64 vcc, exec, s[0:1]
	s_cbranch_vccnz .LBB22_626
; %bb.625:
	global_load_dword v4, v[0:1], off
	s_waitcnt vmcnt(0)
	v_cvt_f32_f16_e32 v4, v4
	v_cvt_f64_f32_e32 v[4:5], v4
.LBB22_626:
	s_mov_b64 s[0:1], 0
.LBB22_627:
	s_andn2_b64 vcc, exec, s[0:1]
	s_cbranch_vccnz .LBB22_638
; %bb.628:
	s_waitcnt vmcnt(0)
	v_mov_b32_e32 v4, 6
	v_cmp_lt_i16_sdwa s[0:1], v16, v4 src0_sel:BYTE_0 src1_sel:DWORD
	s_and_b64 vcc, exec, s[0:1]
	s_cbranch_vccnz .LBB22_631
; %bb.629:
	v_cmp_gt_i16_sdwa s[0:1], v16, v4 src0_sel:BYTE_0 src1_sel:DWORD
	s_and_b64 vcc, exec, s[0:1]
	s_cbranch_vccz .LBB22_632
; %bb.630:
	global_load_dwordx2 v[4:5], v[0:1], off
	s_mov_b64 s[0:1], 0
	s_branch .LBB22_633
.LBB22_631:
	s_mov_b64 s[0:1], -1
                                        ; implicit-def: $vgpr4_vgpr5
	s_branch .LBB22_636
.LBB22_632:
	s_mov_b64 s[0:1], -1
                                        ; implicit-def: $vgpr4_vgpr5
.LBB22_633:
	s_andn2_b64 vcc, exec, s[0:1]
	s_cbranch_vccnz .LBB22_635
; %bb.634:
	global_load_dword v4, v[0:1], off
	s_waitcnt vmcnt(0)
	v_cvt_f64_f32_e32 v[4:5], v4
.LBB22_635:
	s_mov_b64 s[0:1], 0
.LBB22_636:
	s_andn2_b64 vcc, exec, s[0:1]
	s_cbranch_vccnz .LBB22_638
; %bb.637:
	global_load_ushort v4, v[0:1], off
	s_waitcnt vmcnt(0)
	v_cvt_f32_f16_e32 v4, v4
	v_cvt_f64_f32_e32 v[4:5], v4
.LBB22_638:
	s_mov_b64 s[0:1], 0
.LBB22_639:
	s_andn2_b64 vcc, exec, s[0:1]
	s_cbranch_vccnz .LBB22_659
; %bb.640:
	s_waitcnt vmcnt(0)
	v_mov_b32_e32 v4, 2
	v_cmp_lt_i16_sdwa s[0:1], v16, v4 src0_sel:BYTE_0 src1_sel:DWORD
	s_and_b64 vcc, exec, s[0:1]
	s_cbranch_vccnz .LBB22_644
; %bb.641:
	v_mov_b32_e32 v4, 3
	v_cmp_lt_i16_sdwa s[0:1], v16, v4 src0_sel:BYTE_0 src1_sel:DWORD
	s_and_b64 vcc, exec, s[0:1]
	s_cbranch_vccnz .LBB22_645
; %bb.642:
	v_cmp_gt_i16_sdwa s[0:1], v16, v4 src0_sel:BYTE_0 src1_sel:DWORD
	s_and_b64 vcc, exec, s[0:1]
	s_cbranch_vccz .LBB22_646
; %bb.643:
	global_load_dwordx2 v[4:5], v[0:1], off
	s_mov_b64 s[0:1], 0
	s_waitcnt vmcnt(0)
	v_cvt_f64_i32_e32 v[6:7], v5
	v_cvt_f64_u32_e32 v[4:5], v4
	v_ldexp_f64 v[6:7], v[6:7], 32
	v_add_f64 v[4:5], v[6:7], v[4:5]
	s_branch .LBB22_647
.LBB22_644:
	s_mov_b64 s[0:1], -1
                                        ; implicit-def: $vgpr4_vgpr5
	s_branch .LBB22_653
.LBB22_645:
	s_mov_b64 s[0:1], -1
                                        ; implicit-def: $vgpr4_vgpr5
	s_branch .LBB22_650
.LBB22_646:
	s_mov_b64 s[0:1], -1
                                        ; implicit-def: $vgpr4_vgpr5
.LBB22_647:
	s_andn2_b64 vcc, exec, s[0:1]
	s_cbranch_vccnz .LBB22_649
; %bb.648:
	global_load_dword v4, v[0:1], off
	s_waitcnt vmcnt(0)
	v_cvt_f64_i32_e32 v[4:5], v4
.LBB22_649:
	s_mov_b64 s[0:1], 0
.LBB22_650:
	s_andn2_b64 vcc, exec, s[0:1]
	s_cbranch_vccnz .LBB22_652
; %bb.651:
	global_load_sshort v4, v[0:1], off
	s_waitcnt vmcnt(0)
	v_cvt_f64_i32_e32 v[4:5], v4
.LBB22_652:
	s_mov_b64 s[0:1], 0
.LBB22_653:
	s_andn2_b64 vcc, exec, s[0:1]
	s_cbranch_vccnz .LBB22_659
; %bb.654:
	v_mov_b32_e32 v4, 0
	v_cmp_gt_i16_sdwa s[0:1], v16, v4 src0_sel:BYTE_0 src1_sel:DWORD
	s_and_b64 vcc, exec, s[0:1]
	s_cbranch_vccz .LBB22_656
; %bb.655:
	global_load_sbyte v4, v[0:1], off
	s_mov_b64 s[0:1], 0
	s_waitcnt vmcnt(0)
	v_cvt_f64_i32_e32 v[4:5], v4
	s_branch .LBB22_657
.LBB22_656:
	s_mov_b64 s[0:1], -1
                                        ; implicit-def: $vgpr4_vgpr5
.LBB22_657:
	s_andn2_b64 vcc, exec, s[0:1]
	s_cbranch_vccnz .LBB22_659
; %bb.658:
	global_load_ubyte v0, v[0:1], off
	s_waitcnt vmcnt(0)
	v_cvt_f64_u32_e32 v[4:5], v0
.LBB22_659:
	s_mov_b64 s[0:1], -1
.LBB22_660:
	s_andn2_b64 vcc, exec, s[0:1]
	s_cbranch_vccnz .LBB22_680
; %bb.661:
	s_waitcnt vmcnt(0)
	v_trunc_f64_e32 v[0:1], v[4:5]
	s_movk_i32 s0, 0xffe0
	v_ldexp_f64 v[4:5], v[0:1], s0
	v_floor_f64_e32 v[6:7], v[4:5]
	v_fmac_f64_e32 v[0:1], 0xc1f00000, v[6:7]
	v_cvt_i32_f64_e32 v5, v[6:7]
	v_cvt_u32_f64_e32 v4, v[0:1]
	v_cmp_lt_i64_e32 vcc, -1, v[4:5]
	v_pk_mov_b32 v[0:1], 0, 0
	s_and_saveexec_b64 s[0:1], vcc
	s_cbranch_execz .LBB22_673
; %bb.662:
	v_mov_b32_e32 v0, 0
	v_cmp_lt_i64_e32 vcc, 0, v[4:5]
	v_mov_b32_e32 v1, 0x3ff00000
	s_and_saveexec_b64 s[28:29], vcc
	s_cbranch_execz .LBB22_672
; %bb.663:
	v_cmp_ne_u64_e32 vcc, 1, v[4:5]
                                        ; implicit-def: $vgpr0_vgpr1
	s_and_saveexec_b64 s[34:35], vcc
	s_xor_b64 s[34:35], exec, s[34:35]
	s_cbranch_execz .LBB22_669
; %bb.664:
	s_mov_b64 s[36:37], 0x201
	v_mov_b32_e32 v0, 0
	v_cmp_gt_u64_e32 vcc, s[36:37], v[4:5]
	v_mov_b32_e32 v1, 0x7ff80000
	s_and_saveexec_b64 s[36:37], vcc
	s_cbranch_execz .LBB22_668
; %bb.665:
	v_mov_b32_e32 v6, 0
	s_mov_b64 s[40:41], 1
	s_mov_b64 s[38:39], 0
	v_mov_b32_e32 v7, 0x3ff00000
	v_pk_mov_b32 v[0:1], v[2:3], v[2:3] op_sel:[0,1]
.LBB22_666:                             ; =>This Inner Loop Header: Depth=1
	v_cvt_f64_u32_e32 v[8:9], s41
	v_cvt_f64_u32_e32 v[10:11], s40
	s_add_u32 s40, s40, 1
	v_ldexp_f64 v[8:9], v[8:9], 32
	s_addc_u32 s41, s41, 0
	v_add_f64 v[8:9], v[8:9], v[10:11]
	v_cmp_eq_u64_e32 vcc, s[40:41], v[4:5]
	v_mul_f64 v[8:9], v[6:7], v[8:9]
	s_or_b64 s[38:39], vcc, s[38:39]
	v_pk_mov_b32 v[6:7], v[0:1], v[0:1] op_sel:[0,1]
	v_fma_f64 v[0:1], v[2:3], v[0:1], -v[8:9]
	s_andn2_b64 exec, exec, s[38:39]
	s_cbranch_execnz .LBB22_666
; %bb.667:
	s_or_b64 exec, exec, s[38:39]
.LBB22_668:
	s_or_b64 exec, exec, s[36:37]
                                        ; implicit-def: $vgpr2_vgpr3
.LBB22_669:
	s_andn2_saveexec_b64 s[34:35], s[34:35]
; %bb.670:
	v_pk_mov_b32 v[0:1], v[2:3], v[2:3] op_sel:[0,1]
; %bb.671:
	s_or_b64 exec, exec, s[34:35]
.LBB22_672:
	s_or_b64 exec, exec, s[28:29]
.LBB22_673:
	s_or_b64 exec, exec, s[0:1]
	v_mul_lo_u32 v2, v15, s12
	v_ashrrev_i32_e32 v3, 31, v2
	v_mov_b32_e32 v5, s9
	v_add_co_u32_e32 v4, vcc, s8, v2
	v_mov_b32_e32 v2, 11
	v_addc_co_u32_e32 v5, vcc, v5, v3, vcc
	v_cmp_lt_i16_sdwa s[0:1], v14, v2 src0_sel:BYTE_0 src1_sel:DWORD
	s_and_b64 vcc, exec, s[0:1]
	s_cbranch_vccnz .LBB22_681
; %bb.674:
	v_mov_b32_e32 v2, 25
	v_cmp_gt_i16_sdwa s[0:1], v14, v2 src0_sel:BYTE_0 src1_sel:DWORD
	s_and_b64 vcc, exec, s[0:1]
	s_cbranch_vccz .LBB22_682
; %bb.675:
	v_mov_b32_e32 v2, 28
	v_cmp_gt_i16_sdwa s[0:1], v14, v2 src0_sel:BYTE_0 src1_sel:DWORD
	s_and_b64 vcc, exec, s[0:1]
	s_cbranch_vccz .LBB22_683
	;; [unrolled: 5-line block ×4, first 2 shown]
; %bb.678:
	v_mov_b32_e32 v2, 46
	v_cmp_eq_u16_sdwa s[28:29], v14, v2 src0_sel:BYTE_0 src1_sel:DWORD
	s_mov_b64 s[34:35], 0
	s_mov_b64 s[0:1], -1
	s_and_b64 vcc, exec, s[28:29]
	s_mov_b64 s[28:29], 0
	s_cbranch_vccz .LBB22_686
; %bb.679:
	v_cvt_f32_f64_e32 v2, v[0:1]
	v_bfe_u32 v3, v2, 16, 1
	s_movk_i32 s0, 0x7fff
	v_add3_u32 v3, v2, v3, s0
	v_lshrrev_b32_e32 v3, 16, v3
	v_mov_b32_e32 v6, 0x7fc0
	v_cmp_o_f32_e32 vcc, v2, v2
	v_cndmask_b32_e32 v2, v6, v3, vcc
	global_store_dword v[4:5], v2, off
	s_mov_b64 s[28:29], -1
	s_mov_b64 s[0:1], 0
	s_branch .LBB22_686
.LBB22_680:
	s_mov_b64 s[34:35], 0
                                        ; implicit-def: $vgpr15
	s_mov_b64 s[0:1], s[6:7]
	s_branch .LBB22_796
.LBB22_681:
	s_mov_b64 s[34:35], -1
	s_mov_b64 s[28:29], 0
	s_mov_b64 s[0:1], s[6:7]
	s_branch .LBB22_755
.LBB22_682:
	s_mov_b64 s[34:35], -1
	s_mov_b64 s[28:29], 0
	s_mov_b64 s[0:1], s[6:7]
	s_branch .LBB22_713
.LBB22_683:
	s_mov_b64 s[34:35], -1
	s_mov_b64 s[28:29], 0
	s_mov_b64 s[0:1], s[6:7]
	s_branch .LBB22_696
.LBB22_684:
	s_mov_b64 s[34:35], -1
	s_mov_b64 s[28:29], 0
	s_mov_b64 s[0:1], s[6:7]
	s_branch .LBB22_692
.LBB22_685:
	s_mov_b64 s[34:35], -1
	s_mov_b64 s[28:29], 0
	s_mov_b64 s[0:1], s[6:7]
.LBB22_686:
	s_and_b64 vcc, exec, s[34:35]
	s_cbranch_vccz .LBB22_691
; %bb.687:
	v_mov_b32_e32 v2, 44
	v_cmp_eq_u16_sdwa s[34:35], v14, v2 src0_sel:BYTE_0 src1_sel:DWORD
	s_mov_b64 s[0:1], -1
	s_and_b64 vcc, exec, s[34:35]
	s_cbranch_vccz .LBB22_691
; %bb.688:
	v_cvt_f32_f64_e32 v2, v[0:1]
	v_bfe_u32 v3, v2, 23, 8
	s_movk_i32 s0, 0xff
	v_cmp_ne_u32_e32 vcc, s0, v3
	v_mov_b32_e32 v6, 0xff
	s_and_saveexec_b64 s[28:29], vcc
; %bb.689:
	s_mov_b32 s0, 0x3fffff
	v_lshrrev_b32_e32 v6, 23, v2
	v_and_b32_e32 v7, 0x400000, v2
	v_and_or_b32 v2, v2, s0, v3
	v_cmp_ne_u32_e32 vcc, 0, v7
	v_cmp_ne_u32_e64 s[0:1], 0, v2
	s_and_b64 s[0:1], vcc, s[0:1]
	v_cndmask_b32_e64 v2, 0, 1, s[0:1]
	v_add_u32_e32 v6, v6, v2
; %bb.690:
	s_or_b64 exec, exec, s[28:29]
	s_mov_b64 s[28:29], -1
	s_mov_b64 s[0:1], 0
	global_store_byte v[4:5], v6, off
.LBB22_691:
	s_mov_b64 s[34:35], 0
.LBB22_692:
	s_and_b64 vcc, exec, s[34:35]
	s_cbranch_vccz .LBB22_695
; %bb.693:
	v_mov_b32_e32 v2, 29
	v_cmp_eq_u16_sdwa s[34:35], v14, v2 src0_sel:BYTE_0 src1_sel:DWORD
	s_mov_b64 s[0:1], -1
	s_and_b64 vcc, exec, s[34:35]
	s_cbranch_vccz .LBB22_695
; %bb.694:
	v_trunc_f64_e32 v[2:3], v[0:1]
	s_movk_i32 s0, 0xffe0
	v_ldexp_f64 v[6:7], v[2:3], s0
	v_floor_f64_e32 v[6:7], v[6:7]
	v_fmac_f64_e32 v[2:3], 0xc1f00000, v[6:7]
	v_cvt_u32_f64_e32 v9, v[6:7]
	v_cvt_u32_f64_e32 v8, v[2:3]
	global_store_dwordx2 v[4:5], v[8:9], off
	s_mov_b64 s[28:29], -1
	s_mov_b64 s[0:1], 0
.LBB22_695:
	s_mov_b64 s[34:35], 0
.LBB22_696:
	s_and_b64 vcc, exec, s[34:35]
	s_cbranch_vccz .LBB22_712
; %bb.697:
	v_mov_b32_e32 v2, 27
	v_cmp_lt_i16_sdwa s[34:35], v14, v2 src0_sel:BYTE_0 src1_sel:DWORD
	s_mov_b64 s[28:29], -1
	s_and_b64 vcc, exec, s[34:35]
	s_cbranch_vccnz .LBB22_703
; %bb.698:
	v_cmp_gt_i16_sdwa s[34:35], v14, v2 src0_sel:BYTE_0 src1_sel:DWORD
	s_and_b64 vcc, exec, s[34:35]
	v_cvt_u32_f64_e32 v2, v[0:1]
	s_cbranch_vccz .LBB22_700
; %bb.699:
	s_mov_b64 s[28:29], 0
	global_store_dword v[4:5], v2, off
.LBB22_700:
	s_andn2_b64 vcc, exec, s[28:29]
	s_cbranch_vccnz .LBB22_702
; %bb.701:
	global_store_short v[4:5], v2, off
.LBB22_702:
	s_mov_b64 s[28:29], 0
.LBB22_703:
	s_andn2_b64 vcc, exec, s[28:29]
	s_cbranch_vccnz .LBB22_711
; %bb.704:
	v_cvt_f32_f64_e32 v2, v[0:1]
	v_and_b32_e32 v3, 0x7fffffff, v2
	s_mov_b32 s15, 0x43800000
	v_cmp_gt_u32_e32 vcc, s15, v3
	v_mov_b32_e32 v6, 0x80
	s_and_saveexec_b64 s[28:29], vcc
	s_cbranch_execz .LBB22_710
; %bb.705:
	s_mov_b32 s15, 0x3bffffff
	v_cmp_lt_u32_e32 vcc, s15, v3
	s_mov_b64 s[34:35], 0
                                        ; implicit-def: $vgpr3
	s_and_saveexec_b64 s[36:37], vcc
	s_xor_b64 s[36:37], exec, s[36:37]
	s_cbranch_execz .LBB22_812
; %bb.706:
	v_bfe_u32 v3, v2, 20, 1
	s_mov_b32 s15, 0x487ffff
	v_add3_u32 v3, v2, v3, s15
	s_mov_b64 s[34:35], exec
	v_lshrrev_b32_e32 v3, 20, v3
	s_or_saveexec_b64 s[36:37], s[36:37]
                                        ; implicit-def: $sgpr15
	s_xor_b64 exec, exec, s[36:37]
	s_cbranch_execnz .LBB22_813
.LBB22_707:
	s_or_b64 exec, exec, s[36:37]
	v_mov_b32_e32 v6, s15
	s_and_saveexec_b64 s[36:37], s[34:35]
.LBB22_708:
	v_lshrrev_b32_e32 v2, 24, v2
	s_movk_i32 s15, 0x80
	v_and_or_b32 v6, v2, s15, v3
.LBB22_709:
	s_or_b64 exec, exec, s[36:37]
.LBB22_710:
	s_or_b64 exec, exec, s[28:29]
	global_store_byte v[4:5], v6, off
.LBB22_711:
	s_mov_b64 s[28:29], -1
.LBB22_712:
	s_mov_b64 s[34:35], 0
.LBB22_713:
	s_and_b64 vcc, exec, s[34:35]
	s_cbranch_vccz .LBB22_754
; %bb.714:
	v_mov_b32_e32 v2, 22
	v_cmp_gt_i16_sdwa s[36:37], v14, v2 src0_sel:BYTE_0 src1_sel:DWORD
	s_mov_b64 s[34:35], -1
	s_and_b64 vcc, exec, s[36:37]
	s_cbranch_vccz .LBB22_746
; %bb.715:
	v_mov_b32_e32 v2, 24
	v_cmp_lt_i16_sdwa s[34:35], v14, v2 src0_sel:BYTE_0 src1_sel:DWORD
	s_mov_b64 s[28:29], -1
	s_and_b64 vcc, exec, s[34:35]
	s_cbranch_vccnz .LBB22_735
; %bb.716:
	v_cmp_gt_i16_sdwa s[34:35], v14, v2 src0_sel:BYTE_0 src1_sel:DWORD
	s_and_b64 vcc, exec, s[34:35]
	s_cbranch_vccz .LBB22_724
; %bb.717:
	v_cvt_f32_f64_e32 v2, v[0:1]
	v_and_b32_e32 v3, 0x7fffffff, v2
	s_mov_b32 s15, 0x47800000
	v_cmp_gt_u32_e32 vcc, s15, v3
	v_mov_b32_e32 v6, 0x80
	s_and_saveexec_b64 s[28:29], vcc
	s_cbranch_execz .LBB22_723
; %bb.718:
	s_mov_b32 s15, 0x37ffffff
	v_cmp_lt_u32_e32 vcc, s15, v3
	s_mov_b64 s[34:35], 0
                                        ; implicit-def: $vgpr3
	s_and_saveexec_b64 s[36:37], vcc
	s_xor_b64 s[36:37], exec, s[36:37]
	s_cbranch_execz .LBB22_944
; %bb.719:
	v_bfe_u32 v3, v2, 21, 1
	s_mov_b32 s15, 0x88fffff
	v_add3_u32 v3, v2, v3, s15
	s_mov_b64 s[34:35], exec
	v_lshrrev_b32_e32 v3, 21, v3
	s_or_saveexec_b64 s[36:37], s[36:37]
                                        ; implicit-def: $sgpr15
	s_xor_b64 exec, exec, s[36:37]
	s_cbranch_execnz .LBB22_945
.LBB22_720:
	s_or_b64 exec, exec, s[36:37]
	v_mov_b32_e32 v6, s15
	s_and_saveexec_b64 s[36:37], s[34:35]
.LBB22_721:
	v_lshrrev_b32_e32 v2, 24, v2
	s_movk_i32 s15, 0x80
	v_and_or_b32 v6, v2, s15, v3
.LBB22_722:
	s_or_b64 exec, exec, s[36:37]
.LBB22_723:
	s_or_b64 exec, exec, s[28:29]
	s_mov_b64 s[28:29], 0
	global_store_byte v[4:5], v6, off
.LBB22_724:
	s_and_b64 vcc, exec, s[28:29]
	s_cbranch_vccz .LBB22_734
; %bb.725:
	v_cvt_f32_f64_e32 v2, v[0:1]
	v_and_b32_e32 v6, 0x7fffffff, v2
	s_mov_b32 s15, 0x43f00000
	v_cmp_gt_u32_e32 vcc, s15, v6
                                        ; implicit-def: $vgpr3
	s_and_saveexec_b64 s[28:29], vcc
	s_xor_b64 s[28:29], exec, s[28:29]
	s_cbranch_execz .LBB22_731
; %bb.726:
	s_mov_b32 s15, 0x3c7fffff
	v_cmp_lt_u32_e32 vcc, s15, v6
                                        ; implicit-def: $vgpr3
	s_and_saveexec_b64 s[34:35], vcc
	s_xor_b64 s[34:35], exec, s[34:35]
; %bb.727:
	v_bfe_u32 v3, v2, 20, 1
	s_mov_b32 s15, 0x407ffff
	v_add3_u32 v3, v2, v3, s15
	v_lshrrev_b32_e32 v6, 20, v3
	v_and_b32_e32 v3, 0xff00000, v3
	s_mov_b32 s15, 0x7f00000
	v_mov_b32_e32 v7, 0x7e
	v_cmp_ne_u32_e32 vcc, s15, v3
	v_cndmask_b32_e32 v3, v7, v6, vcc
; %bb.728:
	s_andn2_saveexec_b64 s[34:35], s[34:35]
; %bb.729:
	s_mov_b32 s15, 0x46800000
	v_add_f32_e64 v3, |v2|, s15
; %bb.730:
	s_or_b64 exec, exec, s[34:35]
                                        ; implicit-def: $vgpr6
.LBB22_731:
	s_andn2_saveexec_b64 s[28:29], s[28:29]
; %bb.732:
	s_mov_b32 s15, 0x7f800000
	v_mov_b32_e32 v3, 0x7e
	v_mov_b32_e32 v7, 0x7f
	v_cmp_lt_u32_e32 vcc, s15, v6
	v_cndmask_b32_e32 v3, v3, v7, vcc
; %bb.733:
	s_or_b64 exec, exec, s[28:29]
	v_lshrrev_b32_e32 v2, 24, v2
	s_movk_i32 s15, 0x80
	v_and_or_b32 v2, v2, s15, v3
	global_store_byte v[4:5], v2, off
.LBB22_734:
	s_mov_b64 s[28:29], 0
.LBB22_735:
	s_andn2_b64 vcc, exec, s[28:29]
	s_cbranch_vccnz .LBB22_745
; %bb.736:
	v_cvt_f32_f64_e32 v2, v[0:1]
	v_and_b32_e32 v6, 0x7fffffff, v2
	s_mov_b32 s15, 0x47800000
	v_cmp_gt_u32_e32 vcc, s15, v6
                                        ; implicit-def: $vgpr3
	s_and_saveexec_b64 s[28:29], vcc
	s_xor_b64 s[28:29], exec, s[28:29]
	s_cbranch_execz .LBB22_742
; %bb.737:
	s_mov_b32 s15, 0x387fffff
	v_cmp_lt_u32_e32 vcc, s15, v6
                                        ; implicit-def: $vgpr3
	s_and_saveexec_b64 s[34:35], vcc
	s_xor_b64 s[34:35], exec, s[34:35]
; %bb.738:
	v_bfe_u32 v3, v2, 21, 1
	s_mov_b32 s15, 0x80fffff
	v_add3_u32 v3, v2, v3, s15
	v_lshrrev_b32_e32 v3, 21, v3
; %bb.739:
	s_andn2_saveexec_b64 s[34:35], s[34:35]
; %bb.740:
	s_mov_b32 s15, 0x43000000
	v_add_f32_e64 v3, |v2|, s15
; %bb.741:
	s_or_b64 exec, exec, s[34:35]
                                        ; implicit-def: $vgpr6
.LBB22_742:
	s_andn2_saveexec_b64 s[28:29], s[28:29]
; %bb.743:
	s_mov_b32 s15, 0x7f800000
	v_mov_b32_e32 v3, 0x7c
	v_mov_b32_e32 v7, 0x7f
	v_cmp_lt_u32_e32 vcc, s15, v6
	v_cndmask_b32_e32 v3, v3, v7, vcc
; %bb.744:
	s_or_b64 exec, exec, s[28:29]
	v_lshrrev_b32_e32 v2, 24, v2
	s_movk_i32 s15, 0x80
	v_and_or_b32 v2, v2, s15, v3
	global_store_byte v[4:5], v2, off
.LBB22_745:
	s_mov_b64 s[34:35], 0
	s_mov_b64 s[28:29], -1
.LBB22_746:
	s_andn2_b64 vcc, exec, s[34:35]
	s_cbranch_vccnz .LBB22_754
; %bb.747:
	v_mov_b32_e32 v2, 14
	v_cmp_gt_i16_sdwa s[36:37], v14, v2 src0_sel:BYTE_0 src1_sel:DWORD
	s_mov_b64 s[34:35], -1
	s_and_b64 vcc, exec, s[36:37]
	s_cbranch_vccz .LBB22_751
; %bb.748:
	v_mov_b32_e32 v2, 15
	v_cmp_eq_u16_sdwa s[34:35], v14, v2 src0_sel:BYTE_0 src1_sel:DWORD
	s_mov_b64 s[0:1], -1
	s_and_b64 vcc, exec, s[34:35]
	s_cbranch_vccz .LBB22_750
; %bb.749:
	v_cvt_f32_f64_e32 v2, v[0:1]
	v_bfe_u32 v3, v2, 16, 1
	s_movk_i32 s0, 0x7fff
	v_add3_u32 v3, v2, v3, s0
	v_lshrrev_b32_e32 v3, 16, v3
	v_mov_b32_e32 v6, 0x7fc0
	v_cmp_o_f32_e32 vcc, v2, v2
	v_cndmask_b32_e32 v2, v6, v3, vcc
	global_store_short v[4:5], v2, off
	s_mov_b64 s[28:29], -1
	s_mov_b64 s[0:1], 0
.LBB22_750:
	s_mov_b64 s[34:35], 0
.LBB22_751:
	s_and_b64 vcc, exec, s[34:35]
	s_cbranch_vccz .LBB22_754
; %bb.752:
	v_mov_b32_e32 v2, 11
	v_cmp_eq_u16_sdwa s[34:35], v14, v2 src0_sel:BYTE_0 src1_sel:DWORD
	s_mov_b64 s[0:1], -1
	s_and_b64 vcc, exec, s[34:35]
	s_cbranch_vccz .LBB22_754
; %bb.753:
	v_cmp_neq_f64_e32 vcc, 0, v[0:1]
	s_mov_b64 s[0:1], 0
	v_cndmask_b32_e64 v2, 0, 1, vcc
	s_mov_b64 s[28:29], -1
	global_store_byte v[4:5], v2, off
.LBB22_754:
	s_mov_b64 s[34:35], 0
.LBB22_755:
	s_and_b64 vcc, exec, s[34:35]
	s_cbranch_vccz .LBB22_794
; %bb.756:
	v_mov_b32_e32 v2, 5
	v_cmp_lt_i16_sdwa s[34:35], v14, v2 src0_sel:BYTE_0 src1_sel:DWORD
	s_mov_b64 s[28:29], -1
	s_and_b64 vcc, exec, s[34:35]
	s_cbranch_vccnz .LBB22_777
; %bb.757:
	v_mov_b32_e32 v2, 8
	v_cmp_lt_i16_sdwa s[34:35], v14, v2 src0_sel:BYTE_0 src1_sel:DWORD
	s_and_b64 vcc, exec, s[34:35]
	s_cbranch_vccnz .LBB22_767
; %bb.758:
	v_mov_b32_e32 v2, 9
	v_cmp_lt_i16_sdwa s[34:35], v14, v2 src0_sel:BYTE_0 src1_sel:DWORD
	s_and_b64 vcc, exec, s[34:35]
	s_cbranch_vccnz .LBB22_764
; %bb.759:
	v_cmp_gt_i16_sdwa s[34:35], v14, v2 src0_sel:BYTE_0 src1_sel:DWORD
	s_and_b64 vcc, exec, s[34:35]
	s_cbranch_vccz .LBB22_761
; %bb.760:
	v_mov_b32_e32 v2, 0
	v_mov_b32_e32 v3, v2
	s_mov_b64 s[28:29], 0
	global_store_dwordx4 v[4:5], v[0:3], off
.LBB22_761:
	s_andn2_b64 vcc, exec, s[28:29]
	s_cbranch_vccnz .LBB22_763
; %bb.762:
	v_cvt_f32_f64_e32 v2, v[0:1]
	v_mov_b32_e32 v3, 0
	global_store_dwordx2 v[4:5], v[2:3], off
.LBB22_763:
	s_mov_b64 s[28:29], 0
.LBB22_764:
	s_andn2_b64 vcc, exec, s[28:29]
	s_cbranch_vccnz .LBB22_766
; %bb.765:
	v_cvt_f32_f64_e32 v2, v[0:1]
	v_cvt_f16_f32_e32 v2, v2
	global_store_dword v[4:5], v2, off
.LBB22_766:
	s_mov_b64 s[28:29], 0
.LBB22_767:
	s_andn2_b64 vcc, exec, s[28:29]
	s_cbranch_vccnz .LBB22_776
; %bb.768:
	v_mov_b32_e32 v2, 6
	v_cmp_lt_i16_sdwa s[34:35], v14, v2 src0_sel:BYTE_0 src1_sel:DWORD
	s_mov_b64 s[28:29], -1
	s_and_b64 vcc, exec, s[34:35]
	s_cbranch_vccnz .LBB22_774
; %bb.769:
	v_cmp_gt_i16_sdwa s[34:35], v14, v2 src0_sel:BYTE_0 src1_sel:DWORD
	s_and_b64 vcc, exec, s[34:35]
	s_cbranch_vccz .LBB22_771
; %bb.770:
	s_mov_b64 s[28:29], 0
	global_store_dwordx2 v[4:5], v[0:1], off
.LBB22_771:
	s_andn2_b64 vcc, exec, s[28:29]
	s_cbranch_vccnz .LBB22_773
; %bb.772:
	v_cvt_f32_f64_e32 v2, v[0:1]
	global_store_dword v[4:5], v2, off
.LBB22_773:
	s_mov_b64 s[28:29], 0
.LBB22_774:
	s_andn2_b64 vcc, exec, s[28:29]
	s_cbranch_vccnz .LBB22_776
; %bb.775:
	v_cvt_f32_f64_e32 v2, v[0:1]
	v_cvt_f16_f32_e32 v2, v2
	global_store_short v[4:5], v2, off
.LBB22_776:
	s_mov_b64 s[28:29], 0
.LBB22_777:
	s_andn2_b64 vcc, exec, s[28:29]
	s_cbranch_vccnz .LBB22_793
; %bb.778:
	v_mov_b32_e32 v2, 2
	v_cmp_lt_i16_sdwa s[34:35], v14, v2 src0_sel:BYTE_0 src1_sel:DWORD
	s_mov_b64 s[28:29], -1
	s_and_b64 vcc, exec, s[34:35]
	s_cbranch_vccnz .LBB22_788
; %bb.779:
	v_mov_b32_e32 v2, 3
	v_cmp_lt_i16_sdwa s[34:35], v14, v2 src0_sel:BYTE_0 src1_sel:DWORD
	s_and_b64 vcc, exec, s[34:35]
	s_cbranch_vccnz .LBB22_785
; %bb.780:
	v_cmp_gt_i16_sdwa s[34:35], v14, v2 src0_sel:BYTE_0 src1_sel:DWORD
	s_and_b64 vcc, exec, s[34:35]
	s_cbranch_vccz .LBB22_782
; %bb.781:
	v_trunc_f64_e32 v[2:3], v[0:1]
	s_movk_i32 s15, 0xffe0
	v_ldexp_f64 v[6:7], v[2:3], s15
	v_floor_f64_e32 v[6:7], v[6:7]
	v_fmac_f64_e32 v[2:3], 0xc1f00000, v[6:7]
	v_cvt_i32_f64_e32 v9, v[6:7]
	v_cvt_u32_f64_e32 v8, v[2:3]
	s_mov_b64 s[28:29], 0
	global_store_dwordx2 v[4:5], v[8:9], off
.LBB22_782:
	s_andn2_b64 vcc, exec, s[28:29]
	s_cbranch_vccnz .LBB22_784
; %bb.783:
	v_cvt_i32_f64_e32 v2, v[0:1]
	global_store_dword v[4:5], v2, off
.LBB22_784:
	s_mov_b64 s[28:29], 0
.LBB22_785:
	s_andn2_b64 vcc, exec, s[28:29]
	s_cbranch_vccnz .LBB22_787
; %bb.786:
	v_cvt_i32_f64_e32 v2, v[0:1]
	global_store_short v[4:5], v2, off
.LBB22_787:
	s_mov_b64 s[28:29], 0
.LBB22_788:
	s_andn2_b64 vcc, exec, s[28:29]
	s_cbranch_vccnz .LBB22_793
; %bb.789:
	v_mov_b32_e32 v2, 0
	v_cmp_gt_i16_sdwa s[34:35], v14, v2 src0_sel:BYTE_0 src1_sel:DWORD
	s_mov_b64 s[28:29], -1
	s_and_b64 vcc, exec, s[34:35]
	s_cbranch_vccz .LBB22_791
; %bb.790:
	v_cvt_i32_f64_e32 v2, v[0:1]
	s_mov_b64 s[28:29], 0
	global_store_byte v[4:5], v2, off
.LBB22_791:
	s_andn2_b64 vcc, exec, s[28:29]
	s_cbranch_vccnz .LBB22_793
; %bb.792:
	v_trunc_f64_e32 v[0:1], v[0:1]
	s_movk_i32 s15, 0xffe0
	v_ldexp_f64 v[2:3], v[0:1], s15
	v_floor_f64_e32 v[2:3], v[2:3]
	v_fmac_f64_e32 v[0:1], 0xc1f00000, v[2:3]
	v_cvt_u32_f64_e32 v0, v[0:1]
	global_store_byte v[4:5], v0, off
.LBB22_793:
	s_mov_b64 s[28:29], -1
.LBB22_794:
	s_andn2_b64 vcc, exec, s[28:29]
	s_cbranch_vccnz .LBB22_807
; %bb.795:
	v_add_u32_e32 v15, 0x80, v15
	s_mov_b64 s[34:35], -1
.LBB22_796:
	s_andn2_b64 s[28:29], s[6:7], exec
	s_and_b64 s[0:1], s[0:1], exec
	s_or_b64 s[28:29], s[28:29], s[0:1]
	s_andn2_b64 s[0:1], s[18:19], exec
	s_and_b64 s[26:27], s[26:27], exec
	s_or_b64 s[26:27], s[0:1], s[26:27]
	;; [unrolled: 3-line block ×3, first 2 shown]
	s_orn2_b64 s[0:1], s[34:35], exec
.LBB22_797:
	s_or_b64 exec, exec, s[30:31]
	s_mov_b64 s[34:35], 0
	s_mov_b64 s[36:37], 0
	;; [unrolled: 1-line block ×3, first 2 shown]
                                        ; implicit-def: $vgpr4
                                        ; implicit-def: $vgpr0_vgpr1
                                        ; implicit-def: $vgpr2_vgpr3
	s_and_saveexec_b64 s[30:31], s[0:1]
	s_cbranch_execz .LBB22_1283
; %bb.798:
	v_cmp_gt_i32_e32 vcc, s33, v15
	s_mov_b64 s[46:47], -1
	s_mov_b64 s[0:1], s[24:25]
	s_mov_b64 s[38:39], s[26:27]
	;; [unrolled: 1-line block ×3, first 2 shown]
	s_and_saveexec_b64 s[34:35], vcc
	s_cbranch_execz .LBB22_1198
; %bb.799:
	v_mul_lo_u32 v0, v15, s13
	v_ashrrev_i32_e32 v1, 31, v0
	s_waitcnt vmcnt(0)
	v_mov_b32_e32 v2, s11
	v_add_co_u32_e32 v0, vcc, s10, v0
	v_addc_co_u32_e32 v1, vcc, v2, v1, vcc
	v_mov_b32_e32 v2, 11
	v_cmp_lt_i16_sdwa s[0:1], v17, v2 src0_sel:BYTE_0 src1_sel:DWORD
	s_and_b64 vcc, exec, s[0:1]
	s_cbranch_vccnz .LBB22_806
; %bb.800:
	v_mov_b32_e32 v2, 25
	v_cmp_gt_i16_sdwa s[0:1], v17, v2 src0_sel:BYTE_0 src1_sel:DWORD
	s_and_b64 vcc, exec, s[0:1]
	s_cbranch_vccz .LBB22_808
; %bb.801:
	v_mov_b32_e32 v2, 28
	v_cmp_gt_i16_sdwa s[0:1], v17, v2 src0_sel:BYTE_0 src1_sel:DWORD
	s_and_b64 vcc, exec, s[0:1]
	s_cbranch_vccz .LBB22_809
	;; [unrolled: 5-line block ×4, first 2 shown]
; %bb.804:
	v_mov_b32_e32 v2, 46
	v_cmp_eq_u16_sdwa s[0:1], v17, v2 src0_sel:BYTE_0 src1_sel:DWORD
	s_mov_b64 s[38:39], 0
	s_and_b64 vcc, exec, s[0:1]
	s_cbranch_vccz .LBB22_814
; %bb.805:
	global_load_dword v2, v[0:1], off
	s_mov_b64 s[0:1], -1
	s_waitcnt vmcnt(0)
	v_lshlrev_b32_e32 v2, 16, v2
	v_cvt_f64_f32_e32 v[2:3], v2
	s_branch .LBB22_815
.LBB22_806:
	s_mov_b64 s[38:39], -1
	s_mov_b64 s[0:1], 0
                                        ; implicit-def: $vgpr2_vgpr3
	s_mov_b64 s[36:37], s[24:25]
	s_branch .LBB22_880
.LBB22_807:
	s_mov_b64 s[34:35], 0
	s_branch .LBB22_542
.LBB22_808:
	s_mov_b64 s[38:39], -1
	s_mov_b64 s[0:1], 0
	s_mov_b64 s[36:37], s[24:25]
                                        ; implicit-def: $vgpr2_vgpr3
	s_branch .LBB22_844
.LBB22_809:
	s_mov_b64 s[38:39], -1
	s_mov_b64 s[0:1], 0
	s_mov_b64 s[36:37], s[24:25]
                                        ; implicit-def: $vgpr2_vgpr3
	s_branch .LBB22_825
.LBB22_810:
	s_mov_b64 s[38:39], -1
	s_mov_b64 s[0:1], 0
	s_mov_b64 s[36:37], s[24:25]
                                        ; implicit-def: $vgpr2_vgpr3
	s_branch .LBB22_820
.LBB22_811:
	s_mov_b64 s[38:39], -1
	s_mov_b64 s[0:1], 0
	s_mov_b64 s[36:37], s[24:25]
                                        ; implicit-def: $vgpr2_vgpr3
	s_branch .LBB22_815
.LBB22_812:
	s_or_saveexec_b64 s[36:37], s[36:37]
                                        ; implicit-def: $sgpr15
	s_xor_b64 exec, exec, s[36:37]
	s_cbranch_execz .LBB22_707
.LBB22_813:
	s_mov_b32 s15, 0x46000000
	v_add_f32_e64 v3, |v2|, s15
	v_and_b32_e32 v3, 0xff, v3
	v_cmp_ne_u32_e32 vcc, 0, v3
	s_andn2_b64 s[34:35], s[34:35], exec
	s_and_b64 s[38:39], vcc, exec
	s_mov_b32 s15, 0
	s_or_b64 s[34:35], s[34:35], s[38:39]
	s_or_b64 exec, exec, s[36:37]
	v_mov_b32_e32 v6, s15
	s_and_saveexec_b64 s[36:37], s[34:35]
	s_cbranch_execnz .LBB22_708
	s_branch .LBB22_709
.LBB22_814:
	s_mov_b64 s[36:37], -1
                                        ; implicit-def: $vgpr2_vgpr3
	s_mov_b64 s[0:1], 0
.LBB22_815:
	s_and_b64 vcc, exec, s[38:39]
	s_cbranch_vccz .LBB22_819
; %bb.816:
	v_mov_b32_e32 v2, 44
	v_cmp_eq_u16_sdwa s[36:37], v17, v2 src0_sel:BYTE_0 src1_sel:DWORD
	s_and_b64 vcc, exec, s[36:37]
	s_cbranch_vccz .LBB22_818
; %bb.817:
	global_load_ubyte v4, v[0:1], off
	s_movk_i32 s15, 0xff
	v_bfrev_b32_e32 v5, 4
	v_mov_b32_e32 v6, 0x7ff80000
	v_bfrev_b32_e32 v7, 28
	s_mov_b64 s[0:1], -1
	s_mov_b64 s[36:37], 0
	s_waitcnt vmcnt(0)
	v_lshlrev_b32_e32 v2, 23, v4
	v_cvt_f64_f32_e32 v[2:3], v2
	v_cmp_ne_u32_e32 vcc, s15, v4
	v_cndmask_b32_e32 v2, v5, v2, vcc
	v_cndmask_b32_e32 v3, v6, v3, vcc
	v_cmp_ne_u32_e32 vcc, 0, v4
	v_cndmask_b32_e32 v3, v7, v3, vcc
	v_cndmask_b32_e32 v2, 0, v2, vcc
	s_branch .LBB22_819
.LBB22_818:
	s_mov_b64 s[36:37], -1
                                        ; implicit-def: $vgpr2_vgpr3
.LBB22_819:
	s_mov_b64 s[38:39], 0
.LBB22_820:
	s_and_b64 vcc, exec, s[38:39]
	s_cbranch_vccz .LBB22_824
; %bb.821:
	v_mov_b32_e32 v2, 29
	v_cmp_eq_u16_sdwa s[36:37], v17, v2 src0_sel:BYTE_0 src1_sel:DWORD
	s_and_b64 vcc, exec, s[36:37]
	s_cbranch_vccz .LBB22_823
; %bb.822:
	global_load_dwordx2 v[2:3], v[0:1], off
	s_mov_b64 s[0:1], -1
	s_mov_b64 s[36:37], 0
	s_mov_b64 s[38:39], 0
	s_waitcnt vmcnt(0)
	v_cvt_f64_u32_e32 v[4:5], v3
	v_cvt_f64_u32_e32 v[2:3], v2
	v_ldexp_f64 v[4:5], v[4:5], 32
	v_add_f64 v[2:3], v[4:5], v[2:3]
	s_branch .LBB22_825
.LBB22_823:
	s_mov_b64 s[36:37], -1
                                        ; implicit-def: $vgpr2_vgpr3
.LBB22_824:
	s_mov_b64 s[38:39], 0
.LBB22_825:
	s_and_b64 vcc, exec, s[38:39]
	s_cbranch_vccz .LBB22_843
; %bb.826:
	v_mov_b32_e32 v2, 27
	v_cmp_lt_i16_sdwa s[0:1], v17, v2 src0_sel:BYTE_0 src1_sel:DWORD
	s_and_b64 vcc, exec, s[0:1]
	s_cbranch_vccnz .LBB22_829
; %bb.827:
	v_cmp_gt_i16_sdwa s[0:1], v17, v2 src0_sel:BYTE_0 src1_sel:DWORD
	s_and_b64 vcc, exec, s[0:1]
	s_cbranch_vccz .LBB22_830
; %bb.828:
	global_load_dword v2, v[0:1], off
	s_mov_b64 s[0:1], 0
	s_waitcnt vmcnt(0)
	v_cvt_f64_u32_e32 v[2:3], v2
	s_branch .LBB22_831
.LBB22_829:
	s_mov_b64 s[0:1], -1
                                        ; implicit-def: $vgpr2_vgpr3
	s_branch .LBB22_834
.LBB22_830:
	s_mov_b64 s[0:1], -1
                                        ; implicit-def: $vgpr2_vgpr3
.LBB22_831:
	s_andn2_b64 vcc, exec, s[0:1]
	s_cbranch_vccnz .LBB22_833
; %bb.832:
	global_load_ushort v2, v[0:1], off
	s_waitcnt vmcnt(0)
	v_cvt_f64_u32_e32 v[2:3], v2
.LBB22_833:
	s_mov_b64 s[0:1], 0
.LBB22_834:
	s_andn2_b64 vcc, exec, s[0:1]
	s_cbranch_vccnz .LBB22_842
; %bb.835:
	global_load_ubyte v4, v[0:1], off
	s_movk_i32 s0, 0x7f
                                        ; implicit-def: $sgpr38_sgpr39
	s_waitcnt vmcnt(0)
	v_cmp_lt_i16_e32 vcc, s0, v4
	s_mov_b64 s[0:1], 0
	s_and_saveexec_b64 s[40:41], vcc
	s_xor_b64 s[40:41], exec, s[40:41]
	s_cbranch_execz .LBB22_856
; %bb.836:
	s_movk_i32 s0, 0x80
	v_cmp_eq_u16_e32 vcc, s0, v4
	s_mov_b64 s[42:43], -1
                                        ; implicit-def: $sgpr38_sgpr39
	s_and_saveexec_b64 s[0:1], vcc
; %bb.837:
	s_mov_b32 s39, 0x7ff80000
	s_brev_b32 s38, 4
	s_xor_b64 s[42:43], exec, -1
; %bb.838:
	s_or_b64 exec, exec, s[0:1]
	s_and_b64 s[0:1], s[42:43], exec
	s_or_saveexec_b64 s[40:41], s[40:41]
	v_pk_mov_b32 v[2:3], s[38:39], s[38:39] op_sel:[0,1]
	s_xor_b64 exec, exec, s[40:41]
	s_cbranch_execnz .LBB22_857
.LBB22_839:
	s_or_b64 exec, exec, s[40:41]
	s_and_saveexec_b64 s[38:39], s[0:1]
	s_cbranch_execz .LBB22_841
.LBB22_840:
	v_and_b32_e32 v3, 0xffff, v4
	v_lshlrev_b32_e32 v2, 24, v4
	v_and_b32_e32 v4, 7, v3
	v_ffbh_u32_e32 v6, v4
	v_min_u32_e32 v6, 32, v6
	v_subrev_u32_e32 v7, 28, v6
	v_bfe_u32 v5, v3, 3, 4
	v_lshlrev_b32_e32 v3, v7, v3
	v_sub_u32_e32 v6, 29, v6
	v_and_b32_e32 v3, 7, v3
	v_cmp_eq_u32_e32 vcc, 0, v5
	v_cndmask_b32_e32 v5, v5, v6, vcc
	v_cndmask_b32_e32 v3, v4, v3, vcc
	v_mov_b32_e32 v4, 0x3b800000
	v_lshlrev_b32_e32 v3, 20, v3
	v_and_b32_e32 v2, 0x80000000, v2
	v_lshl_add_u32 v4, v5, 23, v4
	v_or3_b32 v2, v2, v4, v3
	v_cvt_f64_f32_e32 v[2:3], v2
.LBB22_841:
	s_or_b64 exec, exec, s[38:39]
.LBB22_842:
	s_mov_b64 s[0:1], -1
.LBB22_843:
	s_mov_b64 s[38:39], 0
.LBB22_844:
	s_and_b64 vcc, exec, s[38:39]
	s_cbranch_vccz .LBB22_879
; %bb.845:
	v_mov_b32_e32 v2, 22
	v_cmp_gt_i16_sdwa s[38:39], v17, v2 src0_sel:BYTE_0 src1_sel:DWORD
	s_and_b64 vcc, exec, s[38:39]
	s_cbranch_vccz .LBB22_855
; %bb.846:
	v_mov_b32_e32 v2, 24
	v_cmp_lt_i16_sdwa s[0:1], v17, v2 src0_sel:BYTE_0 src1_sel:DWORD
	s_and_b64 vcc, exec, s[0:1]
	s_cbranch_vccnz .LBB22_858
; %bb.847:
	v_cmp_gt_i16_sdwa s[0:1], v17, v2 src0_sel:BYTE_0 src1_sel:DWORD
	s_and_b64 vcc, exec, s[0:1]
	s_cbranch_vccz .LBB22_859
; %bb.848:
	global_load_ubyte v4, v[0:1], off
	s_movk_i32 s0, 0x7f
                                        ; implicit-def: $sgpr38_sgpr39
	s_waitcnt vmcnt(0)
	v_cmp_lt_i16_e32 vcc, s0, v4
	s_mov_b64 s[0:1], 0
	s_and_saveexec_b64 s[40:41], vcc
	s_xor_b64 s[40:41], exec, s[40:41]
	s_cbranch_execz .LBB22_871
; %bb.849:
	s_movk_i32 s0, 0x80
	v_cmp_eq_u16_e32 vcc, s0, v4
	s_mov_b64 s[42:43], -1
                                        ; implicit-def: $sgpr38_sgpr39
	s_and_saveexec_b64 s[0:1], vcc
; %bb.850:
	s_mov_b32 s39, 0x7ff80000
	s_brev_b32 s38, 4
	s_xor_b64 s[42:43], exec, -1
; %bb.851:
	s_or_b64 exec, exec, s[0:1]
	s_and_b64 s[0:1], s[42:43], exec
	s_or_saveexec_b64 s[40:41], s[40:41]
	v_pk_mov_b32 v[2:3], s[38:39], s[38:39] op_sel:[0,1]
	s_xor_b64 exec, exec, s[40:41]
	s_cbranch_execnz .LBB22_872
.LBB22_852:
	s_or_b64 exec, exec, s[40:41]
	s_and_saveexec_b64 s[38:39], s[0:1]
	s_cbranch_execz .LBB22_854
.LBB22_853:
	v_and_b32_e32 v3, 0xffff, v4
	v_lshlrev_b32_e32 v2, 24, v4
	v_and_b32_e32 v4, 3, v3
	v_ffbh_u32_e32 v6, v4
	v_min_u32_e32 v6, 32, v6
	v_subrev_u32_e32 v7, 29, v6
	v_bfe_u32 v5, v3, 2, 5
	v_lshlrev_b32_e32 v3, v7, v3
	v_sub_u32_e32 v6, 30, v6
	v_and_b32_e32 v3, 3, v3
	v_cmp_eq_u32_e32 vcc, 0, v5
	v_cndmask_b32_e32 v5, v5, v6, vcc
	v_cndmask_b32_e32 v3, v4, v3, vcc
	v_mov_b32_e32 v4, 0x37800000
	v_lshlrev_b32_e32 v3, 21, v3
	v_and_b32_e32 v2, 0x80000000, v2
	v_lshl_add_u32 v4, v5, 23, v4
	v_or3_b32 v2, v2, v4, v3
	v_cvt_f64_f32_e32 v[2:3], v2
.LBB22_854:
	s_or_b64 exec, exec, s[38:39]
	s_mov_b64 s[0:1], 0
	s_branch .LBB22_860
.LBB22_855:
	s_mov_b64 s[38:39], -1
                                        ; implicit-def: $vgpr2_vgpr3
	s_branch .LBB22_866
.LBB22_856:
	s_or_saveexec_b64 s[40:41], s[40:41]
	v_pk_mov_b32 v[2:3], s[38:39], s[38:39] op_sel:[0,1]
	s_xor_b64 exec, exec, s[40:41]
	s_cbranch_execz .LBB22_839
.LBB22_857:
	v_cmp_ne_u16_e32 vcc, 0, v4
	s_andn2_b64 s[0:1], s[0:1], exec
	s_and_b64 s[38:39], vcc, exec
	v_pk_mov_b32 v[2:3], 0, 0
	s_or_b64 s[0:1], s[0:1], s[38:39]
	s_or_b64 exec, exec, s[40:41]
	s_and_saveexec_b64 s[38:39], s[0:1]
	s_cbranch_execnz .LBB22_840
	s_branch .LBB22_841
.LBB22_858:
	s_mov_b64 s[0:1], -1
                                        ; implicit-def: $vgpr2_vgpr3
	s_branch .LBB22_863
.LBB22_859:
	s_mov_b64 s[0:1], -1
                                        ; implicit-def: $vgpr2_vgpr3
.LBB22_860:
	s_and_b64 vcc, exec, s[0:1]
	s_cbranch_vccz .LBB22_862
; %bb.861:
	global_load_ubyte v2, v[0:1], off
	s_mov_b32 s0, 0x7f800000
	s_waitcnt vmcnt(0)
	v_lshlrev_b32_e32 v2, 24, v2
	v_and_b32_e32 v3, 0x7f000000, v2
	v_ffbh_u32_e32 v4, v3
	v_min_u32_e32 v4, 32, v4
	v_sub_u32_e64 v4, v4, 4 clamp
	v_lshlrev_b32_e32 v6, v4, v3
	v_lshlrev_b32_e32 v4, 23, v4
	v_lshrrev_b32_e32 v6, 4, v6
	v_add_u32_e32 v5, 0x1000000, v3
	v_sub_u32_e32 v4, v6, v4
	v_ashrrev_i32_e32 v5, 8, v5
	v_add_u32_e32 v4, 0x3c000000, v4
	v_and_or_b32 v4, v5, s0, v4
	v_cmp_ne_u32_e32 vcc, 0, v3
	v_cndmask_b32_e32 v3, 0, v4, vcc
	s_brev_b32 s0, 1
	v_and_or_b32 v2, v2, s0, v3
	v_cvt_f64_f32_e32 v[2:3], v2
.LBB22_862:
	s_mov_b64 s[0:1], 0
.LBB22_863:
	s_andn2_b64 vcc, exec, s[0:1]
	s_cbranch_vccnz .LBB22_865
; %bb.864:
	global_load_ubyte v2, v[0:1], off
	s_movk_i32 s0, 0x7f00
	s_brev_b32 s1, 16
	s_waitcnt vmcnt(0)
	v_lshlrev_b16_e32 v3, 8, v2
	v_lshlrev_b32_e32 v2, 25, v2
	v_lshrrev_b32_e32 v4, 4, v2
	v_and_or_b32 v5, v3, s0, 0.5
	v_or_b32_e32 v4, 0x70000000, v4
	v_add_f32_e32 v5, -0.5, v5
	v_mul_f32_e32 v4, 0x7800000, v4
	v_cmp_gt_u32_e32 vcc, s1, v2
	v_bfe_i32 v3, v3, 0, 16
	v_cndmask_b32_e32 v2, v4, v5, vcc
	s_brev_b32 s0, 1
	v_and_or_b32 v2, v3, s0, v2
	v_cvt_f64_f32_e32 v[2:3], v2
.LBB22_865:
	s_mov_b64 s[38:39], 0
	s_mov_b64 s[0:1], -1
.LBB22_866:
	s_andn2_b64 vcc, exec, s[38:39]
	s_cbranch_vccnz .LBB22_879
; %bb.867:
	v_mov_b32_e32 v2, 14
	v_cmp_gt_i16_sdwa s[38:39], v17, v2 src0_sel:BYTE_0 src1_sel:DWORD
	s_and_b64 vcc, exec, s[38:39]
	s_cbranch_vccz .LBB22_870
; %bb.868:
	v_mov_b32_e32 v2, 15
	v_cmp_eq_u16_sdwa s[36:37], v17, v2 src0_sel:BYTE_0 src1_sel:DWORD
	s_and_b64 vcc, exec, s[36:37]
	s_cbranch_vccz .LBB22_873
; %bb.869:
	global_load_ushort v2, v[0:1], off
	s_mov_b64 s[0:1], -1
	s_mov_b64 s[36:37], 0
	s_waitcnt vmcnt(0)
	v_lshlrev_b32_e32 v2, 16, v2
	v_cvt_f64_f32_e32 v[2:3], v2
	s_branch .LBB22_874
.LBB22_870:
	s_mov_b64 s[38:39], -1
                                        ; implicit-def: $vgpr2_vgpr3
	s_branch .LBB22_875
.LBB22_871:
	s_or_saveexec_b64 s[40:41], s[40:41]
	v_pk_mov_b32 v[2:3], s[38:39], s[38:39] op_sel:[0,1]
	s_xor_b64 exec, exec, s[40:41]
	s_cbranch_execz .LBB22_852
.LBB22_872:
	v_cmp_ne_u16_e32 vcc, 0, v4
	s_andn2_b64 s[0:1], s[0:1], exec
	s_and_b64 s[38:39], vcc, exec
	v_pk_mov_b32 v[2:3], 0, 0
	s_or_b64 s[0:1], s[0:1], s[38:39]
	s_or_b64 exec, exec, s[40:41]
	s_and_saveexec_b64 s[38:39], s[0:1]
	s_cbranch_execnz .LBB22_853
	s_branch .LBB22_854
.LBB22_873:
	s_mov_b64 s[36:37], -1
                                        ; implicit-def: $vgpr2_vgpr3
.LBB22_874:
	s_mov_b64 s[38:39], 0
.LBB22_875:
	s_and_b64 vcc, exec, s[38:39]
	s_cbranch_vccz .LBB22_879
; %bb.876:
	v_mov_b32_e32 v2, 11
	v_cmp_eq_u16_sdwa s[36:37], v17, v2 src0_sel:BYTE_0 src1_sel:DWORD
	s_and_b64 vcc, exec, s[36:37]
	s_cbranch_vccz .LBB22_878
; %bb.877:
	global_load_ubyte v3, v[0:1], off
	v_mov_b32_e32 v4, 0x3ff00000
	v_mov_b32_e32 v2, 0
	s_mov_b64 s[0:1], -1
	s_mov_b64 s[36:37], 0
	s_waitcnt vmcnt(0)
	v_cmp_ne_u16_e32 vcc, 0, v3
	v_cndmask_b32_e32 v3, 0, v4, vcc
	s_branch .LBB22_879
.LBB22_878:
	s_mov_b64 s[36:37], -1
                                        ; implicit-def: $vgpr2_vgpr3
.LBB22_879:
	s_mov_b64 s[38:39], 0
.LBB22_880:
	s_and_b64 vcc, exec, s[38:39]
	s_cbranch_vccz .LBB22_929
; %bb.881:
	v_mov_b32_e32 v2, 5
	v_cmp_lt_i16_sdwa s[0:1], v17, v2 src0_sel:BYTE_0 src1_sel:DWORD
	s_and_b64 vcc, exec, s[0:1]
	s_cbranch_vccnz .LBB22_886
; %bb.882:
	v_mov_b32_e32 v2, 8
	v_cmp_lt_i16_sdwa s[0:1], v17, v2 src0_sel:BYTE_0 src1_sel:DWORD
	s_and_b64 vcc, exec, s[0:1]
	s_cbranch_vccnz .LBB22_887
	;; [unrolled: 5-line block ×3, first 2 shown]
; %bb.884:
	v_cmp_gt_i16_sdwa s[0:1], v17, v2 src0_sel:BYTE_0 src1_sel:DWORD
	s_and_b64 vcc, exec, s[0:1]
	s_cbranch_vccz .LBB22_889
; %bb.885:
	global_load_dwordx2 v[2:3], v[0:1], off
	s_mov_b64 s[0:1], 0
	s_branch .LBB22_890
.LBB22_886:
	s_mov_b64 s[0:1], -1
                                        ; implicit-def: $vgpr2_vgpr3
	s_branch .LBB22_908
.LBB22_887:
	s_mov_b64 s[0:1], -1
                                        ; implicit-def: $vgpr2_vgpr3
	s_branch .LBB22_896
.LBB22_888:
	s_mov_b64 s[0:1], -1
                                        ; implicit-def: $vgpr2_vgpr3
	s_branch .LBB22_893
.LBB22_889:
	s_mov_b64 s[0:1], -1
                                        ; implicit-def: $vgpr2_vgpr3
.LBB22_890:
	s_andn2_b64 vcc, exec, s[0:1]
	s_cbranch_vccnz .LBB22_892
; %bb.891:
	global_load_dword v2, v[0:1], off
	s_waitcnt vmcnt(0)
	v_cvt_f64_f32_e32 v[2:3], v2
.LBB22_892:
	s_mov_b64 s[0:1], 0
.LBB22_893:
	s_andn2_b64 vcc, exec, s[0:1]
	s_cbranch_vccnz .LBB22_895
; %bb.894:
	global_load_dword v2, v[0:1], off
	s_waitcnt vmcnt(0)
	v_cvt_f32_f16_e32 v2, v2
	v_cvt_f64_f32_e32 v[2:3], v2
.LBB22_895:
	s_mov_b64 s[0:1], 0
.LBB22_896:
	s_andn2_b64 vcc, exec, s[0:1]
	s_cbranch_vccnz .LBB22_907
; %bb.897:
	s_waitcnt vmcnt(0)
	v_mov_b32_e32 v2, 6
	v_cmp_lt_i16_sdwa s[0:1], v17, v2 src0_sel:BYTE_0 src1_sel:DWORD
	s_and_b64 vcc, exec, s[0:1]
	s_cbranch_vccnz .LBB22_900
; %bb.898:
	v_cmp_gt_i16_sdwa s[0:1], v17, v2 src0_sel:BYTE_0 src1_sel:DWORD
	s_and_b64 vcc, exec, s[0:1]
	s_cbranch_vccz .LBB22_901
; %bb.899:
	global_load_dwordx2 v[2:3], v[0:1], off
	s_mov_b64 s[0:1], 0
	s_branch .LBB22_902
.LBB22_900:
	s_mov_b64 s[0:1], -1
                                        ; implicit-def: $vgpr2_vgpr3
	s_branch .LBB22_905
.LBB22_901:
	s_mov_b64 s[0:1], -1
                                        ; implicit-def: $vgpr2_vgpr3
.LBB22_902:
	s_andn2_b64 vcc, exec, s[0:1]
	s_cbranch_vccnz .LBB22_904
; %bb.903:
	global_load_dword v2, v[0:1], off
	s_waitcnt vmcnt(0)
	v_cvt_f64_f32_e32 v[2:3], v2
.LBB22_904:
	s_mov_b64 s[0:1], 0
.LBB22_905:
	s_andn2_b64 vcc, exec, s[0:1]
	s_cbranch_vccnz .LBB22_907
; %bb.906:
	global_load_ushort v2, v[0:1], off
	s_waitcnt vmcnt(0)
	v_cvt_f32_f16_e32 v2, v2
	v_cvt_f64_f32_e32 v[2:3], v2
.LBB22_907:
	s_mov_b64 s[0:1], 0
.LBB22_908:
	s_andn2_b64 vcc, exec, s[0:1]
	s_cbranch_vccnz .LBB22_928
; %bb.909:
	s_waitcnt vmcnt(0)
	v_mov_b32_e32 v2, 2
	v_cmp_lt_i16_sdwa s[0:1], v17, v2 src0_sel:BYTE_0 src1_sel:DWORD
	s_and_b64 vcc, exec, s[0:1]
	s_cbranch_vccnz .LBB22_913
; %bb.910:
	v_mov_b32_e32 v2, 3
	v_cmp_lt_i16_sdwa s[0:1], v17, v2 src0_sel:BYTE_0 src1_sel:DWORD
	s_and_b64 vcc, exec, s[0:1]
	s_cbranch_vccnz .LBB22_914
; %bb.911:
	v_cmp_gt_i16_sdwa s[0:1], v17, v2 src0_sel:BYTE_0 src1_sel:DWORD
	s_and_b64 vcc, exec, s[0:1]
	s_cbranch_vccz .LBB22_915
; %bb.912:
	global_load_dwordx2 v[2:3], v[0:1], off
	s_mov_b64 s[0:1], 0
	s_waitcnt vmcnt(0)
	v_cvt_f64_i32_e32 v[4:5], v3
	v_cvt_f64_u32_e32 v[2:3], v2
	v_ldexp_f64 v[4:5], v[4:5], 32
	v_add_f64 v[2:3], v[4:5], v[2:3]
	s_branch .LBB22_916
.LBB22_913:
	s_mov_b64 s[0:1], -1
                                        ; implicit-def: $vgpr2_vgpr3
	s_branch .LBB22_922
.LBB22_914:
	s_mov_b64 s[0:1], -1
                                        ; implicit-def: $vgpr2_vgpr3
	s_branch .LBB22_919
.LBB22_915:
	s_mov_b64 s[0:1], -1
                                        ; implicit-def: $vgpr2_vgpr3
.LBB22_916:
	s_andn2_b64 vcc, exec, s[0:1]
	s_cbranch_vccnz .LBB22_918
; %bb.917:
	global_load_dword v2, v[0:1], off
	s_waitcnt vmcnt(0)
	v_cvt_f64_i32_e32 v[2:3], v2
.LBB22_918:
	s_mov_b64 s[0:1], 0
.LBB22_919:
	s_andn2_b64 vcc, exec, s[0:1]
	s_cbranch_vccnz .LBB22_921
; %bb.920:
	global_load_sshort v2, v[0:1], off
	s_waitcnt vmcnt(0)
	v_cvt_f64_i32_e32 v[2:3], v2
.LBB22_921:
	s_mov_b64 s[0:1], 0
.LBB22_922:
	s_andn2_b64 vcc, exec, s[0:1]
	s_cbranch_vccnz .LBB22_928
; %bb.923:
	v_mov_b32_e32 v2, 0
	v_cmp_gt_i16_sdwa s[0:1], v17, v2 src0_sel:BYTE_0 src1_sel:DWORD
	s_and_b64 vcc, exec, s[0:1]
	s_cbranch_vccz .LBB22_925
; %bb.924:
	global_load_sbyte v2, v[0:1], off
	s_mov_b64 s[0:1], 0
	s_waitcnt vmcnt(0)
	v_cvt_f64_i32_e32 v[2:3], v2
	s_branch .LBB22_926
.LBB22_925:
	s_mov_b64 s[0:1], -1
                                        ; implicit-def: $vgpr2_vgpr3
.LBB22_926:
	s_andn2_b64 vcc, exec, s[0:1]
	s_cbranch_vccnz .LBB22_928
; %bb.927:
	global_load_ubyte v0, v[0:1], off
	s_waitcnt vmcnt(0)
	v_cvt_f64_u32_e32 v[2:3], v0
.LBB22_928:
	s_mov_b64 s[0:1], -1
.LBB22_929:
	s_andn2_b64 vcc, exec, s[0:1]
	s_cbranch_vccnz .LBB22_937
; %bb.930:
	v_mul_lo_u32 v0, v15, s14
	v_ashrrev_i32_e32 v1, 31, v0
	v_mov_b32_e32 v4, s3
	v_add_co_u32_e32 v0, vcc, s2, v0
	v_addc_co_u32_e32 v1, vcc, v4, v1, vcc
	v_mov_b32_e32 v4, 11
	v_cmp_lt_i16_sdwa s[0:1], v16, v4 src0_sel:BYTE_0 src1_sel:DWORD
	s_and_b64 vcc, exec, s[0:1]
	s_cbranch_vccnz .LBB22_939
; %bb.931:
	v_mov_b32_e32 v4, 25
	v_cmp_gt_i16_sdwa s[0:1], v16, v4 src0_sel:BYTE_0 src1_sel:DWORD
	s_and_b64 vcc, exec, s[0:1]
	s_cbranch_vccz .LBB22_940
; %bb.932:
	v_mov_b32_e32 v4, 28
	v_cmp_gt_i16_sdwa s[0:1], v16, v4 src0_sel:BYTE_0 src1_sel:DWORD
	s_and_b64 vcc, exec, s[0:1]
	s_cbranch_vccz .LBB22_941
	;; [unrolled: 5-line block ×4, first 2 shown]
; %bb.935:
	v_mov_b32_e32 v4, 46
	v_cmp_eq_u16_sdwa s[0:1], v16, v4 src0_sel:BYTE_0 src1_sel:DWORD
	s_mov_b64 s[40:41], 0
	s_and_b64 vcc, exec, s[0:1]
	s_cbranch_vccz .LBB22_946
; %bb.936:
	global_load_dword v4, v[0:1], off
	s_mov_b64 s[0:1], -1
	s_mov_b64 s[38:39], 0
	s_waitcnt vmcnt(0)
	v_lshlrev_b32_e32 v4, 16, v4
	v_cvt_f64_f32_e32 v[4:5], v4
	s_branch .LBB22_947
.LBB22_937:
	s_mov_b64 s[42:43], 0
	s_mov_b64 s[0:1], s[28:29]
	;; [unrolled: 1-line block ×3, first 2 shown]
.LBB22_938:
                                        ; implicit-def: $vgpr15
	s_branch .LBB22_1197
.LBB22_939:
	s_mov_b64 s[40:41], -1
	s_mov_b64 s[0:1], 0
                                        ; implicit-def: $vgpr4_vgpr5
	s_mov_b64 s[38:39], s[26:27]
	s_branch .LBB22_1012
.LBB22_940:
	s_mov_b64 s[40:41], -1
	s_mov_b64 s[0:1], 0
	s_mov_b64 s[38:39], s[26:27]
                                        ; implicit-def: $vgpr4_vgpr5
	s_branch .LBB22_976
.LBB22_941:
	s_mov_b64 s[40:41], -1
	s_mov_b64 s[0:1], 0
	s_mov_b64 s[38:39], s[26:27]
                                        ; implicit-def: $vgpr4_vgpr5
	s_branch .LBB22_957
.LBB22_942:
	s_mov_b64 s[40:41], -1
	s_mov_b64 s[0:1], 0
	s_mov_b64 s[38:39], s[26:27]
                                        ; implicit-def: $vgpr4_vgpr5
	s_branch .LBB22_952
.LBB22_943:
	s_mov_b64 s[40:41], -1
	s_mov_b64 s[0:1], 0
	s_mov_b64 s[38:39], s[26:27]
                                        ; implicit-def: $vgpr4_vgpr5
	s_branch .LBB22_947
.LBB22_944:
	s_or_saveexec_b64 s[36:37], s[36:37]
                                        ; implicit-def: $sgpr15
	s_xor_b64 exec, exec, s[36:37]
	s_cbranch_execz .LBB22_720
.LBB22_945:
	s_mov_b32 s15, 0x42800000
	v_add_f32_e64 v3, |v2|, s15
	v_and_b32_e32 v3, 0xff, v3
	v_cmp_ne_u32_e32 vcc, 0, v3
	s_andn2_b64 s[34:35], s[34:35], exec
	s_and_b64 s[38:39], vcc, exec
	s_mov_b32 s15, 0
	s_or_b64 s[34:35], s[34:35], s[38:39]
	s_or_b64 exec, exec, s[36:37]
	v_mov_b32_e32 v6, s15
	s_and_saveexec_b64 s[36:37], s[34:35]
	s_cbranch_execnz .LBB22_721
	s_branch .LBB22_722
.LBB22_946:
	s_mov_b64 s[38:39], -1
                                        ; implicit-def: $vgpr4_vgpr5
	s_mov_b64 s[0:1], 0
.LBB22_947:
	s_and_b64 vcc, exec, s[40:41]
	s_cbranch_vccz .LBB22_951
; %bb.948:
	v_mov_b32_e32 v4, 44
	v_cmp_eq_u16_sdwa s[38:39], v16, v4 src0_sel:BYTE_0 src1_sel:DWORD
	s_and_b64 vcc, exec, s[38:39]
	s_cbranch_vccz .LBB22_950
; %bb.949:
	global_load_ubyte v6, v[0:1], off
	s_movk_i32 s15, 0xff
	v_bfrev_b32_e32 v7, 4
	v_mov_b32_e32 v8, 0x7ff80000
	v_bfrev_b32_e32 v9, 28
	s_mov_b64 s[0:1], -1
	s_mov_b64 s[38:39], 0
	s_waitcnt vmcnt(0)
	v_lshlrev_b32_e32 v4, 23, v6
	v_cvt_f64_f32_e32 v[4:5], v4
	v_cmp_ne_u32_e32 vcc, s15, v6
	v_cndmask_b32_e32 v4, v7, v4, vcc
	v_cndmask_b32_e32 v5, v8, v5, vcc
	v_cmp_ne_u32_e32 vcc, 0, v6
	v_cndmask_b32_e32 v5, v9, v5, vcc
	v_cndmask_b32_e32 v4, 0, v4, vcc
	s_branch .LBB22_951
.LBB22_950:
	s_mov_b64 s[38:39], -1
                                        ; implicit-def: $vgpr4_vgpr5
.LBB22_951:
	s_mov_b64 s[40:41], 0
.LBB22_952:
	s_and_b64 vcc, exec, s[40:41]
	s_cbranch_vccz .LBB22_956
; %bb.953:
	v_mov_b32_e32 v4, 29
	v_cmp_eq_u16_sdwa s[38:39], v16, v4 src0_sel:BYTE_0 src1_sel:DWORD
	s_and_b64 vcc, exec, s[38:39]
	s_cbranch_vccz .LBB22_955
; %bb.954:
	global_load_dwordx2 v[4:5], v[0:1], off
	s_mov_b64 s[0:1], -1
	s_mov_b64 s[38:39], 0
	s_mov_b64 s[40:41], 0
	s_waitcnt vmcnt(0)
	v_cvt_f64_u32_e32 v[6:7], v5
	v_cvt_f64_u32_e32 v[4:5], v4
	v_ldexp_f64 v[6:7], v[6:7], 32
	v_add_f64 v[4:5], v[6:7], v[4:5]
	s_branch .LBB22_957
.LBB22_955:
	s_mov_b64 s[38:39], -1
                                        ; implicit-def: $vgpr4_vgpr5
.LBB22_956:
	s_mov_b64 s[40:41], 0
.LBB22_957:
	s_and_b64 vcc, exec, s[40:41]
	s_cbranch_vccz .LBB22_975
; %bb.958:
	v_mov_b32_e32 v4, 27
	v_cmp_lt_i16_sdwa s[0:1], v16, v4 src0_sel:BYTE_0 src1_sel:DWORD
	s_and_b64 vcc, exec, s[0:1]
	s_cbranch_vccnz .LBB22_961
; %bb.959:
	v_cmp_gt_i16_sdwa s[0:1], v16, v4 src0_sel:BYTE_0 src1_sel:DWORD
	s_and_b64 vcc, exec, s[0:1]
	s_cbranch_vccz .LBB22_962
; %bb.960:
	global_load_dword v4, v[0:1], off
	s_mov_b64 s[0:1], 0
	s_waitcnt vmcnt(0)
	v_cvt_f64_u32_e32 v[4:5], v4
	s_branch .LBB22_963
.LBB22_961:
	s_mov_b64 s[0:1], -1
                                        ; implicit-def: $vgpr4_vgpr5
	s_branch .LBB22_966
.LBB22_962:
	s_mov_b64 s[0:1], -1
                                        ; implicit-def: $vgpr4_vgpr5
.LBB22_963:
	s_andn2_b64 vcc, exec, s[0:1]
	s_cbranch_vccnz .LBB22_965
; %bb.964:
	global_load_ushort v4, v[0:1], off
	s_waitcnt vmcnt(0)
	v_cvt_f64_u32_e32 v[4:5], v4
.LBB22_965:
	s_mov_b64 s[0:1], 0
.LBB22_966:
	s_andn2_b64 vcc, exec, s[0:1]
	s_cbranch_vccnz .LBB22_974
; %bb.967:
	global_load_ubyte v6, v[0:1], off
	s_movk_i32 s0, 0x7f
                                        ; implicit-def: $sgpr40_sgpr41
	s_waitcnt vmcnt(0)
	v_cmp_lt_i16_e32 vcc, s0, v6
	s_mov_b64 s[0:1], 0
	s_and_saveexec_b64 s[42:43], vcc
	s_xor_b64 s[42:43], exec, s[42:43]
	s_cbranch_execz .LBB22_988
; %bb.968:
	s_movk_i32 s0, 0x80
	v_cmp_eq_u16_e32 vcc, s0, v6
	s_mov_b64 s[44:45], -1
                                        ; implicit-def: $sgpr40_sgpr41
	s_and_saveexec_b64 s[0:1], vcc
; %bb.969:
	s_mov_b32 s41, 0x7ff80000
	s_brev_b32 s40, 4
	s_xor_b64 s[44:45], exec, -1
; %bb.970:
	s_or_b64 exec, exec, s[0:1]
	s_and_b64 s[0:1], s[44:45], exec
	s_or_saveexec_b64 s[42:43], s[42:43]
	v_pk_mov_b32 v[4:5], s[40:41], s[40:41] op_sel:[0,1]
	s_xor_b64 exec, exec, s[42:43]
	s_cbranch_execnz .LBB22_989
.LBB22_971:
	s_or_b64 exec, exec, s[42:43]
	s_and_saveexec_b64 s[40:41], s[0:1]
	s_cbranch_execz .LBB22_973
.LBB22_972:
	v_and_b32_e32 v5, 0xffff, v6
	v_lshlrev_b32_e32 v4, 24, v6
	v_and_b32_e32 v6, 7, v5
	v_ffbh_u32_e32 v8, v6
	v_min_u32_e32 v8, 32, v8
	v_subrev_u32_e32 v9, 28, v8
	v_bfe_u32 v7, v5, 3, 4
	v_lshlrev_b32_e32 v5, v9, v5
	v_sub_u32_e32 v8, 29, v8
	v_and_b32_e32 v5, 7, v5
	v_cmp_eq_u32_e32 vcc, 0, v7
	v_cndmask_b32_e32 v7, v7, v8, vcc
	v_cndmask_b32_e32 v5, v6, v5, vcc
	v_mov_b32_e32 v6, 0x3b800000
	v_lshlrev_b32_e32 v5, 20, v5
	v_and_b32_e32 v4, 0x80000000, v4
	v_lshl_add_u32 v6, v7, 23, v6
	v_or3_b32 v4, v4, v6, v5
	v_cvt_f64_f32_e32 v[4:5], v4
.LBB22_973:
	s_or_b64 exec, exec, s[40:41]
.LBB22_974:
	s_mov_b64 s[0:1], -1
.LBB22_975:
	s_mov_b64 s[40:41], 0
.LBB22_976:
	s_and_b64 vcc, exec, s[40:41]
	s_cbranch_vccz .LBB22_1011
; %bb.977:
	v_mov_b32_e32 v4, 22
	v_cmp_gt_i16_sdwa s[40:41], v16, v4 src0_sel:BYTE_0 src1_sel:DWORD
	s_and_b64 vcc, exec, s[40:41]
	s_cbranch_vccz .LBB22_987
; %bb.978:
	v_mov_b32_e32 v4, 24
	v_cmp_lt_i16_sdwa s[0:1], v16, v4 src0_sel:BYTE_0 src1_sel:DWORD
	s_and_b64 vcc, exec, s[0:1]
	s_cbranch_vccnz .LBB22_990
; %bb.979:
	v_cmp_gt_i16_sdwa s[0:1], v16, v4 src0_sel:BYTE_0 src1_sel:DWORD
	s_and_b64 vcc, exec, s[0:1]
	s_cbranch_vccz .LBB22_991
; %bb.980:
	global_load_ubyte v6, v[0:1], off
	s_movk_i32 s0, 0x7f
                                        ; implicit-def: $sgpr40_sgpr41
	s_waitcnt vmcnt(0)
	v_cmp_lt_i16_e32 vcc, s0, v6
	s_mov_b64 s[0:1], 0
	s_and_saveexec_b64 s[42:43], vcc
	s_xor_b64 s[42:43], exec, s[42:43]
	s_cbranch_execz .LBB22_1003
; %bb.981:
	s_movk_i32 s0, 0x80
	v_cmp_eq_u16_e32 vcc, s0, v6
	s_mov_b64 s[44:45], -1
                                        ; implicit-def: $sgpr40_sgpr41
	s_and_saveexec_b64 s[0:1], vcc
; %bb.982:
	s_mov_b32 s41, 0x7ff80000
	s_brev_b32 s40, 4
	s_xor_b64 s[44:45], exec, -1
; %bb.983:
	s_or_b64 exec, exec, s[0:1]
	s_and_b64 s[0:1], s[44:45], exec
	s_or_saveexec_b64 s[42:43], s[42:43]
	v_pk_mov_b32 v[4:5], s[40:41], s[40:41] op_sel:[0,1]
	s_xor_b64 exec, exec, s[42:43]
	s_cbranch_execnz .LBB22_1004
.LBB22_984:
	s_or_b64 exec, exec, s[42:43]
	s_and_saveexec_b64 s[40:41], s[0:1]
	s_cbranch_execz .LBB22_986
.LBB22_985:
	v_and_b32_e32 v5, 0xffff, v6
	v_lshlrev_b32_e32 v4, 24, v6
	v_and_b32_e32 v6, 3, v5
	v_ffbh_u32_e32 v8, v6
	v_min_u32_e32 v8, 32, v8
	v_subrev_u32_e32 v9, 29, v8
	v_bfe_u32 v7, v5, 2, 5
	v_lshlrev_b32_e32 v5, v9, v5
	v_sub_u32_e32 v8, 30, v8
	v_and_b32_e32 v5, 3, v5
	v_cmp_eq_u32_e32 vcc, 0, v7
	v_cndmask_b32_e32 v7, v7, v8, vcc
	v_cndmask_b32_e32 v5, v6, v5, vcc
	v_mov_b32_e32 v6, 0x37800000
	v_lshlrev_b32_e32 v5, 21, v5
	v_and_b32_e32 v4, 0x80000000, v4
	v_lshl_add_u32 v6, v7, 23, v6
	v_or3_b32 v4, v4, v6, v5
	v_cvt_f64_f32_e32 v[4:5], v4
.LBB22_986:
	s_or_b64 exec, exec, s[40:41]
	s_mov_b64 s[0:1], 0
	s_branch .LBB22_992
.LBB22_987:
	s_mov_b64 s[40:41], -1
                                        ; implicit-def: $vgpr4_vgpr5
	s_branch .LBB22_998
.LBB22_988:
	s_or_saveexec_b64 s[42:43], s[42:43]
	v_pk_mov_b32 v[4:5], s[40:41], s[40:41] op_sel:[0,1]
	s_xor_b64 exec, exec, s[42:43]
	s_cbranch_execz .LBB22_971
.LBB22_989:
	v_cmp_ne_u16_e32 vcc, 0, v6
	s_andn2_b64 s[0:1], s[0:1], exec
	s_and_b64 s[40:41], vcc, exec
	v_pk_mov_b32 v[4:5], 0, 0
	s_or_b64 s[0:1], s[0:1], s[40:41]
	s_or_b64 exec, exec, s[42:43]
	s_and_saveexec_b64 s[40:41], s[0:1]
	s_cbranch_execnz .LBB22_972
	s_branch .LBB22_973
.LBB22_990:
	s_mov_b64 s[0:1], -1
                                        ; implicit-def: $vgpr4_vgpr5
	s_branch .LBB22_995
.LBB22_991:
	s_mov_b64 s[0:1], -1
                                        ; implicit-def: $vgpr4_vgpr5
.LBB22_992:
	s_and_b64 vcc, exec, s[0:1]
	s_cbranch_vccz .LBB22_994
; %bb.993:
	global_load_ubyte v4, v[0:1], off
	s_mov_b32 s0, 0x7f800000
	s_waitcnt vmcnt(0)
	v_lshlrev_b32_e32 v4, 24, v4
	v_and_b32_e32 v5, 0x7f000000, v4
	v_ffbh_u32_e32 v6, v5
	v_min_u32_e32 v6, 32, v6
	v_sub_u32_e64 v6, v6, 4 clamp
	v_lshlrev_b32_e32 v8, v6, v5
	v_lshlrev_b32_e32 v6, 23, v6
	v_lshrrev_b32_e32 v8, 4, v8
	v_add_u32_e32 v7, 0x1000000, v5
	v_sub_u32_e32 v6, v8, v6
	v_ashrrev_i32_e32 v7, 8, v7
	v_add_u32_e32 v6, 0x3c000000, v6
	v_and_or_b32 v6, v7, s0, v6
	v_cmp_ne_u32_e32 vcc, 0, v5
	v_cndmask_b32_e32 v5, 0, v6, vcc
	s_brev_b32 s0, 1
	v_and_or_b32 v4, v4, s0, v5
	v_cvt_f64_f32_e32 v[4:5], v4
.LBB22_994:
	s_mov_b64 s[0:1], 0
.LBB22_995:
	s_andn2_b64 vcc, exec, s[0:1]
	s_cbranch_vccnz .LBB22_997
; %bb.996:
	global_load_ubyte v4, v[0:1], off
	s_movk_i32 s0, 0x7f00
	s_brev_b32 s1, 16
	s_waitcnt vmcnt(0)
	v_lshlrev_b16_e32 v5, 8, v4
	v_lshlrev_b32_e32 v4, 25, v4
	v_lshrrev_b32_e32 v6, 4, v4
	v_and_or_b32 v7, v5, s0, 0.5
	v_or_b32_e32 v6, 0x70000000, v6
	v_add_f32_e32 v7, -0.5, v7
	v_mul_f32_e32 v6, 0x7800000, v6
	v_cmp_gt_u32_e32 vcc, s1, v4
	v_bfe_i32 v5, v5, 0, 16
	v_cndmask_b32_e32 v4, v6, v7, vcc
	s_brev_b32 s0, 1
	v_and_or_b32 v4, v5, s0, v4
	v_cvt_f64_f32_e32 v[4:5], v4
.LBB22_997:
	s_mov_b64 s[40:41], 0
	s_mov_b64 s[0:1], -1
.LBB22_998:
	s_andn2_b64 vcc, exec, s[40:41]
	s_cbranch_vccnz .LBB22_1011
; %bb.999:
	v_mov_b32_e32 v4, 14
	v_cmp_gt_i16_sdwa s[40:41], v16, v4 src0_sel:BYTE_0 src1_sel:DWORD
	s_and_b64 vcc, exec, s[40:41]
	s_cbranch_vccz .LBB22_1002
; %bb.1000:
	v_mov_b32_e32 v4, 15
	v_cmp_eq_u16_sdwa s[38:39], v16, v4 src0_sel:BYTE_0 src1_sel:DWORD
	s_and_b64 vcc, exec, s[38:39]
	s_cbranch_vccz .LBB22_1005
; %bb.1001:
	global_load_ushort v4, v[0:1], off
	s_mov_b64 s[0:1], -1
	s_mov_b64 s[38:39], 0
	s_waitcnt vmcnt(0)
	v_lshlrev_b32_e32 v4, 16, v4
	v_cvt_f64_f32_e32 v[4:5], v4
	s_branch .LBB22_1006
.LBB22_1002:
	s_mov_b64 s[40:41], -1
                                        ; implicit-def: $vgpr4_vgpr5
	s_branch .LBB22_1007
.LBB22_1003:
	s_or_saveexec_b64 s[42:43], s[42:43]
	v_pk_mov_b32 v[4:5], s[40:41], s[40:41] op_sel:[0,1]
	s_xor_b64 exec, exec, s[42:43]
	s_cbranch_execz .LBB22_984
.LBB22_1004:
	v_cmp_ne_u16_e32 vcc, 0, v6
	s_andn2_b64 s[0:1], s[0:1], exec
	s_and_b64 s[40:41], vcc, exec
	v_pk_mov_b32 v[4:5], 0, 0
	s_or_b64 s[0:1], s[0:1], s[40:41]
	s_or_b64 exec, exec, s[42:43]
	s_and_saveexec_b64 s[40:41], s[0:1]
	s_cbranch_execnz .LBB22_985
	s_branch .LBB22_986
.LBB22_1005:
	s_mov_b64 s[38:39], -1
                                        ; implicit-def: $vgpr4_vgpr5
.LBB22_1006:
	s_mov_b64 s[40:41], 0
.LBB22_1007:
	s_and_b64 vcc, exec, s[40:41]
	s_cbranch_vccz .LBB22_1011
; %bb.1008:
	v_mov_b32_e32 v4, 11
	v_cmp_eq_u16_sdwa s[38:39], v16, v4 src0_sel:BYTE_0 src1_sel:DWORD
	s_and_b64 vcc, exec, s[38:39]
	s_cbranch_vccz .LBB22_1010
; %bb.1009:
	global_load_ubyte v5, v[0:1], off
	v_mov_b32_e32 v6, 0x3ff00000
	v_mov_b32_e32 v4, 0
	s_mov_b64 s[0:1], -1
	s_mov_b64 s[38:39], 0
	s_waitcnt vmcnt(0)
	v_cmp_ne_u16_e32 vcc, 0, v5
	v_cndmask_b32_e32 v5, 0, v6, vcc
	s_branch .LBB22_1011
.LBB22_1010:
	s_mov_b64 s[38:39], -1
                                        ; implicit-def: $vgpr4_vgpr5
.LBB22_1011:
	s_mov_b64 s[40:41], 0
.LBB22_1012:
	s_and_b64 vcc, exec, s[40:41]
	s_cbranch_vccz .LBB22_1061
; %bb.1013:
	v_mov_b32_e32 v4, 5
	v_cmp_lt_i16_sdwa s[0:1], v16, v4 src0_sel:BYTE_0 src1_sel:DWORD
	s_and_b64 vcc, exec, s[0:1]
	s_cbranch_vccnz .LBB22_1018
; %bb.1014:
	v_mov_b32_e32 v4, 8
	v_cmp_lt_i16_sdwa s[0:1], v16, v4 src0_sel:BYTE_0 src1_sel:DWORD
	s_and_b64 vcc, exec, s[0:1]
	s_cbranch_vccnz .LBB22_1019
	;; [unrolled: 5-line block ×3, first 2 shown]
; %bb.1016:
	v_cmp_gt_i16_sdwa s[0:1], v16, v4 src0_sel:BYTE_0 src1_sel:DWORD
	s_and_b64 vcc, exec, s[0:1]
	s_cbranch_vccz .LBB22_1021
; %bb.1017:
	global_load_dwordx2 v[4:5], v[0:1], off
	s_mov_b64 s[0:1], 0
	s_branch .LBB22_1022
.LBB22_1018:
	s_mov_b64 s[0:1], -1
                                        ; implicit-def: $vgpr4_vgpr5
	s_branch .LBB22_1040
.LBB22_1019:
	s_mov_b64 s[0:1], -1
                                        ; implicit-def: $vgpr4_vgpr5
	s_branch .LBB22_1028
.LBB22_1020:
	s_mov_b64 s[0:1], -1
                                        ; implicit-def: $vgpr4_vgpr5
	s_branch .LBB22_1025
.LBB22_1021:
	s_mov_b64 s[0:1], -1
                                        ; implicit-def: $vgpr4_vgpr5
.LBB22_1022:
	s_andn2_b64 vcc, exec, s[0:1]
	s_cbranch_vccnz .LBB22_1024
; %bb.1023:
	global_load_dword v4, v[0:1], off
	s_waitcnt vmcnt(0)
	v_cvt_f64_f32_e32 v[4:5], v4
.LBB22_1024:
	s_mov_b64 s[0:1], 0
.LBB22_1025:
	s_andn2_b64 vcc, exec, s[0:1]
	s_cbranch_vccnz .LBB22_1027
; %bb.1026:
	global_load_dword v4, v[0:1], off
	s_waitcnt vmcnt(0)
	v_cvt_f32_f16_e32 v4, v4
	v_cvt_f64_f32_e32 v[4:5], v4
.LBB22_1027:
	s_mov_b64 s[0:1], 0
.LBB22_1028:
	s_andn2_b64 vcc, exec, s[0:1]
	s_cbranch_vccnz .LBB22_1039
; %bb.1029:
	s_waitcnt vmcnt(0)
	v_mov_b32_e32 v4, 6
	v_cmp_lt_i16_sdwa s[0:1], v16, v4 src0_sel:BYTE_0 src1_sel:DWORD
	s_and_b64 vcc, exec, s[0:1]
	s_cbranch_vccnz .LBB22_1032
; %bb.1030:
	v_cmp_gt_i16_sdwa s[0:1], v16, v4 src0_sel:BYTE_0 src1_sel:DWORD
	s_and_b64 vcc, exec, s[0:1]
	s_cbranch_vccz .LBB22_1033
; %bb.1031:
	global_load_dwordx2 v[4:5], v[0:1], off
	s_mov_b64 s[0:1], 0
	s_branch .LBB22_1034
.LBB22_1032:
	s_mov_b64 s[0:1], -1
                                        ; implicit-def: $vgpr4_vgpr5
	s_branch .LBB22_1037
.LBB22_1033:
	s_mov_b64 s[0:1], -1
                                        ; implicit-def: $vgpr4_vgpr5
.LBB22_1034:
	s_andn2_b64 vcc, exec, s[0:1]
	s_cbranch_vccnz .LBB22_1036
; %bb.1035:
	global_load_dword v4, v[0:1], off
	s_waitcnt vmcnt(0)
	v_cvt_f64_f32_e32 v[4:5], v4
.LBB22_1036:
	s_mov_b64 s[0:1], 0
.LBB22_1037:
	s_andn2_b64 vcc, exec, s[0:1]
	s_cbranch_vccnz .LBB22_1039
; %bb.1038:
	global_load_ushort v4, v[0:1], off
	s_waitcnt vmcnt(0)
	v_cvt_f32_f16_e32 v4, v4
	v_cvt_f64_f32_e32 v[4:5], v4
.LBB22_1039:
	s_mov_b64 s[0:1], 0
.LBB22_1040:
	s_andn2_b64 vcc, exec, s[0:1]
	s_cbranch_vccnz .LBB22_1060
; %bb.1041:
	s_waitcnt vmcnt(0)
	v_mov_b32_e32 v4, 2
	v_cmp_lt_i16_sdwa s[0:1], v16, v4 src0_sel:BYTE_0 src1_sel:DWORD
	s_and_b64 vcc, exec, s[0:1]
	s_cbranch_vccnz .LBB22_1045
; %bb.1042:
	v_mov_b32_e32 v4, 3
	v_cmp_lt_i16_sdwa s[0:1], v16, v4 src0_sel:BYTE_0 src1_sel:DWORD
	s_and_b64 vcc, exec, s[0:1]
	s_cbranch_vccnz .LBB22_1046
; %bb.1043:
	v_cmp_gt_i16_sdwa s[0:1], v16, v4 src0_sel:BYTE_0 src1_sel:DWORD
	s_and_b64 vcc, exec, s[0:1]
	s_cbranch_vccz .LBB22_1047
; %bb.1044:
	global_load_dwordx2 v[4:5], v[0:1], off
	s_mov_b64 s[0:1], 0
	s_waitcnt vmcnt(0)
	v_cvt_f64_i32_e32 v[6:7], v5
	v_cvt_f64_u32_e32 v[4:5], v4
	v_ldexp_f64 v[6:7], v[6:7], 32
	v_add_f64 v[4:5], v[6:7], v[4:5]
	s_branch .LBB22_1048
.LBB22_1045:
	s_mov_b64 s[0:1], -1
                                        ; implicit-def: $vgpr4_vgpr5
	s_branch .LBB22_1054
.LBB22_1046:
	s_mov_b64 s[0:1], -1
                                        ; implicit-def: $vgpr4_vgpr5
	s_branch .LBB22_1051
.LBB22_1047:
	s_mov_b64 s[0:1], -1
                                        ; implicit-def: $vgpr4_vgpr5
.LBB22_1048:
	s_andn2_b64 vcc, exec, s[0:1]
	s_cbranch_vccnz .LBB22_1050
; %bb.1049:
	global_load_dword v4, v[0:1], off
	s_waitcnt vmcnt(0)
	v_cvt_f64_i32_e32 v[4:5], v4
.LBB22_1050:
	s_mov_b64 s[0:1], 0
.LBB22_1051:
	s_andn2_b64 vcc, exec, s[0:1]
	s_cbranch_vccnz .LBB22_1053
; %bb.1052:
	global_load_sshort v4, v[0:1], off
	s_waitcnt vmcnt(0)
	v_cvt_f64_i32_e32 v[4:5], v4
.LBB22_1053:
	s_mov_b64 s[0:1], 0
.LBB22_1054:
	s_andn2_b64 vcc, exec, s[0:1]
	s_cbranch_vccnz .LBB22_1060
; %bb.1055:
	v_mov_b32_e32 v4, 0
	v_cmp_gt_i16_sdwa s[0:1], v16, v4 src0_sel:BYTE_0 src1_sel:DWORD
	s_and_b64 vcc, exec, s[0:1]
	s_cbranch_vccz .LBB22_1057
; %bb.1056:
	global_load_sbyte v4, v[0:1], off
	s_mov_b64 s[0:1], 0
	s_waitcnt vmcnt(0)
	v_cvt_f64_i32_e32 v[4:5], v4
	s_branch .LBB22_1058
.LBB22_1057:
	s_mov_b64 s[0:1], -1
                                        ; implicit-def: $vgpr4_vgpr5
.LBB22_1058:
	s_andn2_b64 vcc, exec, s[0:1]
	s_cbranch_vccnz .LBB22_1060
; %bb.1059:
	global_load_ubyte v0, v[0:1], off
	s_waitcnt vmcnt(0)
	v_cvt_f64_u32_e32 v[4:5], v0
.LBB22_1060:
	s_mov_b64 s[0:1], -1
.LBB22_1061:
	s_andn2_b64 vcc, exec, s[0:1]
	s_cbranch_vccnz .LBB22_1081
; %bb.1062:
	s_waitcnt vmcnt(0)
	v_trunc_f64_e32 v[0:1], v[4:5]
	s_movk_i32 s0, 0xffe0
	v_ldexp_f64 v[4:5], v[0:1], s0
	v_floor_f64_e32 v[6:7], v[4:5]
	v_fmac_f64_e32 v[0:1], 0xc1f00000, v[6:7]
	v_cvt_i32_f64_e32 v5, v[6:7]
	v_cvt_u32_f64_e32 v4, v[0:1]
	v_cmp_lt_i64_e32 vcc, -1, v[4:5]
	v_pk_mov_b32 v[0:1], 0, 0
	s_and_saveexec_b64 s[0:1], vcc
	s_cbranch_execz .LBB22_1074
; %bb.1063:
	v_mov_b32_e32 v0, 0
	v_cmp_lt_i64_e32 vcc, 0, v[4:5]
	v_mov_b32_e32 v1, 0x3ff00000
	s_and_saveexec_b64 s[40:41], vcc
	s_cbranch_execz .LBB22_1073
; %bb.1064:
	v_cmp_ne_u64_e32 vcc, 1, v[4:5]
                                        ; implicit-def: $vgpr0_vgpr1
	s_and_saveexec_b64 s[42:43], vcc
	s_xor_b64 s[42:43], exec, s[42:43]
	s_cbranch_execz .LBB22_1070
; %bb.1065:
	s_mov_b64 s[44:45], 0x201
	v_mov_b32_e32 v0, 0
	v_cmp_gt_u64_e32 vcc, s[44:45], v[4:5]
	v_mov_b32_e32 v1, 0x7ff80000
	s_and_saveexec_b64 s[44:45], vcc
	s_cbranch_execz .LBB22_1069
; %bb.1066:
	v_mov_b32_e32 v6, 0
	s_mov_b64 s[48:49], 1
	s_mov_b64 s[46:47], 0
	v_mov_b32_e32 v7, 0x3ff00000
	v_pk_mov_b32 v[0:1], v[2:3], v[2:3] op_sel:[0,1]
.LBB22_1067:                            ; =>This Inner Loop Header: Depth=1
	v_cvt_f64_u32_e32 v[8:9], s49
	v_cvt_f64_u32_e32 v[10:11], s48
	s_add_u32 s48, s48, 1
	v_ldexp_f64 v[8:9], v[8:9], 32
	s_addc_u32 s49, s49, 0
	v_add_f64 v[8:9], v[8:9], v[10:11]
	v_cmp_eq_u64_e32 vcc, s[48:49], v[4:5]
	v_mul_f64 v[8:9], v[6:7], v[8:9]
	s_or_b64 s[46:47], vcc, s[46:47]
	v_pk_mov_b32 v[6:7], v[0:1], v[0:1] op_sel:[0,1]
	v_fma_f64 v[0:1], v[2:3], v[0:1], -v[8:9]
	s_andn2_b64 exec, exec, s[46:47]
	s_cbranch_execnz .LBB22_1067
; %bb.1068:
	s_or_b64 exec, exec, s[46:47]
.LBB22_1069:
	s_or_b64 exec, exec, s[44:45]
                                        ; implicit-def: $vgpr2_vgpr3
.LBB22_1070:
	s_andn2_saveexec_b64 s[42:43], s[42:43]
; %bb.1071:
	v_pk_mov_b32 v[0:1], v[2:3], v[2:3] op_sel:[0,1]
; %bb.1072:
	s_or_b64 exec, exec, s[42:43]
.LBB22_1073:
	s_or_b64 exec, exec, s[40:41]
.LBB22_1074:
	s_or_b64 exec, exec, s[0:1]
	v_mul_lo_u32 v2, v15, s12
	v_ashrrev_i32_e32 v3, 31, v2
	v_mov_b32_e32 v5, s9
	v_add_co_u32_e32 v4, vcc, s8, v2
	v_mov_b32_e32 v2, 11
	v_addc_co_u32_e32 v5, vcc, v5, v3, vcc
	v_cmp_lt_i16_sdwa s[0:1], v14, v2 src0_sel:BYTE_0 src1_sel:DWORD
	s_and_b64 vcc, exec, s[0:1]
	s_cbranch_vccnz .LBB22_1082
; %bb.1075:
	v_mov_b32_e32 v2, 25
	v_cmp_gt_i16_sdwa s[0:1], v14, v2 src0_sel:BYTE_0 src1_sel:DWORD
	s_and_b64 vcc, exec, s[0:1]
	s_cbranch_vccz .LBB22_1083
; %bb.1076:
	v_mov_b32_e32 v2, 28
	v_cmp_gt_i16_sdwa s[0:1], v14, v2 src0_sel:BYTE_0 src1_sel:DWORD
	s_and_b64 vcc, exec, s[0:1]
	s_cbranch_vccz .LBB22_1084
	;; [unrolled: 5-line block ×4, first 2 shown]
; %bb.1079:
	v_mov_b32_e32 v2, 46
	v_cmp_eq_u16_sdwa s[40:41], v14, v2 src0_sel:BYTE_0 src1_sel:DWORD
	s_mov_b64 s[42:43], 0
	s_mov_b64 s[0:1], -1
	s_and_b64 vcc, exec, s[40:41]
	s_mov_b64 s[40:41], 0
	s_cbranch_vccz .LBB22_1087
; %bb.1080:
	v_cvt_f32_f64_e32 v2, v[0:1]
	v_bfe_u32 v3, v2, 16, 1
	s_movk_i32 s0, 0x7fff
	v_add3_u32 v3, v2, v3, s0
	v_lshrrev_b32_e32 v3, 16, v3
	v_mov_b32_e32 v6, 0x7fc0
	v_cmp_o_f32_e32 vcc, v2, v2
	v_cndmask_b32_e32 v2, v6, v3, vcc
	global_store_dword v[4:5], v2, off
	s_mov_b64 s[40:41], -1
	s_mov_b64 s[0:1], 0
	s_branch .LBB22_1087
.LBB22_1081:
	s_mov_b64 s[42:43], 0
                                        ; implicit-def: $vgpr15
	s_mov_b64 s[0:1], s[28:29]
	s_branch .LBB22_1197
.LBB22_1082:
	s_mov_b64 s[42:43], -1
	s_mov_b64 s[40:41], 0
	s_mov_b64 s[0:1], s[28:29]
	s_branch .LBB22_1156
.LBB22_1083:
	s_mov_b64 s[42:43], -1
	s_mov_b64 s[40:41], 0
	s_mov_b64 s[0:1], s[28:29]
	s_branch .LBB22_1114
.LBB22_1084:
	s_mov_b64 s[42:43], -1
	s_mov_b64 s[40:41], 0
	s_mov_b64 s[0:1], s[28:29]
	s_branch .LBB22_1097
.LBB22_1085:
	s_mov_b64 s[42:43], -1
	s_mov_b64 s[40:41], 0
	s_mov_b64 s[0:1], s[28:29]
	s_branch .LBB22_1093
.LBB22_1086:
	s_mov_b64 s[42:43], -1
	s_mov_b64 s[40:41], 0
	s_mov_b64 s[0:1], s[28:29]
.LBB22_1087:
	s_and_b64 vcc, exec, s[42:43]
	s_cbranch_vccz .LBB22_1092
; %bb.1088:
	v_mov_b32_e32 v2, 44
	v_cmp_eq_u16_sdwa s[42:43], v14, v2 src0_sel:BYTE_0 src1_sel:DWORD
	s_mov_b64 s[0:1], -1
	s_and_b64 vcc, exec, s[42:43]
	s_cbranch_vccz .LBB22_1092
; %bb.1089:
	v_cvt_f32_f64_e32 v2, v[0:1]
	v_bfe_u32 v3, v2, 23, 8
	s_movk_i32 s0, 0xff
	v_cmp_ne_u32_e32 vcc, s0, v3
	v_mov_b32_e32 v6, 0xff
	s_and_saveexec_b64 s[40:41], vcc
; %bb.1090:
	s_mov_b32 s0, 0x3fffff
	v_lshrrev_b32_e32 v6, 23, v2
	v_and_b32_e32 v7, 0x400000, v2
	v_and_or_b32 v2, v2, s0, v3
	v_cmp_ne_u32_e32 vcc, 0, v7
	v_cmp_ne_u32_e64 s[0:1], 0, v2
	s_and_b64 s[0:1], vcc, s[0:1]
	v_cndmask_b32_e64 v2, 0, 1, s[0:1]
	v_add_u32_e32 v6, v6, v2
; %bb.1091:
	s_or_b64 exec, exec, s[40:41]
	s_mov_b64 s[40:41], -1
	s_mov_b64 s[0:1], 0
	global_store_byte v[4:5], v6, off
.LBB22_1092:
	s_mov_b64 s[42:43], 0
.LBB22_1093:
	s_and_b64 vcc, exec, s[42:43]
	s_cbranch_vccz .LBB22_1096
; %bb.1094:
	v_mov_b32_e32 v2, 29
	v_cmp_eq_u16_sdwa s[42:43], v14, v2 src0_sel:BYTE_0 src1_sel:DWORD
	s_mov_b64 s[0:1], -1
	s_and_b64 vcc, exec, s[42:43]
	s_cbranch_vccz .LBB22_1096
; %bb.1095:
	v_trunc_f64_e32 v[2:3], v[0:1]
	s_movk_i32 s0, 0xffe0
	v_ldexp_f64 v[6:7], v[2:3], s0
	v_floor_f64_e32 v[6:7], v[6:7]
	v_fmac_f64_e32 v[2:3], 0xc1f00000, v[6:7]
	v_cvt_u32_f64_e32 v9, v[6:7]
	v_cvt_u32_f64_e32 v8, v[2:3]
	global_store_dwordx2 v[4:5], v[8:9], off
	s_mov_b64 s[40:41], -1
	s_mov_b64 s[0:1], 0
.LBB22_1096:
	s_mov_b64 s[42:43], 0
.LBB22_1097:
	s_and_b64 vcc, exec, s[42:43]
	s_cbranch_vccz .LBB22_1113
; %bb.1098:
	v_mov_b32_e32 v2, 27
	v_cmp_lt_i16_sdwa s[42:43], v14, v2 src0_sel:BYTE_0 src1_sel:DWORD
	s_mov_b64 s[40:41], -1
	s_and_b64 vcc, exec, s[42:43]
	s_cbranch_vccnz .LBB22_1104
; %bb.1099:
	v_cmp_gt_i16_sdwa s[42:43], v14, v2 src0_sel:BYTE_0 src1_sel:DWORD
	s_and_b64 vcc, exec, s[42:43]
	v_cvt_u32_f64_e32 v2, v[0:1]
	s_cbranch_vccz .LBB22_1101
; %bb.1100:
	s_mov_b64 s[40:41], 0
	global_store_dword v[4:5], v2, off
.LBB22_1101:
	s_andn2_b64 vcc, exec, s[40:41]
	s_cbranch_vccnz .LBB22_1103
; %bb.1102:
	global_store_short v[4:5], v2, off
.LBB22_1103:
	s_mov_b64 s[40:41], 0
.LBB22_1104:
	s_andn2_b64 vcc, exec, s[40:41]
	s_cbranch_vccnz .LBB22_1112
; %bb.1105:
	v_cvt_f32_f64_e32 v2, v[0:1]
	v_and_b32_e32 v3, 0x7fffffff, v2
	s_mov_b32 s15, 0x43800000
	v_cmp_gt_u32_e32 vcc, s15, v3
	v_mov_b32_e32 v6, 0x80
	s_and_saveexec_b64 s[40:41], vcc
	s_cbranch_execz .LBB22_1111
; %bb.1106:
	s_mov_b32 s15, 0x3bffffff
	v_cmp_lt_u32_e32 vcc, s15, v3
	s_mov_b64 s[42:43], 0
                                        ; implicit-def: $vgpr3
	s_and_saveexec_b64 s[44:45], vcc
	s_xor_b64 s[44:45], exec, s[44:45]
	s_cbranch_execz .LBB22_1213
; %bb.1107:
	v_bfe_u32 v3, v2, 20, 1
	s_mov_b32 s15, 0x487ffff
	v_add3_u32 v3, v2, v3, s15
	s_mov_b64 s[42:43], exec
	v_lshrrev_b32_e32 v3, 20, v3
	s_or_saveexec_b64 s[44:45], s[44:45]
                                        ; implicit-def: $sgpr15
	s_xor_b64 exec, exec, s[44:45]
	s_cbranch_execnz .LBB22_1214
.LBB22_1108:
	s_or_b64 exec, exec, s[44:45]
	v_mov_b32_e32 v6, s15
	s_and_saveexec_b64 s[44:45], s[42:43]
.LBB22_1109:
	v_lshrrev_b32_e32 v2, 24, v2
	s_movk_i32 s15, 0x80
	v_and_or_b32 v6, v2, s15, v3
.LBB22_1110:
	s_or_b64 exec, exec, s[44:45]
.LBB22_1111:
	s_or_b64 exec, exec, s[40:41]
	global_store_byte v[4:5], v6, off
.LBB22_1112:
	s_mov_b64 s[40:41], -1
.LBB22_1113:
	s_mov_b64 s[42:43], 0
.LBB22_1114:
	s_and_b64 vcc, exec, s[42:43]
	s_cbranch_vccz .LBB22_1155
; %bb.1115:
	v_mov_b32_e32 v2, 22
	v_cmp_gt_i16_sdwa s[44:45], v14, v2 src0_sel:BYTE_0 src1_sel:DWORD
	s_mov_b64 s[42:43], -1
	s_and_b64 vcc, exec, s[44:45]
	s_cbranch_vccz .LBB22_1147
; %bb.1116:
	v_mov_b32_e32 v2, 24
	v_cmp_lt_i16_sdwa s[42:43], v14, v2 src0_sel:BYTE_0 src1_sel:DWORD
	s_mov_b64 s[40:41], -1
	s_and_b64 vcc, exec, s[42:43]
	s_cbranch_vccnz .LBB22_1136
; %bb.1117:
	v_cmp_gt_i16_sdwa s[42:43], v14, v2 src0_sel:BYTE_0 src1_sel:DWORD
	s_and_b64 vcc, exec, s[42:43]
	s_cbranch_vccz .LBB22_1125
; %bb.1118:
	v_cvt_f32_f64_e32 v2, v[0:1]
	v_and_b32_e32 v3, 0x7fffffff, v2
	s_mov_b32 s15, 0x47800000
	v_cmp_gt_u32_e32 vcc, s15, v3
	v_mov_b32_e32 v6, 0x80
	s_and_saveexec_b64 s[40:41], vcc
	s_cbranch_execz .LBB22_1124
; %bb.1119:
	s_mov_b32 s15, 0x37ffffff
	v_cmp_lt_u32_e32 vcc, s15, v3
	s_mov_b64 s[42:43], 0
                                        ; implicit-def: $vgpr3
	s_and_saveexec_b64 s[44:45], vcc
	s_xor_b64 s[44:45], exec, s[44:45]
	s_cbranch_execz .LBB22_2272
; %bb.1120:
	v_bfe_u32 v3, v2, 21, 1
	s_mov_b32 s15, 0x88fffff
	v_add3_u32 v3, v2, v3, s15
	s_mov_b64 s[42:43], exec
	v_lshrrev_b32_e32 v3, 21, v3
	s_or_saveexec_b64 s[44:45], s[44:45]
                                        ; implicit-def: $sgpr15
	s_xor_b64 exec, exec, s[44:45]
	s_cbranch_execnz .LBB22_2273
.LBB22_1121:
	s_or_b64 exec, exec, s[44:45]
	v_mov_b32_e32 v6, s15
	s_and_saveexec_b64 s[44:45], s[42:43]
.LBB22_1122:
	v_lshrrev_b32_e32 v2, 24, v2
	s_movk_i32 s15, 0x80
	v_and_or_b32 v6, v2, s15, v3
.LBB22_1123:
	s_or_b64 exec, exec, s[44:45]
.LBB22_1124:
	s_or_b64 exec, exec, s[40:41]
	s_mov_b64 s[40:41], 0
	global_store_byte v[4:5], v6, off
.LBB22_1125:
	s_and_b64 vcc, exec, s[40:41]
	s_cbranch_vccz .LBB22_1135
; %bb.1126:
	v_cvt_f32_f64_e32 v2, v[0:1]
	v_and_b32_e32 v6, 0x7fffffff, v2
	s_mov_b32 s15, 0x43f00000
	v_cmp_gt_u32_e32 vcc, s15, v6
                                        ; implicit-def: $vgpr3
	s_and_saveexec_b64 s[40:41], vcc
	s_xor_b64 s[40:41], exec, s[40:41]
	s_cbranch_execz .LBB22_1132
; %bb.1127:
	s_mov_b32 s15, 0x3c7fffff
	v_cmp_lt_u32_e32 vcc, s15, v6
                                        ; implicit-def: $vgpr3
	s_and_saveexec_b64 s[42:43], vcc
	s_xor_b64 s[42:43], exec, s[42:43]
; %bb.1128:
	v_bfe_u32 v3, v2, 20, 1
	s_mov_b32 s15, 0x407ffff
	v_add3_u32 v3, v2, v3, s15
	v_lshrrev_b32_e32 v6, 20, v3
	v_and_b32_e32 v3, 0xff00000, v3
	s_mov_b32 s15, 0x7f00000
	v_mov_b32_e32 v7, 0x7e
	v_cmp_ne_u32_e32 vcc, s15, v3
	v_cndmask_b32_e32 v3, v7, v6, vcc
; %bb.1129:
	s_andn2_saveexec_b64 s[42:43], s[42:43]
; %bb.1130:
	s_mov_b32 s15, 0x46800000
	v_add_f32_e64 v3, |v2|, s15
; %bb.1131:
	s_or_b64 exec, exec, s[42:43]
                                        ; implicit-def: $vgpr6
.LBB22_1132:
	s_andn2_saveexec_b64 s[40:41], s[40:41]
; %bb.1133:
	s_mov_b32 s15, 0x7f800000
	v_mov_b32_e32 v3, 0x7e
	v_mov_b32_e32 v7, 0x7f
	v_cmp_lt_u32_e32 vcc, s15, v6
	v_cndmask_b32_e32 v3, v3, v7, vcc
; %bb.1134:
	s_or_b64 exec, exec, s[40:41]
	v_lshrrev_b32_e32 v2, 24, v2
	s_movk_i32 s15, 0x80
	v_and_or_b32 v2, v2, s15, v3
	global_store_byte v[4:5], v2, off
.LBB22_1135:
	s_mov_b64 s[40:41], 0
.LBB22_1136:
	s_andn2_b64 vcc, exec, s[40:41]
	s_cbranch_vccnz .LBB22_1146
; %bb.1137:
	v_cvt_f32_f64_e32 v2, v[0:1]
	v_and_b32_e32 v6, 0x7fffffff, v2
	s_mov_b32 s15, 0x47800000
	v_cmp_gt_u32_e32 vcc, s15, v6
                                        ; implicit-def: $vgpr3
	s_and_saveexec_b64 s[40:41], vcc
	s_xor_b64 s[40:41], exec, s[40:41]
	s_cbranch_execz .LBB22_1143
; %bb.1138:
	s_mov_b32 s15, 0x387fffff
	v_cmp_lt_u32_e32 vcc, s15, v6
                                        ; implicit-def: $vgpr3
	s_and_saveexec_b64 s[42:43], vcc
	s_xor_b64 s[42:43], exec, s[42:43]
; %bb.1139:
	v_bfe_u32 v3, v2, 21, 1
	s_mov_b32 s15, 0x80fffff
	v_add3_u32 v3, v2, v3, s15
	v_lshrrev_b32_e32 v3, 21, v3
; %bb.1140:
	s_andn2_saveexec_b64 s[42:43], s[42:43]
; %bb.1141:
	s_mov_b32 s15, 0x43000000
	v_add_f32_e64 v3, |v2|, s15
; %bb.1142:
	s_or_b64 exec, exec, s[42:43]
                                        ; implicit-def: $vgpr6
.LBB22_1143:
	s_andn2_saveexec_b64 s[40:41], s[40:41]
; %bb.1144:
	s_mov_b32 s15, 0x7f800000
	v_mov_b32_e32 v3, 0x7c
	v_mov_b32_e32 v7, 0x7f
	v_cmp_lt_u32_e32 vcc, s15, v6
	v_cndmask_b32_e32 v3, v3, v7, vcc
; %bb.1145:
	s_or_b64 exec, exec, s[40:41]
	v_lshrrev_b32_e32 v2, 24, v2
	s_movk_i32 s15, 0x80
	v_and_or_b32 v2, v2, s15, v3
	global_store_byte v[4:5], v2, off
.LBB22_1146:
	s_mov_b64 s[42:43], 0
	s_mov_b64 s[40:41], -1
.LBB22_1147:
	s_andn2_b64 vcc, exec, s[42:43]
	s_cbranch_vccnz .LBB22_1155
; %bb.1148:
	v_mov_b32_e32 v2, 14
	v_cmp_gt_i16_sdwa s[44:45], v14, v2 src0_sel:BYTE_0 src1_sel:DWORD
	s_mov_b64 s[42:43], -1
	s_and_b64 vcc, exec, s[44:45]
	s_cbranch_vccz .LBB22_1152
; %bb.1149:
	v_mov_b32_e32 v2, 15
	v_cmp_eq_u16_sdwa s[42:43], v14, v2 src0_sel:BYTE_0 src1_sel:DWORD
	s_mov_b64 s[0:1], -1
	s_and_b64 vcc, exec, s[42:43]
	s_cbranch_vccz .LBB22_1151
; %bb.1150:
	v_cvt_f32_f64_e32 v2, v[0:1]
	v_bfe_u32 v3, v2, 16, 1
	s_movk_i32 s0, 0x7fff
	v_add3_u32 v3, v2, v3, s0
	v_lshrrev_b32_e32 v3, 16, v3
	v_mov_b32_e32 v6, 0x7fc0
	v_cmp_o_f32_e32 vcc, v2, v2
	v_cndmask_b32_e32 v2, v6, v3, vcc
	global_store_short v[4:5], v2, off
	s_mov_b64 s[40:41], -1
	s_mov_b64 s[0:1], 0
.LBB22_1151:
	s_mov_b64 s[42:43], 0
.LBB22_1152:
	s_and_b64 vcc, exec, s[42:43]
	s_cbranch_vccz .LBB22_1155
; %bb.1153:
	v_mov_b32_e32 v2, 11
	v_cmp_eq_u16_sdwa s[42:43], v14, v2 src0_sel:BYTE_0 src1_sel:DWORD
	s_mov_b64 s[0:1], -1
	s_and_b64 vcc, exec, s[42:43]
	s_cbranch_vccz .LBB22_1155
; %bb.1154:
	v_cmp_neq_f64_e32 vcc, 0, v[0:1]
	s_mov_b64 s[0:1], 0
	v_cndmask_b32_e64 v2, 0, 1, vcc
	s_mov_b64 s[40:41], -1
	global_store_byte v[4:5], v2, off
.LBB22_1155:
	s_mov_b64 s[42:43], 0
.LBB22_1156:
	s_and_b64 vcc, exec, s[42:43]
	s_cbranch_vccz .LBB22_1195
; %bb.1157:
	v_mov_b32_e32 v2, 5
	v_cmp_lt_i16_sdwa s[42:43], v14, v2 src0_sel:BYTE_0 src1_sel:DWORD
	s_mov_b64 s[40:41], -1
	s_and_b64 vcc, exec, s[42:43]
	s_cbranch_vccnz .LBB22_1178
; %bb.1158:
	v_mov_b32_e32 v2, 8
	v_cmp_lt_i16_sdwa s[42:43], v14, v2 src0_sel:BYTE_0 src1_sel:DWORD
	s_and_b64 vcc, exec, s[42:43]
	s_cbranch_vccnz .LBB22_1168
; %bb.1159:
	v_mov_b32_e32 v2, 9
	v_cmp_lt_i16_sdwa s[42:43], v14, v2 src0_sel:BYTE_0 src1_sel:DWORD
	s_and_b64 vcc, exec, s[42:43]
	s_cbranch_vccnz .LBB22_1165
; %bb.1160:
	v_cmp_gt_i16_sdwa s[42:43], v14, v2 src0_sel:BYTE_0 src1_sel:DWORD
	s_and_b64 vcc, exec, s[42:43]
	s_cbranch_vccz .LBB22_1162
; %bb.1161:
	v_mov_b32_e32 v2, 0
	v_mov_b32_e32 v3, v2
	s_mov_b64 s[40:41], 0
	global_store_dwordx4 v[4:5], v[0:3], off
.LBB22_1162:
	s_andn2_b64 vcc, exec, s[40:41]
	s_cbranch_vccnz .LBB22_1164
; %bb.1163:
	v_cvt_f32_f64_e32 v2, v[0:1]
	v_mov_b32_e32 v3, 0
	global_store_dwordx2 v[4:5], v[2:3], off
.LBB22_1164:
	s_mov_b64 s[40:41], 0
.LBB22_1165:
	s_andn2_b64 vcc, exec, s[40:41]
	s_cbranch_vccnz .LBB22_1167
; %bb.1166:
	v_cvt_f32_f64_e32 v2, v[0:1]
	v_cvt_f16_f32_e32 v2, v2
	global_store_dword v[4:5], v2, off
.LBB22_1167:
	s_mov_b64 s[40:41], 0
.LBB22_1168:
	s_andn2_b64 vcc, exec, s[40:41]
	s_cbranch_vccnz .LBB22_1177
; %bb.1169:
	v_mov_b32_e32 v2, 6
	v_cmp_lt_i16_sdwa s[42:43], v14, v2 src0_sel:BYTE_0 src1_sel:DWORD
	s_mov_b64 s[40:41], -1
	s_and_b64 vcc, exec, s[42:43]
	s_cbranch_vccnz .LBB22_1175
; %bb.1170:
	v_cmp_gt_i16_sdwa s[42:43], v14, v2 src0_sel:BYTE_0 src1_sel:DWORD
	s_and_b64 vcc, exec, s[42:43]
	s_cbranch_vccz .LBB22_1172
; %bb.1171:
	s_mov_b64 s[40:41], 0
	global_store_dwordx2 v[4:5], v[0:1], off
.LBB22_1172:
	s_andn2_b64 vcc, exec, s[40:41]
	s_cbranch_vccnz .LBB22_1174
; %bb.1173:
	v_cvt_f32_f64_e32 v2, v[0:1]
	global_store_dword v[4:5], v2, off
.LBB22_1174:
	s_mov_b64 s[40:41], 0
.LBB22_1175:
	s_andn2_b64 vcc, exec, s[40:41]
	s_cbranch_vccnz .LBB22_1177
; %bb.1176:
	v_cvt_f32_f64_e32 v2, v[0:1]
	v_cvt_f16_f32_e32 v2, v2
	global_store_short v[4:5], v2, off
.LBB22_1177:
	s_mov_b64 s[40:41], 0
.LBB22_1178:
	s_andn2_b64 vcc, exec, s[40:41]
	s_cbranch_vccnz .LBB22_1194
; %bb.1179:
	v_mov_b32_e32 v2, 2
	v_cmp_lt_i16_sdwa s[42:43], v14, v2 src0_sel:BYTE_0 src1_sel:DWORD
	s_mov_b64 s[40:41], -1
	s_and_b64 vcc, exec, s[42:43]
	s_cbranch_vccnz .LBB22_1189
; %bb.1180:
	v_mov_b32_e32 v2, 3
	v_cmp_lt_i16_sdwa s[42:43], v14, v2 src0_sel:BYTE_0 src1_sel:DWORD
	s_and_b64 vcc, exec, s[42:43]
	s_cbranch_vccnz .LBB22_1186
; %bb.1181:
	v_cmp_gt_i16_sdwa s[42:43], v14, v2 src0_sel:BYTE_0 src1_sel:DWORD
	s_and_b64 vcc, exec, s[42:43]
	s_cbranch_vccz .LBB22_1183
; %bb.1182:
	v_trunc_f64_e32 v[2:3], v[0:1]
	s_movk_i32 s15, 0xffe0
	v_ldexp_f64 v[6:7], v[2:3], s15
	v_floor_f64_e32 v[6:7], v[6:7]
	v_fmac_f64_e32 v[2:3], 0xc1f00000, v[6:7]
	v_cvt_i32_f64_e32 v9, v[6:7]
	v_cvt_u32_f64_e32 v8, v[2:3]
	s_mov_b64 s[40:41], 0
	global_store_dwordx2 v[4:5], v[8:9], off
.LBB22_1183:
	s_andn2_b64 vcc, exec, s[40:41]
	s_cbranch_vccnz .LBB22_1185
; %bb.1184:
	v_cvt_i32_f64_e32 v2, v[0:1]
	global_store_dword v[4:5], v2, off
.LBB22_1185:
	s_mov_b64 s[40:41], 0
.LBB22_1186:
	s_andn2_b64 vcc, exec, s[40:41]
	s_cbranch_vccnz .LBB22_1188
; %bb.1187:
	v_cvt_i32_f64_e32 v2, v[0:1]
	global_store_short v[4:5], v2, off
.LBB22_1188:
	s_mov_b64 s[40:41], 0
.LBB22_1189:
	s_andn2_b64 vcc, exec, s[40:41]
	s_cbranch_vccnz .LBB22_1194
; %bb.1190:
	v_mov_b32_e32 v2, 0
	v_cmp_gt_i16_sdwa s[42:43], v14, v2 src0_sel:BYTE_0 src1_sel:DWORD
	s_mov_b64 s[40:41], -1
	s_and_b64 vcc, exec, s[42:43]
	s_cbranch_vccz .LBB22_1192
; %bb.1191:
	v_cvt_i32_f64_e32 v2, v[0:1]
	s_mov_b64 s[40:41], 0
	global_store_byte v[4:5], v2, off
.LBB22_1192:
	s_andn2_b64 vcc, exec, s[40:41]
	s_cbranch_vccnz .LBB22_1194
; %bb.1193:
	v_trunc_f64_e32 v[0:1], v[0:1]
	s_movk_i32 s15, 0xffe0
	v_ldexp_f64 v[2:3], v[0:1], s15
	v_floor_f64_e32 v[2:3], v[2:3]
	v_fmac_f64_e32 v[0:1], 0xc1f00000, v[2:3]
	v_cvt_u32_f64_e32 v0, v[0:1]
	global_store_byte v[4:5], v0, off
.LBB22_1194:
	s_mov_b64 s[40:41], -1
.LBB22_1195:
	s_andn2_b64 vcc, exec, s[40:41]
	s_cbranch_vccnz .LBB22_1208
; %bb.1196:
	v_add_u32_e32 v15, 0x80, v15
	s_mov_b64 s[42:43], -1
.LBB22_1197:
	s_andn2_b64 s[40:41], s[28:29], exec
	s_and_b64 s[0:1], s[0:1], exec
	s_or_b64 s[40:41], s[40:41], s[0:1]
	s_andn2_b64 s[0:1], s[26:27], exec
	s_and_b64 s[38:39], s[38:39], exec
	s_or_b64 s[38:39], s[0:1], s[38:39]
	;; [unrolled: 3-line block ×3, first 2 shown]
	s_orn2_b64 s[46:47], s[42:43], exec
.LBB22_1198:
	s_or_b64 exec, exec, s[34:35]
	s_mov_b64 s[42:43], 0
	s_mov_b64 s[36:37], 0
	;; [unrolled: 1-line block ×3, first 2 shown]
                                        ; implicit-def: $vgpr4
                                        ; implicit-def: $vgpr0_vgpr1
                                        ; implicit-def: $vgpr2_vgpr3
	s_and_saveexec_b64 s[34:35], s[46:47]
	s_cbranch_execz .LBB22_1282
; %bb.1199:
	v_cmp_gt_i32_e32 vcc, s33, v15
	s_mov_b64 s[46:47], 0
	s_mov_b64 s[48:49], s[0:1]
	;; [unrolled: 1-line block ×4, first 2 shown]
                                        ; implicit-def: $vgpr4
                                        ; implicit-def: $vgpr0_vgpr1
                                        ; implicit-def: $vgpr2_vgpr3
	s_and_saveexec_b64 s[36:37], vcc
	s_cbranch_execz .LBB22_1281
; %bb.1200:
	v_mul_lo_u32 v0, v15, s13
	v_ashrrev_i32_e32 v1, 31, v0
	s_waitcnt vmcnt(0)
	v_mov_b32_e32 v2, s11
	v_add_co_u32_e32 v0, vcc, s10, v0
	v_addc_co_u32_e32 v1, vcc, v2, v1, vcc
	v_and_b32_e32 v4, 0xff, v17
	v_cmp_gt_i16_e32 vcc, 11, v4
	s_cbranch_vccnz .LBB22_1207
; %bb.1201:
	v_cmp_lt_i16_e32 vcc, 25, v4
	s_cbranch_vccz .LBB22_1209
; %bb.1202:
	v_cmp_lt_i16_e32 vcc, 28, v4
	s_cbranch_vccz .LBB22_1210
; %bb.1203:
	v_cmp_lt_i16_e32 vcc, 43, v4
	s_cbranch_vccz .LBB22_1211
; %bb.1204:
	v_cmp_lt_i16_e32 vcc, 45, v4
	s_cbranch_vccz .LBB22_1212
; %bb.1205:
	v_cmp_eq_u16_e32 vcc, 46, v4
	s_mov_b64 s[48:49], 0
	s_cbranch_vccz .LBB22_1215
; %bb.1206:
	global_load_dword v2, v[0:1], off
	s_mov_b64 s[46:47], -1
	s_waitcnt vmcnt(0)
	v_lshlrev_b32_e32 v2, 16, v2
	v_cvt_f64_f32_e32 v[2:3], v2
	s_branch .LBB22_1217
.LBB22_1207:
	s_mov_b64 s[48:49], -1
                                        ; implicit-def: $vgpr2_vgpr3
	s_mov_b64 s[42:43], s[0:1]
	s_branch .LBB22_1280
.LBB22_1208:
	s_mov_b64 s[42:43], 0
	s_branch .LBB22_938
.LBB22_1209:
	s_mov_b64 s[48:49], -1
	s_mov_b64 s[42:43], s[0:1]
                                        ; implicit-def: $vgpr2_vgpr3
	s_branch .LBB22_1246
.LBB22_1210:
	s_mov_b64 s[48:49], -1
	s_mov_b64 s[42:43], s[0:1]
                                        ; implicit-def: $vgpr2_vgpr3
	s_branch .LBB22_1227
.LBB22_1211:
	s_mov_b64 s[48:49], -1
	s_mov_b64 s[42:43], s[0:1]
                                        ; implicit-def: $vgpr2_vgpr3
	s_branch .LBB22_1222
.LBB22_1212:
	s_mov_b64 s[48:49], -1
	s_mov_b64 s[42:43], s[0:1]
	s_branch .LBB22_1216
.LBB22_1213:
	s_or_saveexec_b64 s[44:45], s[44:45]
                                        ; implicit-def: $sgpr15
	s_xor_b64 exec, exec, s[44:45]
	s_cbranch_execz .LBB22_1108
.LBB22_1214:
	s_mov_b32 s15, 0x46000000
	v_add_f32_e64 v3, |v2|, s15
	v_and_b32_e32 v3, 0xff, v3
	v_cmp_ne_u32_e32 vcc, 0, v3
	s_andn2_b64 s[42:43], s[42:43], exec
	s_and_b64 s[46:47], vcc, exec
	s_mov_b32 s15, 0
	s_or_b64 s[42:43], s[42:43], s[46:47]
	s_or_b64 exec, exec, s[44:45]
	v_mov_b32_e32 v6, s15
	s_and_saveexec_b64 s[44:45], s[42:43]
	s_cbranch_execnz .LBB22_1109
	s_branch .LBB22_1110
.LBB22_1215:
	s_mov_b64 s[42:43], -1
.LBB22_1216:
                                        ; implicit-def: $vgpr2_vgpr3
.LBB22_1217:
	s_and_b64 vcc, exec, s[48:49]
	s_cbranch_vccz .LBB22_1221
; %bb.1218:
	v_cmp_eq_u16_e32 vcc, 44, v4
	s_cbranch_vccz .LBB22_1220
; %bb.1219:
	global_load_ubyte v5, v[0:1], off
	s_movk_i32 s15, 0xff
	v_bfrev_b32_e32 v6, 4
	v_mov_b32_e32 v7, 0x7ff80000
	v_bfrev_b32_e32 v8, 28
	s_mov_b64 s[42:43], 0
	s_mov_b64 s[46:47], -1
	s_waitcnt vmcnt(0)
	v_lshlrev_b32_e32 v2, 23, v5
	v_cvt_f64_f32_e32 v[2:3], v2
	v_cmp_ne_u32_e32 vcc, s15, v5
	v_cndmask_b32_e32 v2, v6, v2, vcc
	v_cndmask_b32_e32 v3, v7, v3, vcc
	v_cmp_ne_u32_e32 vcc, 0, v5
	v_cndmask_b32_e32 v3, v8, v3, vcc
	v_cndmask_b32_e32 v2, 0, v2, vcc
	s_branch .LBB22_1221
.LBB22_1220:
	s_mov_b64 s[42:43], -1
                                        ; implicit-def: $vgpr2_vgpr3
.LBB22_1221:
	s_mov_b64 s[48:49], 0
.LBB22_1222:
	s_and_b64 vcc, exec, s[48:49]
	s_cbranch_vccz .LBB22_1226
; %bb.1223:
	v_cmp_eq_u16_e32 vcc, 29, v4
	s_cbranch_vccz .LBB22_1225
; %bb.1224:
	global_load_dwordx2 v[2:3], v[0:1], off
	s_mov_b64 s[42:43], 0
	s_mov_b64 s[46:47], -1
	s_mov_b64 s[48:49], 0
	s_waitcnt vmcnt(0)
	v_cvt_f64_u32_e32 v[6:7], v3
	v_cvt_f64_u32_e32 v[2:3], v2
	v_ldexp_f64 v[6:7], v[6:7], 32
	v_add_f64 v[2:3], v[6:7], v[2:3]
	s_branch .LBB22_1227
.LBB22_1225:
	s_mov_b64 s[42:43], -1
                                        ; implicit-def: $vgpr2_vgpr3
.LBB22_1226:
	s_mov_b64 s[48:49], 0
.LBB22_1227:
	s_and_b64 vcc, exec, s[48:49]
	s_cbranch_vccz .LBB22_1245
; %bb.1228:
	v_cmp_gt_i16_e32 vcc, 27, v4
	s_cbranch_vccnz .LBB22_1231
; %bb.1229:
	v_cmp_lt_i16_e32 vcc, 27, v4
	s_cbranch_vccz .LBB22_1232
; %bb.1230:
	global_load_dword v2, v[0:1], off
	s_mov_b64 s[46:47], 0
	s_waitcnt vmcnt(0)
	v_cvt_f64_u32_e32 v[2:3], v2
	s_branch .LBB22_1233
.LBB22_1231:
	s_mov_b64 s[46:47], -1
                                        ; implicit-def: $vgpr2_vgpr3
	s_branch .LBB22_1236
.LBB22_1232:
	s_mov_b64 s[46:47], -1
                                        ; implicit-def: $vgpr2_vgpr3
.LBB22_1233:
	s_andn2_b64 vcc, exec, s[46:47]
	s_cbranch_vccnz .LBB22_1235
; %bb.1234:
	global_load_ushort v2, v[0:1], off
	s_waitcnt vmcnt(0)
	v_cvt_f64_u32_e32 v[2:3], v2
.LBB22_1235:
	s_mov_b64 s[46:47], 0
.LBB22_1236:
	s_andn2_b64 vcc, exec, s[46:47]
	s_cbranch_vccnz .LBB22_1244
; %bb.1237:
	global_load_ubyte v5, v[0:1], off
	s_movk_i32 s15, 0x7f
	s_mov_b64 s[46:47], 0
                                        ; implicit-def: $sgpr48_sgpr49
	s_waitcnt vmcnt(0)
	v_cmp_lt_i16_e32 vcc, s15, v5
	s_and_saveexec_b64 s[50:51], vcc
	s_xor_b64 s[50:51], exec, s[50:51]
	s_cbranch_execz .LBB22_1258
; %bb.1238:
	s_movk_i32 s15, 0x80
	v_cmp_eq_u16_e32 vcc, s15, v5
	s_mov_b64 s[52:53], -1
                                        ; implicit-def: $sgpr48_sgpr49
	s_and_saveexec_b64 s[46:47], vcc
; %bb.1239:
	s_mov_b32 s49, 0x7ff80000
	s_brev_b32 s48, 4
	s_xor_b64 s[52:53], exec, -1
; %bb.1240:
	s_or_b64 exec, exec, s[46:47]
	s_and_b64 s[46:47], s[52:53], exec
	s_or_saveexec_b64 s[50:51], s[50:51]
	v_pk_mov_b32 v[2:3], s[48:49], s[48:49] op_sel:[0,1]
	s_xor_b64 exec, exec, s[50:51]
	s_cbranch_execnz .LBB22_1259
.LBB22_1241:
	s_or_b64 exec, exec, s[50:51]
	s_and_saveexec_b64 s[48:49], s[46:47]
	s_cbranch_execz .LBB22_1243
.LBB22_1242:
	v_and_b32_e32 v3, 0xffff, v5
	v_lshlrev_b32_e32 v2, 24, v5
	v_and_b32_e32 v5, 7, v3
	v_ffbh_u32_e32 v7, v5
	v_min_u32_e32 v7, 32, v7
	v_subrev_u32_e32 v8, 28, v7
	v_bfe_u32 v6, v3, 3, 4
	v_lshlrev_b32_e32 v3, v8, v3
	v_sub_u32_e32 v7, 29, v7
	v_and_b32_e32 v3, 7, v3
	v_cmp_eq_u32_e32 vcc, 0, v6
	v_cndmask_b32_e32 v6, v6, v7, vcc
	v_cndmask_b32_e32 v3, v5, v3, vcc
	v_mov_b32_e32 v5, 0x3b800000
	v_lshlrev_b32_e32 v3, 20, v3
	v_and_b32_e32 v2, 0x80000000, v2
	v_lshl_add_u32 v5, v6, 23, v5
	v_or3_b32 v2, v2, v5, v3
	v_cvt_f64_f32_e32 v[2:3], v2
.LBB22_1243:
	s_or_b64 exec, exec, s[48:49]
.LBB22_1244:
	s_mov_b64 s[46:47], -1
.LBB22_1245:
	s_mov_b64 s[48:49], 0
.LBB22_1246:
	s_and_b64 vcc, exec, s[48:49]
	s_cbranch_vccz .LBB22_1279
; %bb.1247:
	v_cmp_lt_i16_e32 vcc, 22, v4
	s_cbranch_vccz .LBB22_1257
; %bb.1248:
	v_cmp_gt_i16_e32 vcc, 24, v4
	s_cbranch_vccnz .LBB22_1260
; %bb.1249:
	v_cmp_lt_i16_e32 vcc, 24, v4
	s_cbranch_vccz .LBB22_1261
; %bb.1250:
	global_load_ubyte v5, v[0:1], off
	s_movk_i32 s15, 0x7f
                                        ; implicit-def: $sgpr46_sgpr47
	s_waitcnt vmcnt(0)
	v_cmp_lt_i16_e32 vcc, s15, v5
	s_and_saveexec_b64 s[48:49], vcc
	s_xor_b64 s[48:49], exec, s[48:49]
	s_cbranch_execz .LBB22_1273
; %bb.1251:
	s_movk_i32 s15, 0x80
	v_cmp_eq_u16_e32 vcc, s15, v5
	s_mov_b64 s[50:51], -1
                                        ; implicit-def: $sgpr46_sgpr47
	s_and_saveexec_b64 s[44:45], vcc
; %bb.1252:
	s_mov_b32 s47, 0x7ff80000
	s_brev_b32 s46, 4
	s_xor_b64 s[50:51], exec, -1
; %bb.1253:
	s_or_b64 exec, exec, s[44:45]
	s_and_b64 s[44:45], s[50:51], exec
	s_or_saveexec_b64 s[48:49], s[48:49]
	v_pk_mov_b32 v[2:3], s[46:47], s[46:47] op_sel:[0,1]
	s_xor_b64 exec, exec, s[48:49]
	s_cbranch_execnz .LBB22_1274
.LBB22_1254:
	s_or_b64 exec, exec, s[48:49]
	s_and_saveexec_b64 s[46:47], s[44:45]
	s_cbranch_execz .LBB22_1256
.LBB22_1255:
	v_and_b32_e32 v3, 0xffff, v5
	v_lshlrev_b32_e32 v2, 24, v5
	v_and_b32_e32 v5, 3, v3
	v_ffbh_u32_e32 v7, v5
	v_min_u32_e32 v7, 32, v7
	v_subrev_u32_e32 v8, 29, v7
	v_bfe_u32 v6, v3, 2, 5
	v_lshlrev_b32_e32 v3, v8, v3
	v_sub_u32_e32 v7, 30, v7
	v_and_b32_e32 v3, 3, v3
	v_cmp_eq_u32_e32 vcc, 0, v6
	v_cndmask_b32_e32 v6, v6, v7, vcc
	v_cndmask_b32_e32 v3, v5, v3, vcc
	v_mov_b32_e32 v5, 0x37800000
	v_lshlrev_b32_e32 v3, 21, v3
	v_and_b32_e32 v2, 0x80000000, v2
	v_lshl_add_u32 v5, v6, 23, v5
	v_or3_b32 v2, v2, v5, v3
	v_cvt_f64_f32_e32 v[2:3], v2
.LBB22_1256:
	s_or_b64 exec, exec, s[46:47]
	s_mov_b64 s[44:45], 0
	s_branch .LBB22_1262
.LBB22_1257:
	s_mov_b64 s[44:45], -1
                                        ; implicit-def: $vgpr2_vgpr3
	s_branch .LBB22_1268
.LBB22_1258:
	s_or_saveexec_b64 s[50:51], s[50:51]
	v_pk_mov_b32 v[2:3], s[48:49], s[48:49] op_sel:[0,1]
	s_xor_b64 exec, exec, s[50:51]
	s_cbranch_execz .LBB22_1241
.LBB22_1259:
	v_cmp_ne_u16_e32 vcc, 0, v5
	s_andn2_b64 s[46:47], s[46:47], exec
	s_and_b64 s[48:49], vcc, exec
	v_pk_mov_b32 v[2:3], 0, 0
	s_or_b64 s[46:47], s[46:47], s[48:49]
	s_or_b64 exec, exec, s[50:51]
	s_and_saveexec_b64 s[48:49], s[46:47]
	s_cbranch_execnz .LBB22_1242
	s_branch .LBB22_1243
.LBB22_1260:
	s_mov_b64 s[44:45], -1
                                        ; implicit-def: $vgpr2_vgpr3
	s_branch .LBB22_1265
.LBB22_1261:
	s_mov_b64 s[44:45], -1
                                        ; implicit-def: $vgpr2_vgpr3
.LBB22_1262:
	s_and_b64 vcc, exec, s[44:45]
	s_cbranch_vccz .LBB22_1264
; %bb.1263:
	global_load_ubyte v2, v[0:1], off
	s_mov_b32 s15, 0x7f800000
	s_waitcnt vmcnt(0)
	v_lshlrev_b32_e32 v2, 24, v2
	v_and_b32_e32 v3, 0x7f000000, v2
	v_ffbh_u32_e32 v5, v3
	v_min_u32_e32 v5, 32, v5
	v_sub_u32_e64 v5, v5, 4 clamp
	v_lshlrev_b32_e32 v7, v5, v3
	v_lshlrev_b32_e32 v5, 23, v5
	v_lshrrev_b32_e32 v7, 4, v7
	v_add_u32_e32 v6, 0x1000000, v3
	v_sub_u32_e32 v5, v7, v5
	v_ashrrev_i32_e32 v6, 8, v6
	v_add_u32_e32 v5, 0x3c000000, v5
	v_and_or_b32 v5, v6, s15, v5
	v_cmp_ne_u32_e32 vcc, 0, v3
	v_cndmask_b32_e32 v3, 0, v5, vcc
	s_brev_b32 s15, 1
	v_and_or_b32 v2, v2, s15, v3
	v_cvt_f64_f32_e32 v[2:3], v2
.LBB22_1264:
	s_mov_b64 s[44:45], 0
.LBB22_1265:
	s_andn2_b64 vcc, exec, s[44:45]
	s_cbranch_vccnz .LBB22_1267
; %bb.1266:
	global_load_ubyte v2, v[0:1], off
	s_movk_i32 s15, 0x7f00
	s_brev_b32 s33, 16
	s_waitcnt vmcnt(0)
	v_lshlrev_b16_e32 v3, 8, v2
	v_lshlrev_b32_e32 v2, 25, v2
	v_lshrrev_b32_e32 v5, 4, v2
	v_and_or_b32 v6, v3, s15, 0.5
	v_or_b32_e32 v5, 0x70000000, v5
	v_add_f32_e32 v6, -0.5, v6
	v_mul_f32_e32 v5, 0x7800000, v5
	v_cmp_gt_u32_e32 vcc, s33, v2
	v_bfe_i32 v3, v3, 0, 16
	v_cndmask_b32_e32 v2, v5, v6, vcc
	s_brev_b32 s15, 1
	v_and_or_b32 v2, v3, s15, v2
	v_cvt_f64_f32_e32 v[2:3], v2
.LBB22_1267:
	s_mov_b64 s[44:45], 0
	s_mov_b64 s[46:47], -1
.LBB22_1268:
	s_andn2_b64 vcc, exec, s[44:45]
	s_mov_b64 s[44:45], 0
	s_cbranch_vccnz .LBB22_1279
; %bb.1269:
	v_cmp_lt_i16_e32 vcc, 14, v4
	s_cbranch_vccz .LBB22_1272
; %bb.1270:
	v_cmp_eq_u16_e32 vcc, 15, v4
	s_cbranch_vccz .LBB22_1275
; %bb.1271:
	global_load_ushort v2, v[0:1], off
	s_mov_b64 s[42:43], 0
	s_mov_b64 s[46:47], -1
	s_waitcnt vmcnt(0)
	v_lshlrev_b32_e32 v2, 16, v2
	v_cvt_f64_f32_e32 v[2:3], v2
	s_branch .LBB22_1276
.LBB22_1272:
	s_mov_b64 s[48:49], -1
                                        ; implicit-def: $vgpr2_vgpr3
	s_branch .LBB22_1277
.LBB22_1273:
	s_or_saveexec_b64 s[48:49], s[48:49]
	v_pk_mov_b32 v[2:3], s[46:47], s[46:47] op_sel:[0,1]
	s_xor_b64 exec, exec, s[48:49]
	s_cbranch_execz .LBB22_1254
.LBB22_1274:
	v_cmp_ne_u16_e32 vcc, 0, v5
	s_andn2_b64 s[44:45], s[44:45], exec
	s_and_b64 s[46:47], vcc, exec
	v_pk_mov_b32 v[2:3], 0, 0
	s_or_b64 s[44:45], s[44:45], s[46:47]
	s_or_b64 exec, exec, s[48:49]
	s_and_saveexec_b64 s[46:47], s[44:45]
	s_cbranch_execnz .LBB22_1255
	s_branch .LBB22_1256
.LBB22_1275:
	s_mov_b64 s[42:43], -1
                                        ; implicit-def: $vgpr2_vgpr3
.LBB22_1276:
	s_mov_b64 s[48:49], 0
.LBB22_1277:
	s_and_b64 vcc, exec, s[48:49]
	s_cbranch_vccz .LBB22_1279
; %bb.1278:
	v_cmp_ne_u16_e32 vcc, 11, v4
	s_andn2_b64 s[42:43], s[42:43], exec
	s_and_b64 s[48:49], vcc, exec
	s_mov_b64 s[44:45], -1
	s_or_b64 s[42:43], s[42:43], s[48:49]
                                        ; implicit-def: $vgpr2_vgpr3
.LBB22_1279:
	s_mov_b64 s[48:49], 0
.LBB22_1280:
	s_and_b64 s[52:53], s[46:47], exec
	s_and_b64 s[46:47], s[44:45], exec
	s_andn2_b64 s[44:45], s[0:1], exec
	s_and_b64 s[42:43], s[42:43], exec
	s_and_b64 s[50:51], s[48:49], exec
	s_or_b64 s[48:49], s[44:45], s[42:43]
.LBB22_1281:
	s_or_b64 exec, exec, s[36:37]
	s_and_b64 s[42:43], s[46:47], exec
	s_andn2_b64 s[0:1], s[0:1], exec
	s_and_b64 s[46:47], s[48:49], exec
	s_and_b64 s[44:45], s[52:53], exec
	s_and_b64 s[36:37], s[50:51], exec
	s_or_b64 s[0:1], s[0:1], s[46:47]
.LBB22_1282:
	s_or_b64 exec, exec, s[34:35]
	s_andn2_b64 s[28:29], s[28:29], exec
	s_and_b64 s[34:35], s[40:41], exec
	s_or_b64 s[28:29], s[28:29], s[34:35]
	s_andn2_b64 s[26:27], s[26:27], exec
	s_and_b64 s[34:35], s[38:39], exec
	s_andn2_b64 s[24:25], s[24:25], exec
	s_and_b64 s[0:1], s[0:1], exec
	s_or_b64 s[26:27], s[26:27], s[34:35]
	s_and_b64 s[38:39], s[44:45], exec
	s_and_b64 s[36:37], s[36:37], exec
	;; [unrolled: 1-line block ×3, first 2 shown]
	s_or_b64 s[24:25], s[24:25], s[0:1]
.LBB22_1283:
	s_or_b64 exec, exec, s[30:31]
	s_andn2_b64 s[0:1], s[6:7], exec
	s_and_b64 s[6:7], s[28:29], exec
	s_or_b64 s[6:7], s[0:1], s[6:7]
	s_andn2_b64 s[0:1], s[18:19], exec
	s_and_b64 s[18:19], s[26:27], exec
	s_or_b64 s[18:19], s[0:1], s[18:19]
	s_andn2_b64 s[0:1], s[20:21], exec
	s_and_b64 s[20:21], s[24:25], exec
	s_and_b64 s[28:29], s[38:39], exec
	;; [unrolled: 1-line block ×4, first 2 shown]
	s_or_b64 s[20:21], s[0:1], s[20:21]
	s_or_b64 exec, exec, s[22:23]
	s_mov_b64 s[22:23], 0
	s_and_saveexec_b64 s[0:1], s[20:21]
	s_cbranch_execz .LBB22_405
.LBB22_1284:
	s_mov_b64 s[22:23], exec
	s_andn2_b64 s[26:27], s[26:27], exec
	s_trap 2
                                        ; implicit-def: $vgpr2_vgpr3
	s_or_b64 exec, exec, s[0:1]
	s_and_saveexec_b64 s[0:1], s[26:27]
	s_xor_b64 s[0:1], exec, s[0:1]
	s_cbranch_execnz .LBB22_406
.LBB22_1285:
	s_or_b64 exec, exec, s[0:1]
	s_and_saveexec_b64 s[0:1], s[30:31]
	s_cbranch_execz .LBB22_1331
.LBB22_1286:
	s_waitcnt vmcnt(0)
	v_cmp_gt_i16_e32 vcc, 5, v4
	s_cbranch_vccnz .LBB22_1291
; %bb.1287:
	v_cmp_gt_i16_e32 vcc, 8, v4
	s_cbranch_vccnz .LBB22_1292
; %bb.1288:
	;; [unrolled: 3-line block ×3, first 2 shown]
	v_cmp_lt_i16_e32 vcc, 9, v4
	s_cbranch_vccz .LBB22_1294
; %bb.1290:
	global_load_dwordx2 v[2:3], v[0:1], off
	s_mov_b64 s[20:21], 0
	s_branch .LBB22_1295
.LBB22_1291:
                                        ; implicit-def: $vgpr2_vgpr3
	s_branch .LBB22_1312
.LBB22_1292:
                                        ; implicit-def: $vgpr2_vgpr3
	s_branch .LBB22_1301
.LBB22_1293:
	s_mov_b64 s[20:21], -1
                                        ; implicit-def: $vgpr2_vgpr3
	s_branch .LBB22_1298
.LBB22_1294:
	s_mov_b64 s[20:21], -1
                                        ; implicit-def: $vgpr2_vgpr3
.LBB22_1295:
	s_andn2_b64 vcc, exec, s[20:21]
	s_cbranch_vccnz .LBB22_1297
; %bb.1296:
	global_load_dword v2, v[0:1], off
	s_waitcnt vmcnt(0)
	v_cvt_f64_f32_e32 v[2:3], v2
.LBB22_1297:
	s_mov_b64 s[20:21], 0
.LBB22_1298:
	s_andn2_b64 vcc, exec, s[20:21]
	s_cbranch_vccnz .LBB22_1300
; %bb.1299:
	global_load_dword v2, v[0:1], off
	s_waitcnt vmcnt(0)
	v_cvt_f32_f16_e32 v2, v2
	v_cvt_f64_f32_e32 v[2:3], v2
.LBB22_1300:
	s_cbranch_execnz .LBB22_1311
.LBB22_1301:
	v_cmp_gt_i16_e32 vcc, 6, v4
	s_cbranch_vccnz .LBB22_1304
; %bb.1302:
	v_cmp_lt_i16_e32 vcc, 6, v4
	s_cbranch_vccz .LBB22_1305
; %bb.1303:
	global_load_dwordx2 v[2:3], v[0:1], off
	s_mov_b64 s[20:21], 0
	s_branch .LBB22_1306
.LBB22_1304:
	s_mov_b64 s[20:21], -1
                                        ; implicit-def: $vgpr2_vgpr3
	s_branch .LBB22_1309
.LBB22_1305:
	s_mov_b64 s[20:21], -1
                                        ; implicit-def: $vgpr2_vgpr3
.LBB22_1306:
	s_andn2_b64 vcc, exec, s[20:21]
	s_cbranch_vccnz .LBB22_1308
; %bb.1307:
	global_load_dword v2, v[0:1], off
	s_waitcnt vmcnt(0)
	v_cvt_f64_f32_e32 v[2:3], v2
.LBB22_1308:
	s_mov_b64 s[20:21], 0
.LBB22_1309:
	s_andn2_b64 vcc, exec, s[20:21]
	s_cbranch_vccnz .LBB22_1311
; %bb.1310:
	global_load_ushort v2, v[0:1], off
	s_waitcnt vmcnt(0)
	v_cvt_f32_f16_e32 v2, v2
	v_cvt_f64_f32_e32 v[2:3], v2
.LBB22_1311:
	s_cbranch_execnz .LBB22_1330
.LBB22_1312:
	v_cmp_gt_i16_e32 vcc, 2, v4
	s_cbranch_vccnz .LBB22_1316
; %bb.1313:
	v_cmp_gt_i16_e32 vcc, 3, v4
	s_cbranch_vccnz .LBB22_1317
; %bb.1314:
	v_cmp_lt_i16_e32 vcc, 3, v4
	s_cbranch_vccz .LBB22_1318
; %bb.1315:
	global_load_dwordx2 v[2:3], v[0:1], off
	s_mov_b64 s[20:21], 0
	s_waitcnt vmcnt(0)
	v_cvt_f64_i32_e32 v[6:7], v3
	v_cvt_f64_u32_e32 v[2:3], v2
	v_ldexp_f64 v[6:7], v[6:7], 32
	v_add_f64 v[2:3], v[6:7], v[2:3]
	s_branch .LBB22_1319
.LBB22_1316:
                                        ; implicit-def: $vgpr2_vgpr3
	s_branch .LBB22_1325
.LBB22_1317:
	s_mov_b64 s[20:21], -1
                                        ; implicit-def: $vgpr2_vgpr3
	s_branch .LBB22_1322
.LBB22_1318:
	s_mov_b64 s[20:21], -1
                                        ; implicit-def: $vgpr2_vgpr3
.LBB22_1319:
	s_andn2_b64 vcc, exec, s[20:21]
	s_cbranch_vccnz .LBB22_1321
; %bb.1320:
	global_load_dword v2, v[0:1], off
	s_waitcnt vmcnt(0)
	v_cvt_f64_i32_e32 v[2:3], v2
.LBB22_1321:
	s_mov_b64 s[20:21], 0
.LBB22_1322:
	s_andn2_b64 vcc, exec, s[20:21]
	s_cbranch_vccnz .LBB22_1324
; %bb.1323:
	global_load_sshort v2, v[0:1], off
	s_waitcnt vmcnt(0)
	v_cvt_f64_i32_e32 v[2:3], v2
.LBB22_1324:
	s_cbranch_execnz .LBB22_1330
.LBB22_1325:
	v_cmp_lt_i16_e32 vcc, 0, v4
	s_cbranch_vccz .LBB22_1327
; %bb.1326:
	global_load_sbyte v2, v[0:1], off
	s_mov_b64 s[20:21], 0
	s_waitcnt vmcnt(0)
	v_cvt_f64_i32_e32 v[2:3], v2
	s_branch .LBB22_1328
.LBB22_1327:
	s_mov_b64 s[20:21], -1
                                        ; implicit-def: $vgpr2_vgpr3
.LBB22_1328:
	s_andn2_b64 vcc, exec, s[20:21]
	s_cbranch_vccnz .LBB22_1330
; %bb.1329:
	global_load_ubyte v0, v[0:1], off
	s_waitcnt vmcnt(0)
	v_cvt_f64_u32_e32 v[2:3], v0
.LBB22_1330:
	s_or_b64 s[28:29], s[28:29], exec
.LBB22_1331:
	s_or_b64 exec, exec, s[0:1]
	s_mov_b64 s[24:25], 0
	s_mov_b64 s[30:31], 0
	;; [unrolled: 1-line block ×3, first 2 shown]
                                        ; implicit-def: $vgpr4
                                        ; implicit-def: $vgpr0_vgpr1
                                        ; implicit-def: $vgpr6_vgpr7
	s_and_saveexec_b64 s[0:1], s[28:29]
	s_cbranch_execz .LBB22_1339
; %bb.1332:
	v_mul_lo_u32 v0, v15, s14
	v_ashrrev_i32_e32 v1, 31, v0
	s_waitcnt vmcnt(0)
	v_mov_b32_e32 v4, s3
	v_add_co_u32_e32 v0, vcc, s2, v0
	v_addc_co_u32_e32 v1, vcc, v4, v1, vcc
	v_and_b32_e32 v4, 0xff, v16
	v_cmp_gt_i16_e32 vcc, 11, v4
	s_cbranch_vccnz .LBB22_1342
; %bb.1333:
	v_cmp_lt_i16_e32 vcc, 25, v4
	s_cbranch_vccz .LBB22_1343
; %bb.1334:
	v_cmp_lt_i16_e32 vcc, 28, v4
	s_cbranch_vccz .LBB22_1344
	;; [unrolled: 3-line block ×4, first 2 shown]
; %bb.1337:
	v_cmp_eq_u16_e32 vcc, 46, v4
	s_mov_b64 s[28:29], 0
	s_cbranch_vccz .LBB22_1347
; %bb.1338:
	global_load_dword v5, v[0:1], off
	s_mov_b64 s[20:21], 0
	s_mov_b64 s[26:27], -1
	s_waitcnt vmcnt(0)
	v_lshlrev_b32_e32 v5, 16, v5
	v_cvt_f64_f32_e32 v[6:7], v5
	s_branch .LBB22_1349
.LBB22_1339:
	s_or_b64 exec, exec, s[0:1]
	s_and_saveexec_b64 s[0:1], s[18:19]
	s_cbranch_execnz .LBB22_1412
.LBB22_1340:
	s_or_b64 exec, exec, s[0:1]
	s_and_saveexec_b64 s[0:1], s[24:25]
	s_xor_b64 s[0:1], exec, s[0:1]
	s_cbranch_execz .LBB22_1413
.LBB22_1341:
	global_load_ubyte v5, v[0:1], off
	v_mov_b32_e32 v7, 0x3ff00000
	v_mov_b32_e32 v6, 0
	s_or_b64 s[26:27], s[26:27], exec
	s_waitcnt vmcnt(0)
	v_cmp_ne_u16_e32 vcc, 0, v5
	v_cndmask_b32_e32 v7, 0, v7, vcc
	s_or_b64 exec, exec, s[0:1]
	s_and_saveexec_b64 s[0:1], s[30:31]
	s_cbranch_execz .LBB22_1459
	s_branch .LBB22_1414
.LBB22_1342:
	s_mov_b64 s[28:29], -1
                                        ; implicit-def: $vgpr6_vgpr7
	s_mov_b64 s[20:21], s[18:19]
	s_branch .LBB22_1411
.LBB22_1343:
	s_mov_b64 s[20:21], s[18:19]
                                        ; implicit-def: $vgpr6_vgpr7
	s_cbranch_execnz .LBB22_1378
	s_branch .LBB22_1410
.LBB22_1344:
	s_mov_b64 s[28:29], -1
	s_mov_b64 s[20:21], s[18:19]
                                        ; implicit-def: $vgpr6_vgpr7
	s_branch .LBB22_1359
.LBB22_1345:
	s_mov_b64 s[28:29], -1
	s_mov_b64 s[20:21], s[18:19]
                                        ; implicit-def: $vgpr6_vgpr7
	s_branch .LBB22_1354
.LBB22_1346:
	s_mov_b64 s[28:29], -1
	s_mov_b64 s[20:21], s[18:19]
	s_branch .LBB22_1348
.LBB22_1347:
	s_mov_b64 s[20:21], -1
.LBB22_1348:
                                        ; implicit-def: $vgpr6_vgpr7
.LBB22_1349:
	s_and_b64 vcc, exec, s[28:29]
	s_cbranch_vccz .LBB22_1353
; %bb.1350:
	v_cmp_eq_u16_e32 vcc, 44, v4
	s_cbranch_vccz .LBB22_1352
; %bb.1351:
	global_load_ubyte v5, v[0:1], off
	s_movk_i32 s15, 0xff
	v_bfrev_b32_e32 v8, 4
	v_mov_b32_e32 v9, 0x7ff80000
	v_bfrev_b32_e32 v10, 28
	s_mov_b64 s[20:21], 0
	s_mov_b64 s[26:27], -1
	s_waitcnt vmcnt(0)
	v_lshlrev_b32_e32 v6, 23, v5
	v_cvt_f64_f32_e32 v[6:7], v6
	v_cmp_ne_u32_e32 vcc, s15, v5
	v_cndmask_b32_e32 v6, v8, v6, vcc
	v_cndmask_b32_e32 v7, v9, v7, vcc
	v_cmp_ne_u32_e32 vcc, 0, v5
	v_cndmask_b32_e32 v7, v10, v7, vcc
	v_cndmask_b32_e32 v6, 0, v6, vcc
	s_branch .LBB22_1353
.LBB22_1352:
	s_mov_b64 s[20:21], -1
                                        ; implicit-def: $vgpr6_vgpr7
.LBB22_1353:
	s_mov_b64 s[28:29], 0
.LBB22_1354:
	s_and_b64 vcc, exec, s[28:29]
	s_cbranch_vccz .LBB22_1358
; %bb.1355:
	v_cmp_eq_u16_e32 vcc, 29, v4
	s_cbranch_vccz .LBB22_1357
; %bb.1356:
	global_load_dwordx2 v[6:7], v[0:1], off
	s_mov_b64 s[20:21], 0
	s_mov_b64 s[26:27], -1
	s_mov_b64 s[28:29], 0
	s_waitcnt vmcnt(0)
	v_cvt_f64_u32_e32 v[8:9], v7
	v_cvt_f64_u32_e32 v[6:7], v6
	v_ldexp_f64 v[8:9], v[8:9], 32
	v_add_f64 v[6:7], v[8:9], v[6:7]
	s_branch .LBB22_1359
.LBB22_1357:
	s_mov_b64 s[20:21], -1
                                        ; implicit-def: $vgpr6_vgpr7
.LBB22_1358:
	s_mov_b64 s[28:29], 0
.LBB22_1359:
	s_and_b64 vcc, exec, s[28:29]
	s_cbranch_vccz .LBB22_1377
; %bb.1360:
	v_cmp_gt_i16_e32 vcc, 27, v4
	s_cbranch_vccnz .LBB22_1363
; %bb.1361:
	v_cmp_lt_i16_e32 vcc, 27, v4
	s_cbranch_vccz .LBB22_1364
; %bb.1362:
	global_load_dword v5, v[0:1], off
	s_mov_b64 s[26:27], 0
	s_waitcnt vmcnt(0)
	v_cvt_f64_u32_e32 v[6:7], v5
	s_branch .LBB22_1365
.LBB22_1363:
	s_mov_b64 s[26:27], -1
                                        ; implicit-def: $vgpr6_vgpr7
	s_branch .LBB22_1368
.LBB22_1364:
	s_mov_b64 s[26:27], -1
                                        ; implicit-def: $vgpr6_vgpr7
.LBB22_1365:
	s_andn2_b64 vcc, exec, s[26:27]
	s_cbranch_vccnz .LBB22_1367
; %bb.1366:
	global_load_ushort v5, v[0:1], off
	s_waitcnt vmcnt(0)
	v_cvt_f64_u32_e32 v[6:7], v5
.LBB22_1367:
	s_mov_b64 s[26:27], 0
.LBB22_1368:
	s_andn2_b64 vcc, exec, s[26:27]
	s_cbranch_vccnz .LBB22_1376
; %bb.1369:
	global_load_ubyte v5, v[0:1], off
	s_movk_i32 s15, 0x7f
	s_mov_b64 s[26:27], 0
                                        ; implicit-def: $sgpr28_sgpr29
	s_waitcnt vmcnt(0)
	v_cmp_lt_i16_e32 vcc, s15, v5
	s_and_saveexec_b64 s[30:31], vcc
	s_xor_b64 s[30:31], exec, s[30:31]
	s_cbranch_execz .LBB22_1389
; %bb.1370:
	s_movk_i32 s15, 0x80
	v_cmp_eq_u16_e32 vcc, s15, v5
	s_mov_b64 s[34:35], -1
                                        ; implicit-def: $sgpr28_sgpr29
	s_and_saveexec_b64 s[26:27], vcc
; %bb.1371:
	s_mov_b32 s29, 0x7ff80000
	s_brev_b32 s28, 4
	s_xor_b64 s[34:35], exec, -1
; %bb.1372:
	s_or_b64 exec, exec, s[26:27]
	s_and_b64 s[26:27], s[34:35], exec
	s_or_saveexec_b64 s[30:31], s[30:31]
	v_pk_mov_b32 v[6:7], s[28:29], s[28:29] op_sel:[0,1]
	s_xor_b64 exec, exec, s[30:31]
	s_cbranch_execnz .LBB22_1390
.LBB22_1373:
	s_or_b64 exec, exec, s[30:31]
	s_and_saveexec_b64 s[28:29], s[26:27]
	s_cbranch_execz .LBB22_1375
.LBB22_1374:
	v_lshlrev_b32_e32 v6, 24, v5
	v_and_b32_e32 v5, 0xffff, v5
	v_and_b32_e32 v7, 7, v5
	v_ffbh_u32_e32 v9, v7
	v_min_u32_e32 v9, 32, v9
	v_subrev_u32_e32 v10, 28, v9
	v_bfe_u32 v8, v5, 3, 4
	v_lshlrev_b32_e32 v5, v10, v5
	v_sub_u32_e32 v9, 29, v9
	v_and_b32_e32 v5, 7, v5
	v_cmp_eq_u32_e32 vcc, 0, v8
	v_cndmask_b32_e32 v8, v8, v9, vcc
	v_cndmask_b32_e32 v5, v7, v5, vcc
	v_mov_b32_e32 v7, 0x3b800000
	v_lshlrev_b32_e32 v5, 20, v5
	v_and_b32_e32 v6, 0x80000000, v6
	v_lshl_add_u32 v7, v8, 23, v7
	v_or3_b32 v5, v6, v7, v5
	v_cvt_f64_f32_e32 v[6:7], v5
.LBB22_1375:
	s_or_b64 exec, exec, s[28:29]
.LBB22_1376:
	s_mov_b64 s[26:27], -1
.LBB22_1377:
	s_branch .LBB22_1410
.LBB22_1378:
	v_cmp_lt_i16_e32 vcc, 22, v4
	s_cbranch_vccz .LBB22_1388
; %bb.1379:
	v_cmp_gt_i16_e32 vcc, 24, v4
	s_cbranch_vccnz .LBB22_1391
; %bb.1380:
	v_cmp_lt_i16_e32 vcc, 24, v4
	s_cbranch_vccz .LBB22_1392
; %bb.1381:
	global_load_ubyte v5, v[0:1], off
	s_movk_i32 s15, 0x7f
                                        ; implicit-def: $sgpr26_sgpr27
	s_waitcnt vmcnt(0)
	v_cmp_lt_i16_e32 vcc, s15, v5
	s_and_saveexec_b64 s[28:29], vcc
	s_xor_b64 s[28:29], exec, s[28:29]
	s_cbranch_execz .LBB22_1404
; %bb.1382:
	s_movk_i32 s15, 0x80
	v_cmp_eq_u16_e32 vcc, s15, v5
	s_mov_b64 s[30:31], -1
                                        ; implicit-def: $sgpr26_sgpr27
	s_and_saveexec_b64 s[24:25], vcc
; %bb.1383:
	s_mov_b32 s27, 0x7ff80000
	s_brev_b32 s26, 4
	s_xor_b64 s[30:31], exec, -1
; %bb.1384:
	s_or_b64 exec, exec, s[24:25]
	s_and_b64 s[24:25], s[30:31], exec
	s_or_saveexec_b64 s[28:29], s[28:29]
	v_pk_mov_b32 v[6:7], s[26:27], s[26:27] op_sel:[0,1]
	s_xor_b64 exec, exec, s[28:29]
	s_cbranch_execnz .LBB22_1405
.LBB22_1385:
	s_or_b64 exec, exec, s[28:29]
	s_and_saveexec_b64 s[26:27], s[24:25]
	s_cbranch_execz .LBB22_1387
.LBB22_1386:
	v_lshlrev_b32_e32 v6, 24, v5
	v_and_b32_e32 v5, 0xffff, v5
	v_and_b32_e32 v7, 3, v5
	v_ffbh_u32_e32 v9, v7
	v_min_u32_e32 v9, 32, v9
	v_subrev_u32_e32 v10, 29, v9
	v_bfe_u32 v8, v5, 2, 5
	v_lshlrev_b32_e32 v5, v10, v5
	v_sub_u32_e32 v9, 30, v9
	v_and_b32_e32 v5, 3, v5
	v_cmp_eq_u32_e32 vcc, 0, v8
	v_cndmask_b32_e32 v8, v8, v9, vcc
	v_cndmask_b32_e32 v5, v7, v5, vcc
	v_mov_b32_e32 v7, 0x37800000
	v_lshlrev_b32_e32 v5, 21, v5
	v_and_b32_e32 v6, 0x80000000, v6
	v_lshl_add_u32 v7, v8, 23, v7
	v_or3_b32 v5, v6, v7, v5
	v_cvt_f64_f32_e32 v[6:7], v5
.LBB22_1387:
	s_or_b64 exec, exec, s[26:27]
	s_mov_b64 s[24:25], 0
	s_branch .LBB22_1393
.LBB22_1388:
	s_mov_b64 s[24:25], -1
                                        ; implicit-def: $vgpr6_vgpr7
	s_branch .LBB22_1399
.LBB22_1389:
	s_or_saveexec_b64 s[30:31], s[30:31]
	v_pk_mov_b32 v[6:7], s[28:29], s[28:29] op_sel:[0,1]
	s_xor_b64 exec, exec, s[30:31]
	s_cbranch_execz .LBB22_1373
.LBB22_1390:
	v_cmp_ne_u16_e32 vcc, 0, v5
	s_andn2_b64 s[26:27], s[26:27], exec
	s_and_b64 s[28:29], vcc, exec
	v_pk_mov_b32 v[6:7], 0, 0
	s_or_b64 s[26:27], s[26:27], s[28:29]
	s_or_b64 exec, exec, s[30:31]
	s_and_saveexec_b64 s[28:29], s[26:27]
	s_cbranch_execnz .LBB22_1374
	s_branch .LBB22_1375
.LBB22_1391:
	s_mov_b64 s[24:25], -1
                                        ; implicit-def: $vgpr6_vgpr7
	s_branch .LBB22_1396
.LBB22_1392:
	s_mov_b64 s[24:25], -1
                                        ; implicit-def: $vgpr6_vgpr7
.LBB22_1393:
	s_and_b64 vcc, exec, s[24:25]
	s_cbranch_vccz .LBB22_1395
; %bb.1394:
	global_load_ubyte v5, v[0:1], off
	s_mov_b32 s15, 0x7f800000
	s_waitcnt vmcnt(0)
	v_lshlrev_b32_e32 v5, 24, v5
	v_and_b32_e32 v6, 0x7f000000, v5
	v_ffbh_u32_e32 v7, v6
	v_min_u32_e32 v7, 32, v7
	v_sub_u32_e64 v7, v7, 4 clamp
	v_lshlrev_b32_e32 v9, v7, v6
	v_lshlrev_b32_e32 v7, 23, v7
	v_lshrrev_b32_e32 v9, 4, v9
	v_add_u32_e32 v8, 0x1000000, v6
	v_sub_u32_e32 v7, v9, v7
	v_ashrrev_i32_e32 v8, 8, v8
	v_add_u32_e32 v7, 0x3c000000, v7
	v_and_or_b32 v7, v8, s15, v7
	v_cmp_ne_u32_e32 vcc, 0, v6
	v_cndmask_b32_e32 v6, 0, v7, vcc
	s_brev_b32 s15, 1
	v_and_or_b32 v5, v5, s15, v6
	v_cvt_f64_f32_e32 v[6:7], v5
.LBB22_1395:
	s_mov_b64 s[24:25], 0
.LBB22_1396:
	s_andn2_b64 vcc, exec, s[24:25]
	s_cbranch_vccnz .LBB22_1398
; %bb.1397:
	global_load_ubyte v5, v[0:1], off
	s_movk_i32 s15, 0x7f00
	s_brev_b32 s24, 16
	s_waitcnt vmcnt(0)
	v_lshlrev_b16_e32 v6, 8, v5
	v_lshlrev_b32_e32 v5, 25, v5
	v_lshrrev_b32_e32 v7, 4, v5
	v_and_or_b32 v8, v6, s15, 0.5
	v_or_b32_e32 v7, 0x70000000, v7
	v_add_f32_e32 v8, -0.5, v8
	v_mul_f32_e32 v7, 0x7800000, v7
	v_cmp_gt_u32_e32 vcc, s24, v5
	v_bfe_i32 v6, v6, 0, 16
	v_cndmask_b32_e32 v5, v7, v8, vcc
	s_brev_b32 s15, 1
	v_and_or_b32 v5, v6, s15, v5
	v_cvt_f64_f32_e32 v[6:7], v5
.LBB22_1398:
	s_mov_b64 s[24:25], 0
	s_mov_b64 s[26:27], -1
.LBB22_1399:
	s_andn2_b64 vcc, exec, s[24:25]
	s_mov_b64 s[24:25], 0
	s_cbranch_vccnz .LBB22_1410
; %bb.1400:
	v_cmp_lt_i16_e32 vcc, 14, v4
	s_cbranch_vccz .LBB22_1403
; %bb.1401:
	v_cmp_eq_u16_e32 vcc, 15, v4
	s_cbranch_vccz .LBB22_1406
; %bb.1402:
	global_load_ushort v5, v[0:1], off
	s_mov_b64 s[20:21], 0
	s_mov_b64 s[26:27], -1
	s_waitcnt vmcnt(0)
	v_lshlrev_b32_e32 v5, 16, v5
	v_cvt_f64_f32_e32 v[6:7], v5
	s_branch .LBB22_1407
.LBB22_1403:
	s_mov_b64 s[28:29], -1
                                        ; implicit-def: $vgpr6_vgpr7
	s_branch .LBB22_1408
.LBB22_1404:
	s_or_saveexec_b64 s[28:29], s[28:29]
	v_pk_mov_b32 v[6:7], s[26:27], s[26:27] op_sel:[0,1]
	s_xor_b64 exec, exec, s[28:29]
	s_cbranch_execz .LBB22_1385
.LBB22_1405:
	v_cmp_ne_u16_e32 vcc, 0, v5
	s_andn2_b64 s[24:25], s[24:25], exec
	s_and_b64 s[26:27], vcc, exec
	v_pk_mov_b32 v[6:7], 0, 0
	s_or_b64 s[24:25], s[24:25], s[26:27]
	s_or_b64 exec, exec, s[28:29]
	s_and_saveexec_b64 s[26:27], s[24:25]
	s_cbranch_execnz .LBB22_1386
	s_branch .LBB22_1387
.LBB22_1406:
	s_mov_b64 s[20:21], -1
                                        ; implicit-def: $vgpr6_vgpr7
.LBB22_1407:
	s_mov_b64 s[28:29], 0
.LBB22_1408:
	s_and_b64 vcc, exec, s[28:29]
	s_cbranch_vccz .LBB22_1410
; %bb.1409:
	v_cmp_ne_u16_e32 vcc, 11, v4
	s_andn2_b64 s[20:21], s[20:21], exec
	s_and_b64 s[28:29], vcc, exec
	s_mov_b64 s[24:25], -1
	s_or_b64 s[20:21], s[20:21], s[28:29]
                                        ; implicit-def: $vgpr6_vgpr7
.LBB22_1410:
	s_mov_b64 s[28:29], 0
.LBB22_1411:
	s_andn2_b64 s[18:19], s[18:19], exec
	s_and_b64 s[20:21], s[20:21], exec
	s_and_b64 s[26:27], s[26:27], exec
	;; [unrolled: 1-line block ×4, first 2 shown]
	s_or_b64 s[18:19], s[18:19], s[20:21]
	s_or_b64 exec, exec, s[0:1]
	s_and_saveexec_b64 s[0:1], s[18:19]
	s_cbranch_execz .LBB22_1340
.LBB22_1412:
	s_or_b64 s[22:23], s[22:23], exec
	s_andn2_b64 s[24:25], s[24:25], exec
	s_trap 2
                                        ; implicit-def: $vgpr6_vgpr7
	s_or_b64 exec, exec, s[0:1]
	s_and_saveexec_b64 s[0:1], s[24:25]
	s_xor_b64 s[0:1], exec, s[0:1]
	s_cbranch_execnz .LBB22_1341
.LBB22_1413:
	s_or_b64 exec, exec, s[0:1]
	s_and_saveexec_b64 s[0:1], s[30:31]
	s_cbranch_execz .LBB22_1459
.LBB22_1414:
	s_waitcnt vmcnt(0)
	v_cmp_gt_i16_e32 vcc, 5, v4
	s_cbranch_vccnz .LBB22_1419
; %bb.1415:
	v_cmp_gt_i16_e32 vcc, 8, v4
	s_cbranch_vccnz .LBB22_1420
; %bb.1416:
	;; [unrolled: 3-line block ×3, first 2 shown]
	v_cmp_lt_i16_e32 vcc, 9, v4
	s_cbranch_vccz .LBB22_1422
; %bb.1418:
	global_load_dwordx2 v[6:7], v[0:1], off
	s_mov_b64 s[18:19], 0
	s_branch .LBB22_1423
.LBB22_1419:
                                        ; implicit-def: $vgpr6_vgpr7
	s_branch .LBB22_1440
.LBB22_1420:
                                        ; implicit-def: $vgpr6_vgpr7
	s_branch .LBB22_1429
.LBB22_1421:
	s_mov_b64 s[18:19], -1
                                        ; implicit-def: $vgpr6_vgpr7
	s_branch .LBB22_1426
.LBB22_1422:
	s_mov_b64 s[18:19], -1
                                        ; implicit-def: $vgpr6_vgpr7
.LBB22_1423:
	s_andn2_b64 vcc, exec, s[18:19]
	s_cbranch_vccnz .LBB22_1425
; %bb.1424:
	global_load_dword v5, v[0:1], off
	s_waitcnt vmcnt(0)
	v_cvt_f64_f32_e32 v[6:7], v5
.LBB22_1425:
	s_mov_b64 s[18:19], 0
.LBB22_1426:
	s_andn2_b64 vcc, exec, s[18:19]
	s_cbranch_vccnz .LBB22_1428
; %bb.1427:
	global_load_dword v5, v[0:1], off
	s_waitcnt vmcnt(0)
	v_cvt_f32_f16_e32 v5, v5
	v_cvt_f64_f32_e32 v[6:7], v5
.LBB22_1428:
	s_cbranch_execnz .LBB22_1439
.LBB22_1429:
	v_cmp_gt_i16_e32 vcc, 6, v4
	s_cbranch_vccnz .LBB22_1432
; %bb.1430:
	v_cmp_lt_i16_e32 vcc, 6, v4
	s_cbranch_vccz .LBB22_1433
; %bb.1431:
	global_load_dwordx2 v[6:7], v[0:1], off
	s_mov_b64 s[18:19], 0
	s_branch .LBB22_1434
.LBB22_1432:
	s_mov_b64 s[18:19], -1
                                        ; implicit-def: $vgpr6_vgpr7
	s_branch .LBB22_1437
.LBB22_1433:
	s_mov_b64 s[18:19], -1
                                        ; implicit-def: $vgpr6_vgpr7
.LBB22_1434:
	s_andn2_b64 vcc, exec, s[18:19]
	s_cbranch_vccnz .LBB22_1436
; %bb.1435:
	global_load_dword v5, v[0:1], off
	s_waitcnt vmcnt(0)
	v_cvt_f64_f32_e32 v[6:7], v5
.LBB22_1436:
	s_mov_b64 s[18:19], 0
.LBB22_1437:
	s_andn2_b64 vcc, exec, s[18:19]
	s_cbranch_vccnz .LBB22_1439
; %bb.1438:
	global_load_ushort v5, v[0:1], off
	s_waitcnt vmcnt(0)
	v_cvt_f32_f16_e32 v5, v5
	v_cvt_f64_f32_e32 v[6:7], v5
.LBB22_1439:
	s_cbranch_execnz .LBB22_1458
.LBB22_1440:
	v_cmp_gt_i16_e32 vcc, 2, v4
	s_cbranch_vccnz .LBB22_1444
; %bb.1441:
	v_cmp_gt_i16_e32 vcc, 3, v4
	s_cbranch_vccnz .LBB22_1445
; %bb.1442:
	v_cmp_lt_i16_e32 vcc, 3, v4
	s_cbranch_vccz .LBB22_1446
; %bb.1443:
	global_load_dwordx2 v[6:7], v[0:1], off
	s_mov_b64 s[18:19], 0
	s_waitcnt vmcnt(0)
	v_cvt_f64_i32_e32 v[8:9], v7
	v_cvt_f64_u32_e32 v[6:7], v6
	v_ldexp_f64 v[8:9], v[8:9], 32
	v_add_f64 v[6:7], v[8:9], v[6:7]
	s_branch .LBB22_1447
.LBB22_1444:
                                        ; implicit-def: $vgpr6_vgpr7
	s_branch .LBB22_1453
.LBB22_1445:
	s_mov_b64 s[18:19], -1
                                        ; implicit-def: $vgpr6_vgpr7
	s_branch .LBB22_1450
.LBB22_1446:
	s_mov_b64 s[18:19], -1
                                        ; implicit-def: $vgpr6_vgpr7
.LBB22_1447:
	s_andn2_b64 vcc, exec, s[18:19]
	s_cbranch_vccnz .LBB22_1449
; %bb.1448:
	global_load_dword v5, v[0:1], off
	s_waitcnt vmcnt(0)
	v_cvt_f64_i32_e32 v[6:7], v5
.LBB22_1449:
	s_mov_b64 s[18:19], 0
.LBB22_1450:
	s_andn2_b64 vcc, exec, s[18:19]
	s_cbranch_vccnz .LBB22_1452
; %bb.1451:
	global_load_sshort v5, v[0:1], off
	s_waitcnt vmcnt(0)
	v_cvt_f64_i32_e32 v[6:7], v5
.LBB22_1452:
	s_cbranch_execnz .LBB22_1458
.LBB22_1453:
	v_cmp_lt_i16_e32 vcc, 0, v4
	s_cbranch_vccz .LBB22_1455
; %bb.1454:
	global_load_sbyte v4, v[0:1], off
	s_mov_b64 s[18:19], 0
	s_waitcnt vmcnt(0)
	v_cvt_f64_i32_e32 v[6:7], v4
	s_branch .LBB22_1456
.LBB22_1455:
	s_mov_b64 s[18:19], -1
                                        ; implicit-def: $vgpr6_vgpr7
.LBB22_1456:
	s_andn2_b64 vcc, exec, s[18:19]
	s_cbranch_vccnz .LBB22_1458
; %bb.1457:
	global_load_ubyte v0, v[0:1], off
	s_waitcnt vmcnt(0)
	v_cvt_f64_u32_e32 v[6:7], v0
.LBB22_1458:
	s_or_b64 s[26:27], s[26:27], exec
.LBB22_1459:
	s_or_b64 exec, exec, s[0:1]
	s_mov_b64 s[24:25], 0
	s_mov_b64 s[20:21], 0
                                        ; implicit-def: $vgpr8
                                        ; implicit-def: $vgpr4_vgpr5
                                        ; implicit-def: $vgpr0_vgpr1
	s_and_saveexec_b64 s[18:19], s[26:27]
	s_cbranch_execz .LBB22_1546
; %bb.1460:
	s_waitcnt vmcnt(0)
	v_trunc_f64_e32 v[0:1], v[6:7]
	s_movk_i32 s0, 0xffe0
	v_ldexp_f64 v[4:5], v[0:1], s0
	v_floor_f64_e32 v[6:7], v[4:5]
	v_fmac_f64_e32 v[0:1], 0xc1f00000, v[6:7]
	v_cvt_i32_f64_e32 v5, v[6:7]
	v_cvt_u32_f64_e32 v4, v[0:1]
	v_cmp_lt_i64_e32 vcc, -1, v[4:5]
	v_pk_mov_b32 v[0:1], 0, 0
	s_and_saveexec_b64 s[0:1], vcc
	s_cbranch_execz .LBB22_1472
; %bb.1461:
	v_mov_b32_e32 v0, 0
	v_cmp_lt_i64_e32 vcc, 0, v[4:5]
	v_mov_b32_e32 v1, 0x3ff00000
	s_and_saveexec_b64 s[20:21], vcc
	s_cbranch_execz .LBB22_1471
; %bb.1462:
	v_cmp_ne_u64_e32 vcc, 1, v[4:5]
                                        ; implicit-def: $vgpr0_vgpr1
	s_and_saveexec_b64 s[24:25], vcc
	s_xor_b64 s[24:25], exec, s[24:25]
	s_cbranch_execz .LBB22_1468
; %bb.1463:
	s_mov_b64 s[26:27], 0x201
	v_mov_b32_e32 v0, 0
	v_cmp_gt_u64_e32 vcc, s[26:27], v[4:5]
	v_mov_b32_e32 v1, 0x7ff80000
	s_and_saveexec_b64 s[26:27], vcc
	s_cbranch_execz .LBB22_1467
; %bb.1464:
	v_mov_b32_e32 v6, 0
	s_mov_b64 s[30:31], 1
	s_mov_b64 s[28:29], 0
	v_mov_b32_e32 v7, 0x3ff00000
	v_pk_mov_b32 v[0:1], v[2:3], v[2:3] op_sel:[0,1]
.LBB22_1465:                            ; =>This Inner Loop Header: Depth=1
	v_cvt_f64_u32_e32 v[8:9], s31
	v_cvt_f64_u32_e32 v[10:11], s30
	s_add_u32 s30, s30, 1
	v_ldexp_f64 v[8:9], v[8:9], 32
	s_addc_u32 s31, s31, 0
	v_add_f64 v[8:9], v[8:9], v[10:11]
	v_cmp_eq_u64_e32 vcc, s[30:31], v[4:5]
	v_mul_f64 v[8:9], v[6:7], v[8:9]
	s_or_b64 s[28:29], vcc, s[28:29]
	v_pk_mov_b32 v[6:7], v[0:1], v[0:1] op_sel:[0,1]
	v_fma_f64 v[0:1], v[2:3], v[0:1], -v[8:9]
	s_andn2_b64 exec, exec, s[28:29]
	s_cbranch_execnz .LBB22_1465
; %bb.1466:
	s_or_b64 exec, exec, s[28:29]
.LBB22_1467:
	s_or_b64 exec, exec, s[26:27]
                                        ; implicit-def: $vgpr2_vgpr3
.LBB22_1468:
	s_andn2_saveexec_b64 s[24:25], s[24:25]
; %bb.1469:
	v_pk_mov_b32 v[0:1], v[2:3], v[2:3] op_sel:[0,1]
; %bb.1470:
	s_or_b64 exec, exec, s[24:25]
.LBB22_1471:
	s_or_b64 exec, exec, s[20:21]
.LBB22_1472:
	s_or_b64 exec, exec, s[0:1]
	v_mul_lo_u32 v2, v15, s12
	v_ashrrev_i32_e32 v3, 31, v2
	v_mov_b32_e32 v5, s9
	v_add_co_u32_e32 v4, vcc, s8, v2
	v_addc_co_u32_e32 v5, vcc, v5, v3, vcc
	v_and_b32_e32 v8, 0xff, v14
	v_cmp_gt_i16_e32 vcc, 11, v8
	s_cbranch_vccnz .LBB22_1549
; %bb.1473:
	v_cmp_lt_i16_e32 vcc, 25, v8
	s_mov_b64 s[24:25], -1
	s_mov_b64 s[0:1], s[6:7]
	s_cbranch_vccz .LBB22_1506
; %bb.1474:
	v_cmp_lt_i16_e32 vcc, 28, v8
	s_mov_b64 s[20:21], -1
	s_mov_b64 s[0:1], s[6:7]
	s_cbranch_vccz .LBB22_1490
; %bb.1475:
	v_cmp_lt_i16_e32 vcc, 43, v8
	s_mov_b64 s[0:1], s[6:7]
	s_cbranch_vccz .LBB22_1486
; %bb.1476:
	v_cmp_lt_i16_e32 vcc, 45, v8
	s_mov_b64 s[0:1], s[6:7]
	s_cbranch_vccz .LBB22_1480
; %bb.1477:
	v_cmp_eq_u16_e32 vcc, 46, v8
	s_mov_b64 s[0:1], -1
	s_cbranch_vccz .LBB22_1479
; %bb.1478:
	v_cvt_f32_f64_e32 v2, v[0:1]
	v_bfe_u32 v3, v2, 16, 1
	s_movk_i32 s0, 0x7fff
	v_add3_u32 v3, v2, v3, s0
	v_lshrrev_b32_e32 v3, 16, v3
	v_mov_b32_e32 v6, 0x7fc0
	v_cmp_o_f32_e32 vcc, v2, v2
	v_cndmask_b32_e32 v2, v6, v3, vcc
	global_store_dword v[4:5], v2, off
	s_mov_b64 s[0:1], 0
.LBB22_1479:
	s_mov_b64 s[20:21], 0
.LBB22_1480:
	s_and_b64 vcc, exec, s[20:21]
	s_cbranch_vccz .LBB22_1485
; %bb.1481:
	v_cmp_eq_u16_e32 vcc, 44, v8
	s_mov_b64 s[0:1], -1
	s_cbranch_vccz .LBB22_1485
; %bb.1482:
	v_cvt_f32_f64_e32 v2, v[0:1]
	v_bfe_u32 v3, v2, 23, 8
	s_movk_i32 s0, 0xff
	v_cmp_ne_u32_e32 vcc, s0, v3
	v_mov_b32_e32 v6, 0xff
	s_and_saveexec_b64 s[20:21], vcc
; %bb.1483:
	s_mov_b32 s0, 0x3fffff
	v_lshrrev_b32_e32 v6, 23, v2
	v_and_b32_e32 v7, 0x400000, v2
	v_and_or_b32 v2, v2, s0, v3
	v_cmp_ne_u32_e32 vcc, 0, v7
	v_cmp_ne_u32_e64 s[0:1], 0, v2
	s_and_b64 s[0:1], vcc, s[0:1]
	v_cndmask_b32_e64 v2, 0, 1, s[0:1]
	v_add_u32_e32 v6, v6, v2
; %bb.1484:
	s_or_b64 exec, exec, s[20:21]
	s_mov_b64 s[0:1], 0
	global_store_byte v[4:5], v6, off
.LBB22_1485:
	s_mov_b64 s[20:21], 0
.LBB22_1486:
	s_and_b64 vcc, exec, s[20:21]
	s_cbranch_vccz .LBB22_1489
; %bb.1487:
	v_cmp_eq_u16_e32 vcc, 29, v8
	s_mov_b64 s[0:1], -1
	s_cbranch_vccz .LBB22_1489
; %bb.1488:
	v_trunc_f64_e32 v[2:3], v[0:1]
	s_movk_i32 s0, 0xffe0
	v_ldexp_f64 v[6:7], v[2:3], s0
	v_floor_f64_e32 v[6:7], v[6:7]
	v_fmac_f64_e32 v[2:3], 0xc1f00000, v[6:7]
	v_cvt_u32_f64_e32 v11, v[6:7]
	v_cvt_u32_f64_e32 v10, v[2:3]
	global_store_dwordx2 v[4:5], v[10:11], off
	s_mov_b64 s[0:1], 0
.LBB22_1489:
	s_mov_b64 s[20:21], 0
.LBB22_1490:
	s_and_b64 vcc, exec, s[20:21]
	s_cbranch_vccz .LBB22_1505
; %bb.1491:
	v_cmp_gt_i16_e32 vcc, 27, v8
	s_mov_b64 s[20:21], -1
	s_cbranch_vccnz .LBB22_1497
; %bb.1492:
	v_cmp_lt_i16_e32 vcc, 27, v8
	v_cvt_u32_f64_e32 v2, v[0:1]
	s_cbranch_vccz .LBB22_1494
; %bb.1493:
	s_mov_b64 s[20:21], 0
	global_store_dword v[4:5], v2, off
.LBB22_1494:
	s_andn2_b64 vcc, exec, s[20:21]
	s_cbranch_vccnz .LBB22_1496
; %bb.1495:
	global_store_short v[4:5], v2, off
.LBB22_1496:
	s_mov_b64 s[20:21], 0
.LBB22_1497:
	s_andn2_b64 vcc, exec, s[20:21]
	s_cbranch_vccnz .LBB22_1505
; %bb.1498:
	v_cvt_f32_f64_e32 v2, v[0:1]
	v_and_b32_e32 v3, 0x7fffffff, v2
	s_mov_b32 s15, 0x43800000
	v_cmp_gt_u32_e32 vcc, s15, v3
	v_mov_b32_e32 v6, 0x80
	s_and_saveexec_b64 s[20:21], vcc
	s_cbranch_execz .LBB22_1504
; %bb.1499:
	s_mov_b32 s15, 0x3bffffff
	v_cmp_lt_u32_e32 vcc, s15, v3
	s_mov_b64 s[24:25], 0
                                        ; implicit-def: $vgpr3
	s_and_saveexec_b64 s[26:27], vcc
	s_xor_b64 s[26:27], exec, s[26:27]
	s_cbranch_execz .LBB22_1606
; %bb.1500:
	v_bfe_u32 v3, v2, 20, 1
	s_mov_b32 s15, 0x487ffff
	v_add3_u32 v3, v2, v3, s15
	s_mov_b64 s[24:25], exec
	v_lshrrev_b32_e32 v3, 20, v3
	s_or_saveexec_b64 s[26:27], s[26:27]
                                        ; implicit-def: $sgpr15
	s_xor_b64 exec, exec, s[26:27]
	s_cbranch_execnz .LBB22_1607
.LBB22_1501:
	s_or_b64 exec, exec, s[26:27]
	v_mov_b32_e32 v6, s15
	s_and_saveexec_b64 s[26:27], s[24:25]
.LBB22_1502:
	v_lshrrev_b32_e32 v2, 24, v2
	s_movk_i32 s15, 0x80
	v_and_or_b32 v6, v2, s15, v3
.LBB22_1503:
	s_or_b64 exec, exec, s[26:27]
.LBB22_1504:
	s_or_b64 exec, exec, s[20:21]
	global_store_byte v[4:5], v6, off
.LBB22_1505:
	s_mov_b64 s[24:25], 0
.LBB22_1506:
	s_mov_b64 s[20:21], 0
	s_and_b64 vcc, exec, s[24:25]
	s_cbranch_vccz .LBB22_1550
; %bb.1507:
	v_cmp_lt_i16_e32 vcc, 22, v8
	s_mov_b64 s[24:25], -1
	s_cbranch_vccz .LBB22_1539
; %bb.1508:
	v_cmp_gt_i16_e32 vcc, 24, v8
	s_cbranch_vccnz .LBB22_1528
; %bb.1509:
	v_cmp_lt_i16_e32 vcc, 24, v8
	s_cbranch_vccz .LBB22_1517
; %bb.1510:
	v_cvt_f32_f64_e32 v2, v[0:1]
	v_and_b32_e32 v3, 0x7fffffff, v2
	s_mov_b32 s15, 0x47800000
	v_cmp_gt_u32_e32 vcc, s15, v3
	v_mov_b32_e32 v6, 0x80
	s_and_saveexec_b64 s[24:25], vcc
	s_cbranch_execz .LBB22_1516
; %bb.1511:
	s_mov_b32 s15, 0x37ffffff
	v_cmp_lt_u32_e32 vcc, s15, v3
	s_mov_b64 s[26:27], 0
                                        ; implicit-def: $vgpr3
	s_and_saveexec_b64 s[28:29], vcc
	s_xor_b64 s[28:29], exec, s[28:29]
	s_cbranch_execz .LBB22_1731
; %bb.1512:
	v_bfe_u32 v3, v2, 21, 1
	s_mov_b32 s15, 0x88fffff
	v_add3_u32 v3, v2, v3, s15
	s_mov_b64 s[26:27], exec
	v_lshrrev_b32_e32 v3, 21, v3
	s_or_saveexec_b64 s[28:29], s[28:29]
                                        ; implicit-def: $sgpr15
	s_xor_b64 exec, exec, s[28:29]
	s_cbranch_execnz .LBB22_1732
.LBB22_1513:
	s_or_b64 exec, exec, s[28:29]
	v_mov_b32_e32 v6, s15
	s_and_saveexec_b64 s[28:29], s[26:27]
.LBB22_1514:
	v_lshrrev_b32_e32 v2, 24, v2
	s_movk_i32 s15, 0x80
	v_and_or_b32 v6, v2, s15, v3
.LBB22_1515:
	s_or_b64 exec, exec, s[28:29]
.LBB22_1516:
	s_or_b64 exec, exec, s[24:25]
	s_mov_b64 s[24:25], 0
	global_store_byte v[4:5], v6, off
.LBB22_1517:
	s_and_b64 vcc, exec, s[24:25]
	s_cbranch_vccz .LBB22_1527
; %bb.1518:
	v_cvt_f32_f64_e32 v2, v[0:1]
	v_and_b32_e32 v6, 0x7fffffff, v2
	s_mov_b32 s15, 0x43f00000
	v_cmp_gt_u32_e32 vcc, s15, v6
                                        ; implicit-def: $vgpr3
	s_and_saveexec_b64 s[24:25], vcc
	s_xor_b64 s[24:25], exec, s[24:25]
	s_cbranch_execz .LBB22_1524
; %bb.1519:
	s_mov_b32 s15, 0x3c7fffff
	v_cmp_lt_u32_e32 vcc, s15, v6
                                        ; implicit-def: $vgpr3
	s_and_saveexec_b64 s[26:27], vcc
	s_xor_b64 s[26:27], exec, s[26:27]
; %bb.1520:
	v_bfe_u32 v3, v2, 20, 1
	s_mov_b32 s15, 0x407ffff
	v_add3_u32 v3, v2, v3, s15
	v_lshrrev_b32_e32 v6, 20, v3
	v_and_b32_e32 v3, 0xff00000, v3
	s_mov_b32 s15, 0x7f00000
	v_mov_b32_e32 v7, 0x7e
	v_cmp_ne_u32_e32 vcc, s15, v3
	v_cndmask_b32_e32 v3, v7, v6, vcc
; %bb.1521:
	s_andn2_saveexec_b64 s[26:27], s[26:27]
; %bb.1522:
	s_mov_b32 s15, 0x46800000
	v_add_f32_e64 v3, |v2|, s15
; %bb.1523:
	s_or_b64 exec, exec, s[26:27]
                                        ; implicit-def: $vgpr6
.LBB22_1524:
	s_andn2_saveexec_b64 s[24:25], s[24:25]
; %bb.1525:
	s_mov_b32 s15, 0x7f800000
	v_mov_b32_e32 v3, 0x7e
	v_mov_b32_e32 v7, 0x7f
	v_cmp_lt_u32_e32 vcc, s15, v6
	v_cndmask_b32_e32 v3, v3, v7, vcc
; %bb.1526:
	s_or_b64 exec, exec, s[24:25]
	v_lshrrev_b32_e32 v2, 24, v2
	s_movk_i32 s15, 0x80
	v_and_or_b32 v2, v2, s15, v3
	global_store_byte v[4:5], v2, off
.LBB22_1527:
	s_mov_b64 s[24:25], 0
.LBB22_1528:
	s_andn2_b64 vcc, exec, s[24:25]
	s_cbranch_vccnz .LBB22_1538
; %bb.1529:
	v_cvt_f32_f64_e32 v2, v[0:1]
	v_and_b32_e32 v6, 0x7fffffff, v2
	s_mov_b32 s15, 0x47800000
	v_cmp_gt_u32_e32 vcc, s15, v6
                                        ; implicit-def: $vgpr3
	s_and_saveexec_b64 s[24:25], vcc
	s_xor_b64 s[24:25], exec, s[24:25]
	s_cbranch_execz .LBB22_1535
; %bb.1530:
	s_mov_b32 s15, 0x387fffff
	v_cmp_lt_u32_e32 vcc, s15, v6
                                        ; implicit-def: $vgpr3
	s_and_saveexec_b64 s[26:27], vcc
	s_xor_b64 s[26:27], exec, s[26:27]
; %bb.1531:
	v_bfe_u32 v3, v2, 21, 1
	s_mov_b32 s15, 0x80fffff
	v_add3_u32 v3, v2, v3, s15
	v_lshrrev_b32_e32 v3, 21, v3
; %bb.1532:
	s_andn2_saveexec_b64 s[26:27], s[26:27]
; %bb.1533:
	s_mov_b32 s15, 0x43000000
	v_add_f32_e64 v3, |v2|, s15
; %bb.1534:
	s_or_b64 exec, exec, s[26:27]
                                        ; implicit-def: $vgpr6
.LBB22_1535:
	s_andn2_saveexec_b64 s[24:25], s[24:25]
; %bb.1536:
	s_mov_b32 s15, 0x7f800000
	v_mov_b32_e32 v3, 0x7c
	v_mov_b32_e32 v7, 0x7f
	v_cmp_lt_u32_e32 vcc, s15, v6
	v_cndmask_b32_e32 v3, v3, v7, vcc
; %bb.1537:
	s_or_b64 exec, exec, s[24:25]
	v_lshrrev_b32_e32 v2, 24, v2
	s_movk_i32 s15, 0x80
	v_and_or_b32 v2, v2, s15, v3
	global_store_byte v[4:5], v2, off
.LBB22_1538:
	s_mov_b64 s[24:25], 0
.LBB22_1539:
	s_andn2_b64 vcc, exec, s[24:25]
	s_mov_b64 s[24:25], 0
	s_cbranch_vccnz .LBB22_1551
; %bb.1540:
	v_cmp_lt_i16_e32 vcc, 14, v8
	s_mov_b64 s[26:27], -1
	s_cbranch_vccz .LBB22_1544
; %bb.1541:
	v_cmp_eq_u16_e32 vcc, 15, v8
	s_mov_b64 s[0:1], -1
	s_cbranch_vccz .LBB22_1543
; %bb.1542:
	v_cvt_f32_f64_e32 v2, v[0:1]
	v_bfe_u32 v3, v2, 16, 1
	s_movk_i32 s0, 0x7fff
	v_add3_u32 v3, v2, v3, s0
	v_lshrrev_b32_e32 v3, 16, v3
	v_mov_b32_e32 v6, 0x7fc0
	v_cmp_o_f32_e32 vcc, v2, v2
	v_cndmask_b32_e32 v2, v6, v3, vcc
	global_store_short v[4:5], v2, off
	s_mov_b64 s[0:1], 0
.LBB22_1543:
	s_mov_b64 s[26:27], 0
.LBB22_1544:
	s_and_b64 vcc, exec, s[26:27]
	s_cbranch_vccz .LBB22_1551
; %bb.1545:
	v_cmp_ne_u16_e32 vcc, 11, v8
	s_andn2_b64 s[0:1], s[0:1], exec
	s_and_b64 s[26:27], vcc, exec
	s_mov_b64 s[24:25], -1
	s_or_b64 s[0:1], s[0:1], s[26:27]
	s_branch .LBB22_1551
.LBB22_1546:
	s_or_b64 exec, exec, s[18:19]
	s_and_saveexec_b64 s[0:1], s[6:7]
	s_cbranch_execnz .LBB22_1552
.LBB22_1547:
	s_or_b64 exec, exec, s[0:1]
	s_and_saveexec_b64 s[0:1], s[24:25]
	s_xor_b64 s[0:1], exec, s[0:1]
	s_cbranch_execz .LBB22_1553
.LBB22_1548:
	v_cmp_neq_f64_e32 vcc, 0, v[0:1]
	s_waitcnt vmcnt(0)
	v_cndmask_b32_e64 v2, 0, 1, vcc
	global_store_byte v[4:5], v2, off
	s_or_b64 exec, exec, s[0:1]
	s_and_saveexec_b64 s[0:1], s[20:21]
	s_xor_b64 s[0:1], exec, s[0:1]
	s_cbranch_execz .LBB22_1591
	s_branch .LBB22_1554
.LBB22_1549:
	s_mov_b64 s[24:25], 0
	s_mov_b64 s[20:21], -1
	s_mov_b64 s[0:1], s[6:7]
	s_branch .LBB22_1551
.LBB22_1550:
	s_mov_b64 s[24:25], 0
.LBB22_1551:
	s_andn2_b64 s[6:7], s[6:7], exec
	s_and_b64 s[0:1], s[0:1], exec
	s_and_b64 s[20:21], s[20:21], exec
	;; [unrolled: 1-line block ×3, first 2 shown]
	s_or_b64 s[6:7], s[6:7], s[0:1]
	s_or_b64 exec, exec, s[18:19]
	s_and_saveexec_b64 s[0:1], s[6:7]
	s_cbranch_execz .LBB22_1547
.LBB22_1552:
	s_or_b64 s[22:23], s[22:23], exec
	s_andn2_b64 s[24:25], s[24:25], exec
	s_trap 2
	s_or_b64 exec, exec, s[0:1]
	s_and_saveexec_b64 s[0:1], s[24:25]
	s_xor_b64 s[0:1], exec, s[0:1]
	s_cbranch_execnz .LBB22_1548
.LBB22_1553:
	s_or_b64 exec, exec, s[0:1]
	s_and_saveexec_b64 s[0:1], s[20:21]
	s_xor_b64 s[0:1], exec, s[0:1]
	s_cbranch_execz .LBB22_1591
.LBB22_1554:
	v_cmp_gt_i16_e32 vcc, 5, v8
	s_mov_b64 s[6:7], -1
	s_cbranch_vccnz .LBB22_1575
; %bb.1555:
	v_cmp_gt_i16_e32 vcc, 8, v8
	s_cbranch_vccnz .LBB22_1565
; %bb.1556:
	v_cmp_gt_i16_e32 vcc, 9, v8
	s_cbranch_vccnz .LBB22_1562
; %bb.1557:
	v_cmp_lt_i16_e32 vcc, 9, v8
	s_cbranch_vccz .LBB22_1559
; %bb.1558:
	s_waitcnt vmcnt(0)
	v_mov_b32_e32 v2, 0
	v_mov_b32_e32 v3, v2
	s_mov_b64 s[6:7], 0
	global_store_dwordx4 v[4:5], v[0:3], off
.LBB22_1559:
	s_andn2_b64 vcc, exec, s[6:7]
	s_cbranch_vccnz .LBB22_1561
; %bb.1560:
	s_waitcnt vmcnt(0)
	v_cvt_f32_f64_e32 v2, v[0:1]
	v_mov_b32_e32 v3, 0
	global_store_dwordx2 v[4:5], v[2:3], off
.LBB22_1561:
	s_mov_b64 s[6:7], 0
.LBB22_1562:
	s_andn2_b64 vcc, exec, s[6:7]
	s_cbranch_vccnz .LBB22_1564
; %bb.1563:
	s_waitcnt vmcnt(0)
	v_cvt_f32_f64_e32 v2, v[0:1]
	v_cvt_f16_f32_e32 v2, v2
	global_store_dword v[4:5], v2, off
.LBB22_1564:
	s_mov_b64 s[6:7], 0
.LBB22_1565:
	s_andn2_b64 vcc, exec, s[6:7]
	s_cbranch_vccnz .LBB22_1574
; %bb.1566:
	v_cmp_gt_i16_e32 vcc, 6, v8
	s_mov_b64 s[6:7], -1
	s_cbranch_vccnz .LBB22_1572
; %bb.1567:
	v_cmp_lt_i16_e32 vcc, 6, v8
	s_cbranch_vccz .LBB22_1569
; %bb.1568:
	s_mov_b64 s[6:7], 0
	s_waitcnt vmcnt(0)
	global_store_dwordx2 v[4:5], v[0:1], off
.LBB22_1569:
	s_andn2_b64 vcc, exec, s[6:7]
	s_cbranch_vccnz .LBB22_1571
; %bb.1570:
	s_waitcnt vmcnt(0)
	v_cvt_f32_f64_e32 v2, v[0:1]
	global_store_dword v[4:5], v2, off
.LBB22_1571:
	s_mov_b64 s[6:7], 0
.LBB22_1572:
	s_andn2_b64 vcc, exec, s[6:7]
	s_cbranch_vccnz .LBB22_1574
; %bb.1573:
	s_waitcnt vmcnt(0)
	v_cvt_f32_f64_e32 v2, v[0:1]
	v_cvt_f16_f32_e32 v2, v2
	global_store_short v[4:5], v2, off
.LBB22_1574:
	s_mov_b64 s[6:7], 0
.LBB22_1575:
	s_andn2_b64 vcc, exec, s[6:7]
	s_cbranch_vccnz .LBB22_1591
; %bb.1576:
	v_cmp_gt_i16_e32 vcc, 2, v8
	s_mov_b64 s[6:7], -1
	s_cbranch_vccnz .LBB22_1586
; %bb.1577:
	v_cmp_gt_i16_e32 vcc, 3, v8
	s_cbranch_vccnz .LBB22_1583
; %bb.1578:
	v_cmp_lt_i16_e32 vcc, 3, v8
	s_cbranch_vccz .LBB22_1580
; %bb.1579:
	s_waitcnt vmcnt(0)
	v_trunc_f64_e32 v[2:3], v[0:1]
	s_movk_i32 s6, 0xffe0
	v_ldexp_f64 v[6:7], v[2:3], s6
	v_floor_f64_e32 v[6:7], v[6:7]
	v_fmac_f64_e32 v[2:3], 0xc1f00000, v[6:7]
	v_cvt_i32_f64_e32 v11, v[6:7]
	v_cvt_u32_f64_e32 v10, v[2:3]
	s_mov_b64 s[6:7], 0
	global_store_dwordx2 v[4:5], v[10:11], off
.LBB22_1580:
	s_andn2_b64 vcc, exec, s[6:7]
	s_cbranch_vccnz .LBB22_1582
; %bb.1581:
	s_waitcnt vmcnt(0)
	v_cvt_i32_f64_e32 v2, v[0:1]
	global_store_dword v[4:5], v2, off
.LBB22_1582:
	s_mov_b64 s[6:7], 0
.LBB22_1583:
	s_andn2_b64 vcc, exec, s[6:7]
	s_cbranch_vccnz .LBB22_1585
; %bb.1584:
	s_waitcnt vmcnt(0)
	v_cvt_i32_f64_e32 v2, v[0:1]
	global_store_short v[4:5], v2, off
.LBB22_1585:
	s_mov_b64 s[6:7], 0
.LBB22_1586:
	s_andn2_b64 vcc, exec, s[6:7]
	s_cbranch_vccnz .LBB22_1591
; %bb.1587:
	v_cmp_lt_i16_e32 vcc, 0, v8
	s_mov_b64 s[6:7], -1
	s_cbranch_vccz .LBB22_1589
; %bb.1588:
	s_waitcnt vmcnt(0)
	v_cvt_i32_f64_e32 v2, v[0:1]
	s_mov_b64 s[6:7], 0
	global_store_byte v[4:5], v2, off
.LBB22_1589:
	s_andn2_b64 vcc, exec, s[6:7]
	s_cbranch_vccnz .LBB22_1591
; %bb.1590:
	v_trunc_f64_e32 v[0:1], v[0:1]
	s_movk_i32 s6, 0xffe0
	s_waitcnt vmcnt(0)
	v_ldexp_f64 v[2:3], v[0:1], s6
	v_floor_f64_e32 v[2:3], v[2:3]
	v_fmac_f64_e32 v[0:1], 0xc1f00000, v[2:3]
	v_cvt_u32_f64_e32 v0, v[0:1]
	global_store_byte v[4:5], v0, off
.LBB22_1591:
	s_or_b64 exec, exec, s[0:1]
	s_and_b64 s[6:7], s[22:23], exec
                                        ; implicit-def: $vgpr15
                                        ; implicit-def: $vgpr17
                                        ; implicit-def: $vgpr16
                                        ; implicit-def: $vgpr14
.LBB22_1592:
	s_or_saveexec_b64 s[4:5], s[4:5]
	s_mov_b64 s[0:1], 0
                                        ; implicit-def: $vgpr2
                                        ; implicit-def: $vgpr0_vgpr1
                                        ; implicit-def: $vgpr12_vgpr13
	s_xor_b64 exec, exec, s[4:5]
	s_cbranch_execz .LBB22_2685
; %bb.1593:
	v_mul_lo_u32 v9, s13, v15
	v_ashrrev_i32_e32 v1, 31, v9
	s_waitcnt vmcnt(0)
	v_mov_b32_e32 v2, s11
	v_add_co_u32_e32 v0, vcc, s10, v9
	v_addc_co_u32_e32 v1, vcc, v2, v1, vcc
	v_mov_b32_e32 v2, 11
	v_cmp_lt_i16_sdwa s[0:1], v17, v2 src0_sel:BYTE_0 src1_sel:DWORD
	s_and_b64 vcc, exec, s[0:1]
	s_cbranch_vccnz .LBB22_1600
; %bb.1594:
	v_mov_b32_e32 v2, 25
	v_cmp_gt_i16_sdwa s[0:1], v17, v2 src0_sel:BYTE_0 src1_sel:DWORD
	s_mov_b64 s[16:17], 0
	s_and_b64 vcc, exec, s[0:1]
	s_cbranch_vccz .LBB22_1602
; %bb.1595:
	v_mov_b32_e32 v2, 28
	v_cmp_gt_i16_sdwa s[0:1], v17, v2 src0_sel:BYTE_0 src1_sel:DWORD
	s_and_b64 vcc, exec, s[0:1]
	s_cbranch_vccz .LBB22_1603
; %bb.1596:
	v_mov_b32_e32 v2, 43
	v_cmp_gt_i16_sdwa s[0:1], v17, v2 src0_sel:BYTE_0 src1_sel:DWORD
	;; [unrolled: 5-line block ×3, first 2 shown]
	s_and_b64 vcc, exec, s[0:1]
	s_cbranch_vccz .LBB22_1605
; %bb.1598:
	v_mov_b32_e32 v2, 46
	v_cmp_eq_u16_sdwa s[0:1], v17, v2 src0_sel:BYTE_0 src1_sel:DWORD
	s_mov_b64 s[18:19], 0
	s_and_b64 vcc, exec, s[0:1]
	s_cbranch_vccz .LBB22_1608
; %bb.1599:
	global_load_dword v2, v[0:1], off
	s_mov_b64 s[0:1], 0
	s_mov_b64 s[20:21], -1
	s_waitcnt vmcnt(0)
	v_lshlrev_b32_e32 v2, 16, v2
	v_cvt_f64_f32_e32 v[2:3], v2
	s_branch .LBB22_1609
.LBB22_1600:
	s_mov_b64 s[20:21], 0
                                        ; implicit-def: $vgpr2_vgpr3
	s_mov_b64 s[18:19], s[6:7]
	s_cbranch_execnz .LBB22_1672
.LBB22_1601:
	s_andn2_b64 vcc, exec, s[20:21]
	s_cbranch_vccz .LBB22_1717
	s_branch .LBB22_2682
.LBB22_1602:
	s_mov_b64 s[20:21], 0
	s_mov_b64 s[0:1], 0
                                        ; implicit-def: $vgpr2_vgpr3
	s_cbranch_execnz .LBB22_1637
	s_branch .LBB22_1668
.LBB22_1603:
	s_mov_b64 s[18:19], -1
	s_mov_b64 s[20:21], 0
	s_mov_b64 s[0:1], 0
                                        ; implicit-def: $vgpr2_vgpr3
	s_branch .LBB22_1618
.LBB22_1604:
	s_mov_b64 s[20:21], 0
	s_mov_b64 s[0:1], 0
                                        ; implicit-def: $vgpr2_vgpr3
	s_cbranch_execnz .LBB22_1614
	s_branch .LBB22_1617
.LBB22_1605:
	s_mov_b64 s[18:19], -1
	s_mov_b64 s[20:21], 0
	s_mov_b64 s[0:1], 0
                                        ; implicit-def: $vgpr2_vgpr3
	s_branch .LBB22_1609
.LBB22_1606:
	s_or_saveexec_b64 s[26:27], s[26:27]
                                        ; implicit-def: $sgpr15
	s_xor_b64 exec, exec, s[26:27]
	s_cbranch_execz .LBB22_1501
.LBB22_1607:
	s_mov_b32 s15, 0x46000000
	v_add_f32_e64 v3, |v2|, s15
	v_and_b32_e32 v3, 0xff, v3
	v_cmp_ne_u32_e32 vcc, 0, v3
	s_andn2_b64 s[24:25], s[24:25], exec
	s_and_b64 s[28:29], vcc, exec
	s_mov_b32 s15, 0
	s_or_b64 s[24:25], s[24:25], s[28:29]
	s_or_b64 exec, exec, s[26:27]
	v_mov_b32_e32 v6, s15
	s_and_saveexec_b64 s[26:27], s[24:25]
	s_cbranch_execnz .LBB22_1502
	s_branch .LBB22_1503
.LBB22_1608:
	s_mov_b64 s[0:1], -1
                                        ; implicit-def: $vgpr2_vgpr3
	s_mov_b64 s[20:21], 0
.LBB22_1609:
	s_and_b64 vcc, exec, s[18:19]
	s_cbranch_vccz .LBB22_1612
; %bb.1610:
	v_mov_b32_e32 v2, 44
	v_cmp_eq_u16_sdwa s[0:1], v17, v2 src0_sel:BYTE_0 src1_sel:DWORD
	s_and_b64 vcc, exec, s[0:1]
	s_cbranch_vccz .LBB22_1613
; %bb.1611:
	global_load_ubyte v4, v[0:1], off
	s_movk_i32 s15, 0xff
	v_bfrev_b32_e32 v5, 4
	v_mov_b32_e32 v6, 0x7ff80000
	v_bfrev_b32_e32 v7, 28
	s_mov_b64 s[0:1], 0
	s_mov_b64 s[20:21], -1
	s_waitcnt vmcnt(0)
	v_lshlrev_b32_e32 v2, 23, v4
	v_cvt_f64_f32_e32 v[2:3], v2
	v_cmp_ne_u32_e32 vcc, s15, v4
	v_cndmask_b32_e32 v2, v5, v2, vcc
	v_cndmask_b32_e32 v3, v6, v3, vcc
	v_cmp_ne_u32_e32 vcc, 0, v4
	v_cndmask_b32_e32 v3, v7, v3, vcc
	v_cndmask_b32_e32 v2, 0, v2, vcc
.LBB22_1612:
	s_branch .LBB22_1617
.LBB22_1613:
	s_mov_b64 s[0:1], -1
                                        ; implicit-def: $vgpr2_vgpr3
	s_branch .LBB22_1617
.LBB22_1614:
	v_mov_b32_e32 v2, 29
	v_cmp_eq_u16_sdwa s[0:1], v17, v2 src0_sel:BYTE_0 src1_sel:DWORD
	s_and_b64 vcc, exec, s[0:1]
	s_cbranch_vccz .LBB22_1616
; %bb.1615:
	global_load_dwordx2 v[2:3], v[0:1], off
	s_mov_b64 s[0:1], 0
	s_mov_b64 s[20:21], -1
	s_mov_b64 s[18:19], 0
	s_waitcnt vmcnt(0)
	v_cvt_f64_u32_e32 v[4:5], v3
	v_cvt_f64_u32_e32 v[2:3], v2
	v_ldexp_f64 v[4:5], v[4:5], 32
	v_add_f64 v[2:3], v[4:5], v[2:3]
	s_branch .LBB22_1618
.LBB22_1616:
	s_mov_b64 s[0:1], -1
                                        ; implicit-def: $vgpr2_vgpr3
.LBB22_1617:
	s_mov_b64 s[18:19], 0
.LBB22_1618:
	s_and_b64 vcc, exec, s[18:19]
	s_cbranch_vccz .LBB22_1636
; %bb.1619:
	v_mov_b32_e32 v2, 27
	v_cmp_lt_i16_sdwa s[18:19], v17, v2 src0_sel:BYTE_0 src1_sel:DWORD
	s_and_b64 vcc, exec, s[18:19]
	s_cbranch_vccnz .LBB22_1622
; %bb.1620:
	v_cmp_gt_i16_sdwa s[18:19], v17, v2 src0_sel:BYTE_0 src1_sel:DWORD
	s_and_b64 vcc, exec, s[18:19]
	s_cbranch_vccz .LBB22_1623
; %bb.1621:
	global_load_dword v2, v[0:1], off
	s_mov_b64 s[18:19], 0
	s_waitcnt vmcnt(0)
	v_cvt_f64_u32_e32 v[2:3], v2
	s_branch .LBB22_1624
.LBB22_1622:
	s_mov_b64 s[18:19], -1
                                        ; implicit-def: $vgpr2_vgpr3
	s_branch .LBB22_1627
.LBB22_1623:
	s_mov_b64 s[18:19], -1
                                        ; implicit-def: $vgpr2_vgpr3
.LBB22_1624:
	s_andn2_b64 vcc, exec, s[18:19]
	s_cbranch_vccnz .LBB22_1626
; %bb.1625:
	global_load_ushort v2, v[0:1], off
	s_waitcnt vmcnt(0)
	v_cvt_f64_u32_e32 v[2:3], v2
.LBB22_1626:
	s_mov_b64 s[18:19], 0
.LBB22_1627:
	s_andn2_b64 vcc, exec, s[18:19]
	s_cbranch_vccnz .LBB22_1635
; %bb.1628:
	global_load_ubyte v4, v[0:1], off
	s_movk_i32 s15, 0x7f
	s_mov_b64 s[18:19], 0
                                        ; implicit-def: $sgpr20_sgpr21
	s_waitcnt vmcnt(0)
	v_cmp_lt_i16_e32 vcc, s15, v4
	s_and_saveexec_b64 s[22:23], vcc
	s_xor_b64 s[22:23], exec, s[22:23]
	s_cbranch_execz .LBB22_1648
; %bb.1629:
	s_movk_i32 s15, 0x80
	v_cmp_eq_u16_e32 vcc, s15, v4
	s_mov_b64 s[24:25], -1
                                        ; implicit-def: $sgpr20_sgpr21
	s_and_saveexec_b64 s[18:19], vcc
; %bb.1630:
	s_mov_b32 s21, 0x7ff80000
	s_brev_b32 s20, 4
	s_xor_b64 s[24:25], exec, -1
; %bb.1631:
	s_or_b64 exec, exec, s[18:19]
	s_and_b64 s[18:19], s[24:25], exec
	s_or_saveexec_b64 s[22:23], s[22:23]
	v_pk_mov_b32 v[2:3], s[20:21], s[20:21] op_sel:[0,1]
	s_xor_b64 exec, exec, s[22:23]
	s_cbranch_execnz .LBB22_1649
.LBB22_1632:
	s_or_b64 exec, exec, s[22:23]
	s_and_saveexec_b64 s[20:21], s[18:19]
	s_cbranch_execz .LBB22_1634
.LBB22_1633:
	v_and_b32_e32 v3, 0xffff, v4
	v_lshlrev_b32_e32 v2, 24, v4
	v_and_b32_e32 v4, 7, v3
	v_ffbh_u32_e32 v6, v4
	v_min_u32_e32 v6, 32, v6
	v_subrev_u32_e32 v7, 28, v6
	v_bfe_u32 v5, v3, 3, 4
	v_lshlrev_b32_e32 v3, v7, v3
	v_sub_u32_e32 v6, 29, v6
	v_and_b32_e32 v3, 7, v3
	v_cmp_eq_u32_e32 vcc, 0, v5
	v_cndmask_b32_e32 v5, v5, v6, vcc
	v_cndmask_b32_e32 v3, v4, v3, vcc
	v_mov_b32_e32 v4, 0x3b800000
	v_lshlrev_b32_e32 v3, 20, v3
	v_and_b32_e32 v2, 0x80000000, v2
	v_lshl_add_u32 v4, v5, 23, v4
	v_or3_b32 v2, v2, v4, v3
	v_cvt_f64_f32_e32 v[2:3], v2
.LBB22_1634:
	s_or_b64 exec, exec, s[20:21]
.LBB22_1635:
	s_mov_b64 s[20:21], -1
.LBB22_1636:
	s_branch .LBB22_1668
.LBB22_1637:
	v_mov_b32_e32 v2, 22
	v_cmp_gt_i16_sdwa s[16:17], v17, v2 src0_sel:BYTE_0 src1_sel:DWORD
	s_and_b64 vcc, exec, s[16:17]
	s_cbranch_vccz .LBB22_1647
; %bb.1638:
	v_mov_b32_e32 v2, 24
	v_cmp_lt_i16_sdwa s[16:17], v17, v2 src0_sel:BYTE_0 src1_sel:DWORD
	s_and_b64 vcc, exec, s[16:17]
	s_cbranch_vccnz .LBB22_1650
; %bb.1639:
	v_cmp_gt_i16_sdwa s[16:17], v17, v2 src0_sel:BYTE_0 src1_sel:DWORD
	s_and_b64 vcc, exec, s[16:17]
	s_cbranch_vccz .LBB22_1651
; %bb.1640:
	global_load_ubyte v4, v[0:1], off
	s_movk_i32 s15, 0x7f
	s_mov_b64 s[16:17], 0
                                        ; implicit-def: $sgpr18_sgpr19
	s_waitcnt vmcnt(0)
	v_cmp_lt_i16_e32 vcc, s15, v4
	s_and_saveexec_b64 s[20:21], vcc
	s_xor_b64 s[20:21], exec, s[20:21]
	s_cbranch_execz .LBB22_1662
; %bb.1641:
	s_movk_i32 s15, 0x80
	v_cmp_eq_u16_e32 vcc, s15, v4
	s_mov_b64 s[22:23], -1
                                        ; implicit-def: $sgpr18_sgpr19
	s_and_saveexec_b64 s[16:17], vcc
; %bb.1642:
	s_mov_b32 s19, 0x7ff80000
	s_brev_b32 s18, 4
	s_xor_b64 s[22:23], exec, -1
; %bb.1643:
	s_or_b64 exec, exec, s[16:17]
	s_and_b64 s[16:17], s[22:23], exec
	s_or_saveexec_b64 s[20:21], s[20:21]
	v_pk_mov_b32 v[2:3], s[18:19], s[18:19] op_sel:[0,1]
	s_xor_b64 exec, exec, s[20:21]
	s_cbranch_execnz .LBB22_1663
.LBB22_1644:
	s_or_b64 exec, exec, s[20:21]
	s_and_saveexec_b64 s[18:19], s[16:17]
	s_cbranch_execz .LBB22_1646
.LBB22_1645:
	v_and_b32_e32 v3, 0xffff, v4
	v_lshlrev_b32_e32 v2, 24, v4
	v_and_b32_e32 v4, 3, v3
	v_ffbh_u32_e32 v6, v4
	v_min_u32_e32 v6, 32, v6
	v_subrev_u32_e32 v7, 29, v6
	v_bfe_u32 v5, v3, 2, 5
	v_lshlrev_b32_e32 v3, v7, v3
	v_sub_u32_e32 v6, 30, v6
	v_and_b32_e32 v3, 3, v3
	v_cmp_eq_u32_e32 vcc, 0, v5
	v_cndmask_b32_e32 v5, v5, v6, vcc
	v_cndmask_b32_e32 v3, v4, v3, vcc
	v_mov_b32_e32 v4, 0x37800000
	v_lshlrev_b32_e32 v3, 21, v3
	v_and_b32_e32 v2, 0x80000000, v2
	v_lshl_add_u32 v4, v5, 23, v4
	v_or3_b32 v2, v2, v4, v3
	v_cvt_f64_f32_e32 v[2:3], v2
.LBB22_1646:
	s_or_b64 exec, exec, s[18:19]
	s_mov_b64 s[16:17], 0
	s_branch .LBB22_1652
.LBB22_1647:
                                        ; implicit-def: $vgpr2_vgpr3
	s_mov_b64 s[16:17], 0
	s_branch .LBB22_1658
.LBB22_1648:
	s_or_saveexec_b64 s[22:23], s[22:23]
	v_pk_mov_b32 v[2:3], s[20:21], s[20:21] op_sel:[0,1]
	s_xor_b64 exec, exec, s[22:23]
	s_cbranch_execz .LBB22_1632
.LBB22_1649:
	v_cmp_ne_u16_e32 vcc, 0, v4
	s_andn2_b64 s[18:19], s[18:19], exec
	s_and_b64 s[20:21], vcc, exec
	v_pk_mov_b32 v[2:3], 0, 0
	s_or_b64 s[18:19], s[18:19], s[20:21]
	s_or_b64 exec, exec, s[22:23]
	s_and_saveexec_b64 s[20:21], s[18:19]
	s_cbranch_execnz .LBB22_1633
	s_branch .LBB22_1634
.LBB22_1650:
	s_mov_b64 s[16:17], -1
                                        ; implicit-def: $vgpr2_vgpr3
	s_branch .LBB22_1655
.LBB22_1651:
	s_mov_b64 s[16:17], -1
                                        ; implicit-def: $vgpr2_vgpr3
.LBB22_1652:
	s_and_b64 vcc, exec, s[16:17]
	s_cbranch_vccz .LBB22_1654
; %bb.1653:
	global_load_ubyte v2, v[0:1], off
	s_mov_b32 s15, 0x7f800000
	s_waitcnt vmcnt(0)
	v_lshlrev_b32_e32 v2, 24, v2
	v_and_b32_e32 v3, 0x7f000000, v2
	v_ffbh_u32_e32 v4, v3
	v_min_u32_e32 v4, 32, v4
	v_sub_u32_e64 v4, v4, 4 clamp
	v_lshlrev_b32_e32 v6, v4, v3
	v_lshlrev_b32_e32 v4, 23, v4
	v_lshrrev_b32_e32 v6, 4, v6
	v_add_u32_e32 v5, 0x1000000, v3
	v_sub_u32_e32 v4, v6, v4
	v_ashrrev_i32_e32 v5, 8, v5
	v_add_u32_e32 v4, 0x3c000000, v4
	v_and_or_b32 v4, v5, s15, v4
	v_cmp_ne_u32_e32 vcc, 0, v3
	v_cndmask_b32_e32 v3, 0, v4, vcc
	s_brev_b32 s15, 1
	v_and_or_b32 v2, v2, s15, v3
	v_cvt_f64_f32_e32 v[2:3], v2
.LBB22_1654:
	s_mov_b64 s[16:17], 0
.LBB22_1655:
	s_andn2_b64 vcc, exec, s[16:17]
	s_cbranch_vccnz .LBB22_1657
; %bb.1656:
	global_load_ubyte v2, v[0:1], off
	s_movk_i32 s15, 0x7f00
	s_brev_b32 s16, 16
	s_waitcnt vmcnt(0)
	v_lshlrev_b16_e32 v3, 8, v2
	v_lshlrev_b32_e32 v2, 25, v2
	v_lshrrev_b32_e32 v4, 4, v2
	v_and_or_b32 v5, v3, s15, 0.5
	v_or_b32_e32 v4, 0x70000000, v4
	v_add_f32_e32 v5, -0.5, v5
	v_mul_f32_e32 v4, 0x7800000, v4
	v_cmp_gt_u32_e32 vcc, s16, v2
	v_bfe_i32 v3, v3, 0, 16
	v_cndmask_b32_e32 v2, v4, v5, vcc
	s_brev_b32 s15, 1
	v_and_or_b32 v2, v3, s15, v2
	v_cvt_f64_f32_e32 v[2:3], v2
.LBB22_1657:
	s_mov_b64 s[20:21], -1
	s_mov_b64 s[16:17], 0
	s_cbranch_execnz .LBB22_1668
.LBB22_1658:
	v_mov_b32_e32 v2, 14
	v_cmp_gt_i16_sdwa s[16:17], v17, v2 src0_sel:BYTE_0 src1_sel:DWORD
	s_and_b64 vcc, exec, s[16:17]
	s_cbranch_vccz .LBB22_1661
; %bb.1659:
	v_mov_b32_e32 v2, 15
	v_cmp_eq_u16_sdwa s[0:1], v17, v2 src0_sel:BYTE_0 src1_sel:DWORD
	s_and_b64 vcc, exec, s[0:1]
	s_cbranch_vccz .LBB22_1664
; %bb.1660:
	global_load_ushort v2, v[0:1], off
	s_mov_b64 s[0:1], 0
	s_mov_b64 s[20:21], -1
	s_waitcnt vmcnt(0)
	v_lshlrev_b32_e32 v2, 16, v2
	v_cvt_f64_f32_e32 v[2:3], v2
	s_branch .LBB22_1665
.LBB22_1661:
	s_mov_b64 s[18:19], -1
                                        ; implicit-def: $vgpr2_vgpr3
	s_branch .LBB22_1666
.LBB22_1662:
	s_or_saveexec_b64 s[20:21], s[20:21]
	v_pk_mov_b32 v[2:3], s[18:19], s[18:19] op_sel:[0,1]
	s_xor_b64 exec, exec, s[20:21]
	s_cbranch_execz .LBB22_1644
.LBB22_1663:
	v_cmp_ne_u16_e32 vcc, 0, v4
	s_andn2_b64 s[16:17], s[16:17], exec
	s_and_b64 s[18:19], vcc, exec
	v_pk_mov_b32 v[2:3], 0, 0
	s_or_b64 s[16:17], s[16:17], s[18:19]
	s_or_b64 exec, exec, s[20:21]
	s_and_saveexec_b64 s[18:19], s[16:17]
	s_cbranch_execnz .LBB22_1645
	s_branch .LBB22_1646
.LBB22_1664:
	s_mov_b64 s[0:1], -1
                                        ; implicit-def: $vgpr2_vgpr3
.LBB22_1665:
	s_mov_b64 s[18:19], 0
.LBB22_1666:
	s_mov_b64 s[16:17], 0
	s_and_b64 vcc, exec, s[18:19]
	s_cbranch_vccz .LBB22_1668
; %bb.1667:
	v_mov_b32_e32 v2, 11
	v_cmp_ne_u16_sdwa s[0:1], v17, v2 src0_sel:BYTE_0 src1_sel:DWORD
	s_mov_b64 s[16:17], -1
                                        ; implicit-def: $vgpr2_vgpr3
.LBB22_1668:
	s_and_b64 vcc, exec, s[0:1]
	s_mov_b64 s[18:19], s[6:7]
	s_cbranch_vccnz .LBB22_1729
; %bb.1669:
	s_andn2_b64 vcc, exec, s[16:17]
	s_cbranch_vccnz .LBB22_1671
.LBB22_1670:
	global_load_ubyte v3, v[0:1], off
	v_mov_b32_e32 v4, 0x3ff00000
	v_mov_b32_e32 v2, 0
	s_mov_b64 s[20:21], -1
	s_waitcnt vmcnt(0)
	v_cmp_ne_u16_e32 vcc, 0, v3
	v_cndmask_b32_e32 v3, 0, v4, vcc
.LBB22_1671:
	s_branch .LBB22_1601
.LBB22_1672:
	v_mov_b32_e32 v2, 5
	v_cmp_lt_i16_sdwa s[0:1], v17, v2 src0_sel:BYTE_0 src1_sel:DWORD
	s_and_b64 vcc, exec, s[0:1]
	s_cbranch_vccnz .LBB22_1677
; %bb.1673:
	v_mov_b32_e32 v2, 8
	v_cmp_lt_i16_sdwa s[0:1], v17, v2 src0_sel:BYTE_0 src1_sel:DWORD
	s_and_b64 vcc, exec, s[0:1]
	s_cbranch_vccnz .LBB22_1678
; %bb.1674:
	;; [unrolled: 5-line block ×3, first 2 shown]
	v_cmp_gt_i16_sdwa s[0:1], v17, v2 src0_sel:BYTE_0 src1_sel:DWORD
	s_and_b64 vcc, exec, s[0:1]
	s_cbranch_vccz .LBB22_1680
; %bb.1676:
	global_load_dwordx2 v[2:3], v[0:1], off
	s_mov_b64 s[0:1], 0
	s_branch .LBB22_1681
.LBB22_1677:
                                        ; implicit-def: $vgpr2_vgpr3
	s_branch .LBB22_1698
.LBB22_1678:
                                        ; implicit-def: $vgpr2_vgpr3
	s_branch .LBB22_1687
.LBB22_1679:
	s_mov_b64 s[0:1], -1
                                        ; implicit-def: $vgpr2_vgpr3
	s_branch .LBB22_1684
.LBB22_1680:
	s_mov_b64 s[0:1], -1
                                        ; implicit-def: $vgpr2_vgpr3
.LBB22_1681:
	s_andn2_b64 vcc, exec, s[0:1]
	s_cbranch_vccnz .LBB22_1683
; %bb.1682:
	global_load_dword v2, v[0:1], off
	s_waitcnt vmcnt(0)
	v_cvt_f64_f32_e32 v[2:3], v2
.LBB22_1683:
	s_mov_b64 s[0:1], 0
.LBB22_1684:
	s_andn2_b64 vcc, exec, s[0:1]
	s_cbranch_vccnz .LBB22_1686
; %bb.1685:
	global_load_dword v2, v[0:1], off
	s_waitcnt vmcnt(0)
	v_cvt_f32_f16_e32 v2, v2
	v_cvt_f64_f32_e32 v[2:3], v2
.LBB22_1686:
	s_cbranch_execnz .LBB22_1697
.LBB22_1687:
	s_waitcnt vmcnt(0)
	v_mov_b32_e32 v2, 6
	v_cmp_lt_i16_sdwa s[0:1], v17, v2 src0_sel:BYTE_0 src1_sel:DWORD
	s_and_b64 vcc, exec, s[0:1]
	s_cbranch_vccnz .LBB22_1690
; %bb.1688:
	v_cmp_gt_i16_sdwa s[0:1], v17, v2 src0_sel:BYTE_0 src1_sel:DWORD
	s_and_b64 vcc, exec, s[0:1]
	s_cbranch_vccz .LBB22_1691
; %bb.1689:
	global_load_dwordx2 v[2:3], v[0:1], off
	s_mov_b64 s[0:1], 0
	s_branch .LBB22_1692
.LBB22_1690:
	s_mov_b64 s[0:1], -1
                                        ; implicit-def: $vgpr2_vgpr3
	s_branch .LBB22_1695
.LBB22_1691:
	s_mov_b64 s[0:1], -1
                                        ; implicit-def: $vgpr2_vgpr3
.LBB22_1692:
	s_andn2_b64 vcc, exec, s[0:1]
	s_cbranch_vccnz .LBB22_1694
; %bb.1693:
	global_load_dword v2, v[0:1], off
	s_waitcnt vmcnt(0)
	v_cvt_f64_f32_e32 v[2:3], v2
.LBB22_1694:
	s_mov_b64 s[0:1], 0
.LBB22_1695:
	s_andn2_b64 vcc, exec, s[0:1]
	s_cbranch_vccnz .LBB22_1697
; %bb.1696:
	global_load_ushort v2, v[0:1], off
	s_waitcnt vmcnt(0)
	v_cvt_f32_f16_e32 v2, v2
	v_cvt_f64_f32_e32 v[2:3], v2
.LBB22_1697:
	s_cbranch_execnz .LBB22_1716
.LBB22_1698:
	s_waitcnt vmcnt(0)
	v_mov_b32_e32 v2, 2
	v_cmp_lt_i16_sdwa s[0:1], v17, v2 src0_sel:BYTE_0 src1_sel:DWORD
	s_and_b64 vcc, exec, s[0:1]
	s_cbranch_vccnz .LBB22_1702
; %bb.1699:
	v_mov_b32_e32 v2, 3
	v_cmp_lt_i16_sdwa s[0:1], v17, v2 src0_sel:BYTE_0 src1_sel:DWORD
	s_and_b64 vcc, exec, s[0:1]
	s_cbranch_vccnz .LBB22_1703
; %bb.1700:
	v_cmp_gt_i16_sdwa s[0:1], v17, v2 src0_sel:BYTE_0 src1_sel:DWORD
	s_and_b64 vcc, exec, s[0:1]
	s_cbranch_vccz .LBB22_1704
; %bb.1701:
	global_load_dwordx2 v[2:3], v[0:1], off
	s_mov_b64 s[0:1], 0
	s_waitcnt vmcnt(0)
	v_cvt_f64_i32_e32 v[4:5], v3
	v_cvt_f64_u32_e32 v[2:3], v2
	v_ldexp_f64 v[4:5], v[4:5], 32
	v_add_f64 v[2:3], v[4:5], v[2:3]
	s_branch .LBB22_1705
.LBB22_1702:
                                        ; implicit-def: $vgpr2_vgpr3
	s_branch .LBB22_1711
.LBB22_1703:
	s_mov_b64 s[0:1], -1
                                        ; implicit-def: $vgpr2_vgpr3
	s_branch .LBB22_1708
.LBB22_1704:
	s_mov_b64 s[0:1], -1
                                        ; implicit-def: $vgpr2_vgpr3
.LBB22_1705:
	s_andn2_b64 vcc, exec, s[0:1]
	s_cbranch_vccnz .LBB22_1707
; %bb.1706:
	global_load_dword v2, v[0:1], off
	s_waitcnt vmcnt(0)
	v_cvt_f64_i32_e32 v[2:3], v2
.LBB22_1707:
	s_mov_b64 s[0:1], 0
.LBB22_1708:
	s_andn2_b64 vcc, exec, s[0:1]
	s_cbranch_vccnz .LBB22_1710
; %bb.1709:
	global_load_sshort v2, v[0:1], off
	s_waitcnt vmcnt(0)
	v_cvt_f64_i32_e32 v[2:3], v2
.LBB22_1710:
	s_cbranch_execnz .LBB22_1716
.LBB22_1711:
	v_mov_b32_e32 v2, 0
	v_cmp_gt_i16_sdwa s[0:1], v17, v2 src0_sel:BYTE_0 src1_sel:DWORD
	s_and_b64 vcc, exec, s[0:1]
	s_cbranch_vccz .LBB22_1713
; %bb.1712:
	global_load_sbyte v2, v[0:1], off
	s_mov_b64 s[0:1], 0
	s_waitcnt vmcnt(0)
	v_cvt_f64_i32_e32 v[2:3], v2
	s_branch .LBB22_1714
.LBB22_1713:
	s_mov_b64 s[0:1], -1
                                        ; implicit-def: $vgpr2_vgpr3
.LBB22_1714:
	s_andn2_b64 vcc, exec, s[0:1]
	s_cbranch_vccnz .LBB22_1716
; %bb.1715:
	global_load_ubyte v0, v[0:1], off
	s_waitcnt vmcnt(0)
	v_cvt_f64_u32_e32 v[2:3], v0
.LBB22_1716:
.LBB22_1717:
	v_mul_lo_u32 v8, s14, v15
	v_ashrrev_i32_e32 v1, 31, v8
	v_mov_b32_e32 v4, s3
	v_add_co_u32_e32 v0, vcc, s2, v8
	v_addc_co_u32_e32 v1, vcc, v4, v1, vcc
	v_mov_b32_e32 v4, 11
	v_cmp_lt_i16_sdwa s[0:1], v16, v4 src0_sel:BYTE_0 src1_sel:DWORD
	s_and_b64 vcc, exec, s[0:1]
	s_cbranch_vccnz .LBB22_1724
; %bb.1718:
	v_mov_b32_e32 v4, 25
	v_cmp_gt_i16_sdwa s[0:1], v16, v4 src0_sel:BYTE_0 src1_sel:DWORD
	s_mov_b64 s[16:17], 0
	s_and_b64 vcc, exec, s[0:1]
	s_cbranch_vccz .LBB22_1726
; %bb.1719:
	v_mov_b32_e32 v4, 28
	v_cmp_gt_i16_sdwa s[0:1], v16, v4 src0_sel:BYTE_0 src1_sel:DWORD
	s_and_b64 vcc, exec, s[0:1]
	s_cbranch_vccz .LBB22_1727
; %bb.1720:
	v_mov_b32_e32 v4, 43
	v_cmp_gt_i16_sdwa s[0:1], v16, v4 src0_sel:BYTE_0 src1_sel:DWORD
	s_and_b64 vcc, exec, s[0:1]
	s_cbranch_vccz .LBB22_1728
; %bb.1721:
	v_mov_b32_e32 v4, 45
	v_cmp_gt_i16_sdwa s[0:1], v16, v4 src0_sel:BYTE_0 src1_sel:DWORD
	s_and_b64 vcc, exec, s[0:1]
	s_cbranch_vccz .LBB22_1730
; %bb.1722:
	v_mov_b32_e32 v4, 46
	v_cmp_eq_u16_sdwa s[0:1], v16, v4 src0_sel:BYTE_0 src1_sel:DWORD
	s_mov_b64 s[22:23], 0
	s_and_b64 vcc, exec, s[0:1]
	s_cbranch_vccz .LBB22_1733
; %bb.1723:
	global_load_dword v4, v[0:1], off
	s_mov_b64 s[0:1], 0
	s_mov_b64 s[20:21], -1
	s_waitcnt vmcnt(0)
	v_lshlrev_b32_e32 v4, 16, v4
	v_cvt_f64_f32_e32 v[4:5], v4
	s_branch .LBB22_1734
.LBB22_1724:
	s_mov_b64 s[20:21], 0
                                        ; implicit-def: $vgpr4_vgpr5
	s_cbranch_execnz .LBB22_1799
.LBB22_1725:
	s_andn2_b64 vcc, exec, s[20:21]
	s_cbranch_vccnz .LBB22_2682
	s_branch .LBB22_1846
.LBB22_1726:
	s_mov_b64 s[20:21], 0
	s_mov_b64 s[0:1], 0
                                        ; implicit-def: $vgpr4_vgpr5
	s_cbranch_execnz .LBB22_1763
	s_branch .LBB22_1795
.LBB22_1727:
	s_mov_b64 s[22:23], -1
	s_mov_b64 s[20:21], 0
	s_mov_b64 s[0:1], 0
                                        ; implicit-def: $vgpr4_vgpr5
	s_branch .LBB22_1744
.LBB22_1728:
	s_mov_b64 s[22:23], -1
	s_mov_b64 s[20:21], 0
	s_mov_b64 s[0:1], 0
                                        ; implicit-def: $vgpr4_vgpr5
	s_branch .LBB22_1739
.LBB22_1729:
	s_or_b64 s[18:19], s[6:7], exec
	s_trap 2
                                        ; implicit-def: $vgpr2_vgpr3
	s_cbranch_execz .LBB22_1670
	s_branch .LBB22_1671
.LBB22_1730:
	s_mov_b64 s[22:23], -1
	s_mov_b64 s[20:21], 0
	s_mov_b64 s[0:1], 0
                                        ; implicit-def: $vgpr4_vgpr5
	s_branch .LBB22_1734
.LBB22_1731:
	s_or_saveexec_b64 s[28:29], s[28:29]
                                        ; implicit-def: $sgpr15
	s_xor_b64 exec, exec, s[28:29]
	s_cbranch_execz .LBB22_1513
.LBB22_1732:
	s_mov_b32 s15, 0x42800000
	v_add_f32_e64 v3, |v2|, s15
	v_and_b32_e32 v3, 0xff, v3
	v_cmp_ne_u32_e32 vcc, 0, v3
	s_andn2_b64 s[26:27], s[26:27], exec
	s_and_b64 s[30:31], vcc, exec
	s_mov_b32 s15, 0
	s_or_b64 s[26:27], s[26:27], s[30:31]
	s_or_b64 exec, exec, s[28:29]
	v_mov_b32_e32 v6, s15
	s_and_saveexec_b64 s[28:29], s[26:27]
	s_cbranch_execnz .LBB22_1514
	s_branch .LBB22_1515
.LBB22_1733:
	s_mov_b64 s[0:1], -1
                                        ; implicit-def: $vgpr4_vgpr5
	s_mov_b64 s[20:21], 0
.LBB22_1734:
	s_and_b64 vcc, exec, s[22:23]
	s_cbranch_vccz .LBB22_1738
; %bb.1735:
	v_mov_b32_e32 v4, 44
	v_cmp_eq_u16_sdwa s[0:1], v16, v4 src0_sel:BYTE_0 src1_sel:DWORD
	s_and_b64 vcc, exec, s[0:1]
	s_cbranch_vccz .LBB22_1737
; %bb.1736:
	global_load_ubyte v6, v[0:1], off
	s_movk_i32 s15, 0xff
	v_bfrev_b32_e32 v7, 4
	v_mov_b32_e32 v10, 0x7ff80000
	v_bfrev_b32_e32 v11, 28
	s_mov_b64 s[0:1], 0
	s_mov_b64 s[20:21], -1
	s_waitcnt vmcnt(0)
	v_lshlrev_b32_e32 v4, 23, v6
	v_cvt_f64_f32_e32 v[4:5], v4
	v_cmp_ne_u32_e32 vcc, s15, v6
	v_cndmask_b32_e32 v4, v7, v4, vcc
	v_cndmask_b32_e32 v5, v10, v5, vcc
	v_cmp_ne_u32_e32 vcc, 0, v6
	v_cndmask_b32_e32 v5, v11, v5, vcc
	v_cndmask_b32_e32 v4, 0, v4, vcc
	s_branch .LBB22_1738
.LBB22_1737:
	s_mov_b64 s[0:1], -1
                                        ; implicit-def: $vgpr4_vgpr5
.LBB22_1738:
	s_mov_b64 s[22:23], 0
.LBB22_1739:
	s_and_b64 vcc, exec, s[22:23]
	s_cbranch_vccz .LBB22_1743
; %bb.1740:
	v_mov_b32_e32 v4, 29
	v_cmp_eq_u16_sdwa s[0:1], v16, v4 src0_sel:BYTE_0 src1_sel:DWORD
	s_and_b64 vcc, exec, s[0:1]
	s_cbranch_vccz .LBB22_1742
; %bb.1741:
	global_load_dwordx2 v[4:5], v[0:1], off
	s_mov_b64 s[0:1], 0
	s_mov_b64 s[20:21], -1
	s_mov_b64 s[22:23], 0
	s_waitcnt vmcnt(0)
	v_cvt_f64_u32_e32 v[6:7], v5
	v_cvt_f64_u32_e32 v[4:5], v4
	v_ldexp_f64 v[6:7], v[6:7], 32
	v_add_f64 v[4:5], v[6:7], v[4:5]
	s_branch .LBB22_1744
.LBB22_1742:
	s_mov_b64 s[0:1], -1
                                        ; implicit-def: $vgpr4_vgpr5
.LBB22_1743:
	s_mov_b64 s[22:23], 0
.LBB22_1744:
	s_and_b64 vcc, exec, s[22:23]
	s_cbranch_vccz .LBB22_1762
; %bb.1745:
	v_mov_b32_e32 v4, 27
	v_cmp_lt_i16_sdwa s[20:21], v16, v4 src0_sel:BYTE_0 src1_sel:DWORD
	s_and_b64 vcc, exec, s[20:21]
	s_cbranch_vccnz .LBB22_1748
; %bb.1746:
	v_cmp_gt_i16_sdwa s[20:21], v16, v4 src0_sel:BYTE_0 src1_sel:DWORD
	s_and_b64 vcc, exec, s[20:21]
	s_cbranch_vccz .LBB22_1749
; %bb.1747:
	global_load_dword v4, v[0:1], off
	s_mov_b64 s[20:21], 0
	s_waitcnt vmcnt(0)
	v_cvt_f64_u32_e32 v[4:5], v4
	s_branch .LBB22_1750
.LBB22_1748:
	s_mov_b64 s[20:21], -1
                                        ; implicit-def: $vgpr4_vgpr5
	s_branch .LBB22_1753
.LBB22_1749:
	s_mov_b64 s[20:21], -1
                                        ; implicit-def: $vgpr4_vgpr5
.LBB22_1750:
	s_andn2_b64 vcc, exec, s[20:21]
	s_cbranch_vccnz .LBB22_1752
; %bb.1751:
	global_load_ushort v4, v[0:1], off
	s_waitcnt vmcnt(0)
	v_cvt_f64_u32_e32 v[4:5], v4
.LBB22_1752:
	s_mov_b64 s[20:21], 0
.LBB22_1753:
	s_andn2_b64 vcc, exec, s[20:21]
	s_cbranch_vccnz .LBB22_1761
; %bb.1754:
	global_load_ubyte v6, v[0:1], off
	s_movk_i32 s15, 0x7f
	s_mov_b64 s[20:21], 0
                                        ; implicit-def: $sgpr22_sgpr23
	s_waitcnt vmcnt(0)
	v_cmp_lt_i16_e32 vcc, s15, v6
	s_and_saveexec_b64 s[24:25], vcc
	s_xor_b64 s[24:25], exec, s[24:25]
	s_cbranch_execz .LBB22_1774
; %bb.1755:
	s_movk_i32 s15, 0x80
	v_cmp_eq_u16_e32 vcc, s15, v6
	s_mov_b64 s[26:27], -1
                                        ; implicit-def: $sgpr22_sgpr23
	s_and_saveexec_b64 s[20:21], vcc
; %bb.1756:
	s_mov_b32 s23, 0x7ff80000
	s_brev_b32 s22, 4
	s_xor_b64 s[26:27], exec, -1
; %bb.1757:
	s_or_b64 exec, exec, s[20:21]
	s_and_b64 s[20:21], s[26:27], exec
	s_or_saveexec_b64 s[24:25], s[24:25]
	v_pk_mov_b32 v[4:5], s[22:23], s[22:23] op_sel:[0,1]
	s_xor_b64 exec, exec, s[24:25]
	s_cbranch_execnz .LBB22_1775
.LBB22_1758:
	s_or_b64 exec, exec, s[24:25]
	s_and_saveexec_b64 s[22:23], s[20:21]
	s_cbranch_execz .LBB22_1760
.LBB22_1759:
	v_and_b32_e32 v5, 0xffff, v6
	v_lshlrev_b32_e32 v4, 24, v6
	v_and_b32_e32 v6, 7, v5
	v_ffbh_u32_e32 v10, v6
	v_min_u32_e32 v10, 32, v10
	v_subrev_u32_e32 v11, 28, v10
	v_bfe_u32 v7, v5, 3, 4
	v_lshlrev_b32_e32 v5, v11, v5
	v_sub_u32_e32 v10, 29, v10
	v_and_b32_e32 v5, 7, v5
	v_cmp_eq_u32_e32 vcc, 0, v7
	v_cndmask_b32_e32 v7, v7, v10, vcc
	v_cndmask_b32_e32 v5, v6, v5, vcc
	v_mov_b32_e32 v6, 0x3b800000
	v_lshlrev_b32_e32 v5, 20, v5
	v_and_b32_e32 v4, 0x80000000, v4
	v_lshl_add_u32 v6, v7, 23, v6
	v_or3_b32 v4, v4, v6, v5
	v_cvt_f64_f32_e32 v[4:5], v4
.LBB22_1760:
	s_or_b64 exec, exec, s[22:23]
.LBB22_1761:
	s_mov_b64 s[20:21], -1
.LBB22_1762:
	s_branch .LBB22_1795
.LBB22_1763:
	v_mov_b32_e32 v4, 22
	v_cmp_gt_i16_sdwa s[16:17], v16, v4 src0_sel:BYTE_0 src1_sel:DWORD
	s_and_b64 vcc, exec, s[16:17]
	s_cbranch_vccz .LBB22_1773
; %bb.1764:
	v_mov_b32_e32 v4, 24
	v_cmp_lt_i16_sdwa s[16:17], v16, v4 src0_sel:BYTE_0 src1_sel:DWORD
	s_and_b64 vcc, exec, s[16:17]
	s_cbranch_vccnz .LBB22_1776
; %bb.1765:
	v_cmp_gt_i16_sdwa s[16:17], v16, v4 src0_sel:BYTE_0 src1_sel:DWORD
	s_and_b64 vcc, exec, s[16:17]
	s_cbranch_vccz .LBB22_1777
; %bb.1766:
	global_load_ubyte v6, v[0:1], off
	s_movk_i32 s15, 0x7f
	s_mov_b64 s[16:17], 0
                                        ; implicit-def: $sgpr20_sgpr21
	s_waitcnt vmcnt(0)
	v_cmp_lt_i16_e32 vcc, s15, v6
	s_and_saveexec_b64 s[22:23], vcc
	s_xor_b64 s[22:23], exec, s[22:23]
	s_cbranch_execz .LBB22_1789
; %bb.1767:
	s_movk_i32 s15, 0x80
	v_cmp_eq_u16_e32 vcc, s15, v6
	s_mov_b64 s[24:25], -1
                                        ; implicit-def: $sgpr20_sgpr21
	s_and_saveexec_b64 s[16:17], vcc
; %bb.1768:
	s_mov_b32 s21, 0x7ff80000
	s_brev_b32 s20, 4
	s_xor_b64 s[24:25], exec, -1
; %bb.1769:
	s_or_b64 exec, exec, s[16:17]
	s_and_b64 s[16:17], s[24:25], exec
	s_or_saveexec_b64 s[22:23], s[22:23]
	v_pk_mov_b32 v[4:5], s[20:21], s[20:21] op_sel:[0,1]
	s_xor_b64 exec, exec, s[22:23]
	s_cbranch_execnz .LBB22_1790
.LBB22_1770:
	s_or_b64 exec, exec, s[22:23]
	s_and_saveexec_b64 s[20:21], s[16:17]
	s_cbranch_execz .LBB22_1772
.LBB22_1771:
	v_and_b32_e32 v5, 0xffff, v6
	v_lshlrev_b32_e32 v4, 24, v6
	v_and_b32_e32 v6, 3, v5
	v_ffbh_u32_e32 v10, v6
	v_min_u32_e32 v10, 32, v10
	v_subrev_u32_e32 v11, 29, v10
	v_bfe_u32 v7, v5, 2, 5
	v_lshlrev_b32_e32 v5, v11, v5
	v_sub_u32_e32 v10, 30, v10
	v_and_b32_e32 v5, 3, v5
	v_cmp_eq_u32_e32 vcc, 0, v7
	v_cndmask_b32_e32 v7, v7, v10, vcc
	v_cndmask_b32_e32 v5, v6, v5, vcc
	v_mov_b32_e32 v6, 0x37800000
	v_lshlrev_b32_e32 v5, 21, v5
	v_and_b32_e32 v4, 0x80000000, v4
	v_lshl_add_u32 v6, v7, 23, v6
	v_or3_b32 v4, v4, v6, v5
	v_cvt_f64_f32_e32 v[4:5], v4
.LBB22_1772:
	s_or_b64 exec, exec, s[20:21]
	s_mov_b64 s[16:17], 0
	s_branch .LBB22_1778
.LBB22_1773:
	s_mov_b64 s[16:17], -1
                                        ; implicit-def: $vgpr4_vgpr5
	s_branch .LBB22_1784
.LBB22_1774:
	s_or_saveexec_b64 s[24:25], s[24:25]
	v_pk_mov_b32 v[4:5], s[22:23], s[22:23] op_sel:[0,1]
	s_xor_b64 exec, exec, s[24:25]
	s_cbranch_execz .LBB22_1758
.LBB22_1775:
	v_cmp_ne_u16_e32 vcc, 0, v6
	s_andn2_b64 s[20:21], s[20:21], exec
	s_and_b64 s[22:23], vcc, exec
	v_pk_mov_b32 v[4:5], 0, 0
	s_or_b64 s[20:21], s[20:21], s[22:23]
	s_or_b64 exec, exec, s[24:25]
	s_and_saveexec_b64 s[22:23], s[20:21]
	s_cbranch_execnz .LBB22_1759
	s_branch .LBB22_1760
.LBB22_1776:
	s_mov_b64 s[16:17], -1
                                        ; implicit-def: $vgpr4_vgpr5
	s_branch .LBB22_1781
.LBB22_1777:
	s_mov_b64 s[16:17], -1
                                        ; implicit-def: $vgpr4_vgpr5
.LBB22_1778:
	s_and_b64 vcc, exec, s[16:17]
	s_cbranch_vccz .LBB22_1780
; %bb.1779:
	global_load_ubyte v4, v[0:1], off
	s_mov_b32 s15, 0x7f800000
	s_waitcnt vmcnt(0)
	v_lshlrev_b32_e32 v4, 24, v4
	v_and_b32_e32 v5, 0x7f000000, v4
	v_ffbh_u32_e32 v6, v5
	v_min_u32_e32 v6, 32, v6
	v_sub_u32_e64 v6, v6, 4 clamp
	v_lshlrev_b32_e32 v10, v6, v5
	v_lshlrev_b32_e32 v6, 23, v6
	v_lshrrev_b32_e32 v10, 4, v10
	v_add_u32_e32 v7, 0x1000000, v5
	v_sub_u32_e32 v6, v10, v6
	v_ashrrev_i32_e32 v7, 8, v7
	v_add_u32_e32 v6, 0x3c000000, v6
	v_and_or_b32 v6, v7, s15, v6
	v_cmp_ne_u32_e32 vcc, 0, v5
	v_cndmask_b32_e32 v5, 0, v6, vcc
	s_brev_b32 s15, 1
	v_and_or_b32 v4, v4, s15, v5
	v_cvt_f64_f32_e32 v[4:5], v4
.LBB22_1780:
	s_mov_b64 s[16:17], 0
.LBB22_1781:
	s_andn2_b64 vcc, exec, s[16:17]
	s_cbranch_vccnz .LBB22_1783
; %bb.1782:
	global_load_ubyte v4, v[0:1], off
	s_movk_i32 s15, 0x7f00
	s_brev_b32 s16, 16
	s_waitcnt vmcnt(0)
	v_lshlrev_b16_e32 v5, 8, v4
	v_lshlrev_b32_e32 v4, 25, v4
	v_lshrrev_b32_e32 v6, 4, v4
	v_and_or_b32 v7, v5, s15, 0.5
	v_or_b32_e32 v6, 0x70000000, v6
	v_add_f32_e32 v7, -0.5, v7
	v_mul_f32_e32 v6, 0x7800000, v6
	v_cmp_gt_u32_e32 vcc, s16, v4
	v_bfe_i32 v5, v5, 0, 16
	v_cndmask_b32_e32 v4, v6, v7, vcc
	s_brev_b32 s15, 1
	v_and_or_b32 v4, v5, s15, v4
	v_cvt_f64_f32_e32 v[4:5], v4
.LBB22_1783:
	s_mov_b64 s[16:17], 0
	s_mov_b64 s[20:21], -1
.LBB22_1784:
	s_andn2_b64 vcc, exec, s[16:17]
	s_mov_b64 s[16:17], 0
	s_cbranch_vccnz .LBB22_1795
; %bb.1785:
	v_mov_b32_e32 v4, 14
	v_cmp_gt_i16_sdwa s[16:17], v16, v4 src0_sel:BYTE_0 src1_sel:DWORD
	s_and_b64 vcc, exec, s[16:17]
	s_cbranch_vccz .LBB22_1788
; %bb.1786:
	v_mov_b32_e32 v4, 15
	v_cmp_eq_u16_sdwa s[0:1], v16, v4 src0_sel:BYTE_0 src1_sel:DWORD
	s_and_b64 vcc, exec, s[0:1]
	s_cbranch_vccz .LBB22_1791
; %bb.1787:
	global_load_ushort v4, v[0:1], off
	s_mov_b64 s[0:1], 0
	s_mov_b64 s[20:21], -1
	s_waitcnt vmcnt(0)
	v_lshlrev_b32_e32 v4, 16, v4
	v_cvt_f64_f32_e32 v[4:5], v4
	s_branch .LBB22_1792
.LBB22_1788:
	s_mov_b64 s[22:23], -1
                                        ; implicit-def: $vgpr4_vgpr5
	s_branch .LBB22_1793
.LBB22_1789:
	s_or_saveexec_b64 s[22:23], s[22:23]
	v_pk_mov_b32 v[4:5], s[20:21], s[20:21] op_sel:[0,1]
	s_xor_b64 exec, exec, s[22:23]
	s_cbranch_execz .LBB22_1770
.LBB22_1790:
	v_cmp_ne_u16_e32 vcc, 0, v6
	s_andn2_b64 s[16:17], s[16:17], exec
	s_and_b64 s[20:21], vcc, exec
	v_pk_mov_b32 v[4:5], 0, 0
	s_or_b64 s[16:17], s[16:17], s[20:21]
	s_or_b64 exec, exec, s[22:23]
	s_and_saveexec_b64 s[20:21], s[16:17]
	s_cbranch_execnz .LBB22_1771
	s_branch .LBB22_1772
.LBB22_1791:
	s_mov_b64 s[0:1], -1
                                        ; implicit-def: $vgpr4_vgpr5
.LBB22_1792:
	s_mov_b64 s[22:23], 0
.LBB22_1793:
	s_mov_b64 s[16:17], 0
	s_and_b64 vcc, exec, s[22:23]
	s_cbranch_vccz .LBB22_1795
; %bb.1794:
	v_mov_b32_e32 v4, 11
	v_cmp_ne_u16_sdwa s[0:1], v16, v4 src0_sel:BYTE_0 src1_sel:DWORD
	s_mov_b64 s[16:17], -1
                                        ; implicit-def: $vgpr4_vgpr5
.LBB22_1795:
	s_and_b64 vcc, exec, s[0:1]
	s_cbranch_vccnz .LBB22_1870
; %bb.1796:
	s_andn2_b64 vcc, exec, s[16:17]
	s_cbranch_vccnz .LBB22_1798
.LBB22_1797:
	global_load_ubyte v5, v[0:1], off
	v_mov_b32_e32 v6, 0x3ff00000
	v_mov_b32_e32 v4, 0
	s_mov_b64 s[20:21], -1
	s_waitcnt vmcnt(0)
	v_cmp_ne_u16_e32 vcc, 0, v5
	v_cndmask_b32_e32 v5, 0, v6, vcc
.LBB22_1798:
	s_branch .LBB22_1725
.LBB22_1799:
	v_mov_b32_e32 v4, 5
	v_cmp_lt_i16_sdwa s[0:1], v16, v4 src0_sel:BYTE_0 src1_sel:DWORD
	s_and_b64 vcc, exec, s[0:1]
	s_cbranch_vccnz .LBB22_1804
; %bb.1800:
	v_mov_b32_e32 v4, 8
	v_cmp_lt_i16_sdwa s[0:1], v16, v4 src0_sel:BYTE_0 src1_sel:DWORD
	s_and_b64 vcc, exec, s[0:1]
	s_cbranch_vccnz .LBB22_1805
; %bb.1801:
	;; [unrolled: 5-line block ×3, first 2 shown]
	v_cmp_gt_i16_sdwa s[0:1], v16, v4 src0_sel:BYTE_0 src1_sel:DWORD
	s_and_b64 vcc, exec, s[0:1]
	s_cbranch_vccz .LBB22_1807
; %bb.1803:
	global_load_dwordx2 v[4:5], v[0:1], off
	s_mov_b64 s[0:1], 0
	s_branch .LBB22_1808
.LBB22_1804:
                                        ; implicit-def: $vgpr4_vgpr5
	s_branch .LBB22_1826
.LBB22_1805:
	s_mov_b64 s[0:1], -1
                                        ; implicit-def: $vgpr4_vgpr5
	s_branch .LBB22_1814
.LBB22_1806:
	s_mov_b64 s[0:1], -1
                                        ; implicit-def: $vgpr4_vgpr5
	s_branch .LBB22_1811
.LBB22_1807:
	s_mov_b64 s[0:1], -1
                                        ; implicit-def: $vgpr4_vgpr5
.LBB22_1808:
	s_andn2_b64 vcc, exec, s[0:1]
	s_cbranch_vccnz .LBB22_1810
; %bb.1809:
	global_load_dword v4, v[0:1], off
	s_waitcnt vmcnt(0)
	v_cvt_f64_f32_e32 v[4:5], v4
.LBB22_1810:
	s_mov_b64 s[0:1], 0
.LBB22_1811:
	s_andn2_b64 vcc, exec, s[0:1]
	s_cbranch_vccnz .LBB22_1813
; %bb.1812:
	global_load_dword v4, v[0:1], off
	s_waitcnt vmcnt(0)
	v_cvt_f32_f16_e32 v4, v4
	v_cvt_f64_f32_e32 v[4:5], v4
.LBB22_1813:
	s_mov_b64 s[0:1], 0
.LBB22_1814:
	s_andn2_b64 vcc, exec, s[0:1]
	s_cbranch_vccnz .LBB22_1825
; %bb.1815:
	s_waitcnt vmcnt(0)
	v_mov_b32_e32 v4, 6
	v_cmp_lt_i16_sdwa s[0:1], v16, v4 src0_sel:BYTE_0 src1_sel:DWORD
	s_and_b64 vcc, exec, s[0:1]
	s_cbranch_vccnz .LBB22_1818
; %bb.1816:
	v_cmp_gt_i16_sdwa s[0:1], v16, v4 src0_sel:BYTE_0 src1_sel:DWORD
	s_and_b64 vcc, exec, s[0:1]
	s_cbranch_vccz .LBB22_1819
; %bb.1817:
	global_load_dwordx2 v[4:5], v[0:1], off
	s_mov_b64 s[0:1], 0
	s_branch .LBB22_1820
.LBB22_1818:
	s_mov_b64 s[0:1], -1
                                        ; implicit-def: $vgpr4_vgpr5
	s_branch .LBB22_1823
.LBB22_1819:
	s_mov_b64 s[0:1], -1
                                        ; implicit-def: $vgpr4_vgpr5
.LBB22_1820:
	s_andn2_b64 vcc, exec, s[0:1]
	s_cbranch_vccnz .LBB22_1822
; %bb.1821:
	global_load_dword v4, v[0:1], off
	s_waitcnt vmcnt(0)
	v_cvt_f64_f32_e32 v[4:5], v4
.LBB22_1822:
	s_mov_b64 s[0:1], 0
.LBB22_1823:
	s_andn2_b64 vcc, exec, s[0:1]
	s_cbranch_vccnz .LBB22_1825
; %bb.1824:
	global_load_ushort v4, v[0:1], off
	s_waitcnt vmcnt(0)
	v_cvt_f32_f16_e32 v4, v4
	v_cvt_f64_f32_e32 v[4:5], v4
.LBB22_1825:
	s_cbranch_execnz .LBB22_1845
.LBB22_1826:
	s_waitcnt vmcnt(0)
	v_mov_b32_e32 v4, 2
	v_cmp_lt_i16_sdwa s[0:1], v16, v4 src0_sel:BYTE_0 src1_sel:DWORD
	s_and_b64 vcc, exec, s[0:1]
	s_cbranch_vccnz .LBB22_1830
; %bb.1827:
	v_mov_b32_e32 v4, 3
	v_cmp_lt_i16_sdwa s[0:1], v16, v4 src0_sel:BYTE_0 src1_sel:DWORD
	s_and_b64 vcc, exec, s[0:1]
	s_cbranch_vccnz .LBB22_1831
; %bb.1828:
	v_cmp_gt_i16_sdwa s[0:1], v16, v4 src0_sel:BYTE_0 src1_sel:DWORD
	s_and_b64 vcc, exec, s[0:1]
	s_cbranch_vccz .LBB22_1832
; %bb.1829:
	global_load_dwordx2 v[4:5], v[0:1], off
	s_mov_b64 s[0:1], 0
	s_waitcnt vmcnt(0)
	v_cvt_f64_i32_e32 v[6:7], v5
	v_cvt_f64_u32_e32 v[4:5], v4
	v_ldexp_f64 v[6:7], v[6:7], 32
	v_add_f64 v[4:5], v[6:7], v[4:5]
	s_branch .LBB22_1833
.LBB22_1830:
	s_mov_b64 s[0:1], -1
                                        ; implicit-def: $vgpr4_vgpr5
	s_branch .LBB22_1839
.LBB22_1831:
	s_mov_b64 s[0:1], -1
                                        ; implicit-def: $vgpr4_vgpr5
	s_branch .LBB22_1836
.LBB22_1832:
	s_mov_b64 s[0:1], -1
                                        ; implicit-def: $vgpr4_vgpr5
.LBB22_1833:
	s_andn2_b64 vcc, exec, s[0:1]
	s_cbranch_vccnz .LBB22_1835
; %bb.1834:
	global_load_dword v4, v[0:1], off
	s_waitcnt vmcnt(0)
	v_cvt_f64_i32_e32 v[4:5], v4
.LBB22_1835:
	s_mov_b64 s[0:1], 0
.LBB22_1836:
	s_andn2_b64 vcc, exec, s[0:1]
	s_cbranch_vccnz .LBB22_1838
; %bb.1837:
	global_load_sshort v4, v[0:1], off
	s_waitcnt vmcnt(0)
	v_cvt_f64_i32_e32 v[4:5], v4
.LBB22_1838:
	s_mov_b64 s[0:1], 0
.LBB22_1839:
	s_andn2_b64 vcc, exec, s[0:1]
	s_cbranch_vccnz .LBB22_1845
; %bb.1840:
	v_mov_b32_e32 v4, 0
	v_cmp_gt_i16_sdwa s[0:1], v16, v4 src0_sel:BYTE_0 src1_sel:DWORD
	s_and_b64 vcc, exec, s[0:1]
	s_cbranch_vccz .LBB22_1842
; %bb.1841:
	global_load_sbyte v4, v[0:1], off
	s_mov_b64 s[0:1], 0
	s_waitcnt vmcnt(0)
	v_cvt_f64_i32_e32 v[4:5], v4
	s_branch .LBB22_1843
.LBB22_1842:
	s_mov_b64 s[0:1], -1
                                        ; implicit-def: $vgpr4_vgpr5
.LBB22_1843:
	s_andn2_b64 vcc, exec, s[0:1]
	s_cbranch_vccnz .LBB22_1845
; %bb.1844:
	global_load_ubyte v0, v[0:1], off
	s_waitcnt vmcnt(0)
	v_cvt_f64_u32_e32 v[4:5], v0
.LBB22_1845:
.LBB22_1846:
	s_waitcnt vmcnt(0)
	v_trunc_f64_e32 v[0:1], v[4:5]
	s_movk_i32 s0, 0xffe0
	v_ldexp_f64 v[4:5], v[0:1], s0
	v_floor_f64_e32 v[6:7], v[4:5]
	v_fmac_f64_e32 v[0:1], 0xc1f00000, v[6:7]
	v_cvt_i32_f64_e32 v5, v[6:7]
	v_cvt_u32_f64_e32 v4, v[0:1]
	v_cmp_lt_i64_e32 vcc, -1, v[4:5]
	v_pk_mov_b32 v[0:1], 0, 0
	s_and_saveexec_b64 s[0:1], vcc
	s_cbranch_execz .LBB22_1858
; %bb.1847:
	v_mov_b32_e32 v0, 0
	v_cmp_lt_i64_e32 vcc, 0, v[4:5]
	v_mov_b32_e32 v1, 0x3ff00000
	s_and_saveexec_b64 s[16:17], vcc
	s_cbranch_execz .LBB22_1857
; %bb.1848:
	v_cmp_ne_u64_e32 vcc, 1, v[4:5]
                                        ; implicit-def: $vgpr0_vgpr1
	s_and_saveexec_b64 s[20:21], vcc
	s_xor_b64 s[20:21], exec, s[20:21]
	s_cbranch_execz .LBB22_1854
; %bb.1849:
	s_mov_b64 s[22:23], 0x201
	v_mov_b32_e32 v0, 0
	v_cmp_gt_u64_e32 vcc, s[22:23], v[4:5]
	v_mov_b32_e32 v1, 0x7ff80000
	s_and_saveexec_b64 s[22:23], vcc
	s_cbranch_execz .LBB22_1853
; %bb.1850:
	v_mov_b32_e32 v6, 0
	s_mov_b64 s[26:27], 1
	s_mov_b64 s[24:25], 0
	v_mov_b32_e32 v7, 0x3ff00000
	v_pk_mov_b32 v[0:1], v[2:3], v[2:3] op_sel:[0,1]
.LBB22_1851:                            ; =>This Inner Loop Header: Depth=1
	v_cvt_f64_u32_e32 v[10:11], s27
	v_cvt_f64_u32_e32 v[12:13], s26
	s_add_u32 s26, s26, 1
	v_ldexp_f64 v[10:11], v[10:11], 32
	s_addc_u32 s27, s27, 0
	v_add_f64 v[10:11], v[10:11], v[12:13]
	v_cmp_eq_u64_e32 vcc, s[26:27], v[4:5]
	v_mul_f64 v[10:11], v[6:7], v[10:11]
	s_or_b64 s[24:25], vcc, s[24:25]
	v_pk_mov_b32 v[6:7], v[0:1], v[0:1] op_sel:[0,1]
	v_fma_f64 v[0:1], v[2:3], v[0:1], -v[10:11]
	s_andn2_b64 exec, exec, s[24:25]
	s_cbranch_execnz .LBB22_1851
; %bb.1852:
	s_or_b64 exec, exec, s[24:25]
.LBB22_1853:
	s_or_b64 exec, exec, s[22:23]
                                        ; implicit-def: $vgpr2_vgpr3
.LBB22_1854:
	s_andn2_saveexec_b64 s[20:21], s[20:21]
; %bb.1855:
	v_pk_mov_b32 v[0:1], v[2:3], v[2:3] op_sel:[0,1]
; %bb.1856:
	s_or_b64 exec, exec, s[20:21]
.LBB22_1857:
	s_or_b64 exec, exec, s[16:17]
.LBB22_1858:
	s_or_b64 exec, exec, s[0:1]
	s_lshl_b32 s13, s13, 7
	v_add_u32_e32 v10, s13, v9
	v_ashrrev_i32_e32 v2, 31, v10
	v_mov_b32_e32 v3, s11
	v_add_co_u32_e32 v4, vcc, s10, v10
	v_addc_co_u32_e32 v5, vcc, v3, v2, vcc
	v_mov_b32_e32 v2, 11
	v_cmp_lt_i16_sdwa s[0:1], v17, v2 src0_sel:BYTE_0 src1_sel:DWORD
	s_and_b64 vcc, exec, s[0:1]
	s_cbranch_vccnz .LBB22_1865
; %bb.1859:
	v_mov_b32_e32 v2, 25
	v_cmp_gt_i16_sdwa s[0:1], v17, v2 src0_sel:BYTE_0 src1_sel:DWORD
	s_mov_b64 s[16:17], 0
	s_and_b64 vcc, exec, s[0:1]
	s_cbranch_vccz .LBB22_1867
; %bb.1860:
	v_mov_b32_e32 v2, 28
	v_cmp_gt_i16_sdwa s[0:1], v17, v2 src0_sel:BYTE_0 src1_sel:DWORD
	s_and_b64 vcc, exec, s[0:1]
	s_cbranch_vccz .LBB22_1868
; %bb.1861:
	v_mov_b32_e32 v2, 43
	v_cmp_gt_i16_sdwa s[0:1], v17, v2 src0_sel:BYTE_0 src1_sel:DWORD
	;; [unrolled: 5-line block ×3, first 2 shown]
	s_and_b64 vcc, exec, s[0:1]
	s_cbranch_vccz .LBB22_1871
; %bb.1863:
	v_mov_b32_e32 v2, 46
	v_cmp_eq_u16_sdwa s[0:1], v17, v2 src0_sel:BYTE_0 src1_sel:DWORD
	s_mov_b64 s[22:23], 0
	s_and_b64 vcc, exec, s[0:1]
	s_cbranch_vccz .LBB22_1872
; %bb.1864:
	global_load_dword v2, v[4:5], off
	s_mov_b64 s[0:1], 0
	s_mov_b64 s[20:21], -1
	s_waitcnt vmcnt(0)
	v_lshlrev_b32_e32 v2, 16, v2
	v_cvt_f64_f32_e32 v[2:3], v2
	s_branch .LBB22_1873
.LBB22_1865:
	s_mov_b64 s[20:21], 0
                                        ; implicit-def: $vgpr2_vgpr3
	s_cbranch_execnz .LBB22_1939
.LBB22_1866:
	s_andn2_b64 vcc, exec, s[20:21]
	s_cbranch_vccnz .LBB22_2682
	s_branch .LBB22_1987
.LBB22_1867:
	s_mov_b64 s[22:23], -1
	s_mov_b64 s[20:21], 0
	s_mov_b64 s[0:1], 0
                                        ; implicit-def: $vgpr2_vgpr3
	s_branch .LBB22_1902
.LBB22_1868:
	s_mov_b64 s[22:23], -1
	s_mov_b64 s[20:21], 0
	s_mov_b64 s[0:1], 0
                                        ; implicit-def: $vgpr2_vgpr3
	s_branch .LBB22_1883
.LBB22_1869:
	s_mov_b64 s[22:23], -1
	s_mov_b64 s[20:21], 0
	s_mov_b64 s[0:1], 0
                                        ; implicit-def: $vgpr2_vgpr3
	s_branch .LBB22_1878
.LBB22_1870:
	s_trap 2
	s_or_b64 s[18:19], s[18:19], exec
                                        ; implicit-def: $vgpr4_vgpr5
	s_cbranch_execz .LBB22_1797
	s_branch .LBB22_1798
.LBB22_1871:
	s_mov_b64 s[22:23], -1
	s_mov_b64 s[20:21], 0
	s_mov_b64 s[0:1], 0
                                        ; implicit-def: $vgpr2_vgpr3
	s_branch .LBB22_1873
.LBB22_1872:
	s_mov_b64 s[0:1], -1
                                        ; implicit-def: $vgpr2_vgpr3
	s_mov_b64 s[20:21], 0
.LBB22_1873:
	s_and_b64 vcc, exec, s[22:23]
	s_cbranch_vccz .LBB22_1877
; %bb.1874:
	v_mov_b32_e32 v2, 44
	v_cmp_eq_u16_sdwa s[0:1], v17, v2 src0_sel:BYTE_0 src1_sel:DWORD
	s_and_b64 vcc, exec, s[0:1]
	s_cbranch_vccz .LBB22_1876
; %bb.1875:
	global_load_ubyte v6, v[4:5], off
	s_movk_i32 s15, 0xff
	v_bfrev_b32_e32 v7, 4
	v_mov_b32_e32 v9, 0x7ff80000
	v_bfrev_b32_e32 v11, 28
	s_mov_b64 s[0:1], 0
	s_mov_b64 s[20:21], -1
	s_waitcnt vmcnt(0)
	v_lshlrev_b32_e32 v2, 23, v6
	v_cvt_f64_f32_e32 v[2:3], v2
	v_cmp_ne_u32_e32 vcc, s15, v6
	v_cndmask_b32_e32 v2, v7, v2, vcc
	v_cndmask_b32_e32 v3, v9, v3, vcc
	v_cmp_ne_u32_e32 vcc, 0, v6
	v_cndmask_b32_e32 v3, v11, v3, vcc
	v_cndmask_b32_e32 v2, 0, v2, vcc
	s_branch .LBB22_1877
.LBB22_1876:
	s_mov_b64 s[0:1], -1
                                        ; implicit-def: $vgpr2_vgpr3
.LBB22_1877:
	s_mov_b64 s[22:23], 0
.LBB22_1878:
	s_and_b64 vcc, exec, s[22:23]
	s_cbranch_vccz .LBB22_1882
; %bb.1879:
	v_mov_b32_e32 v2, 29
	v_cmp_eq_u16_sdwa s[0:1], v17, v2 src0_sel:BYTE_0 src1_sel:DWORD
	s_and_b64 vcc, exec, s[0:1]
	s_cbranch_vccz .LBB22_1881
; %bb.1880:
	global_load_dwordx2 v[2:3], v[4:5], off
	s_mov_b64 s[0:1], 0
	s_mov_b64 s[20:21], -1
	s_mov_b64 s[22:23], 0
	s_waitcnt vmcnt(0)
	v_cvt_f64_u32_e32 v[6:7], v3
	v_cvt_f64_u32_e32 v[2:3], v2
	v_ldexp_f64 v[6:7], v[6:7], 32
	v_add_f64 v[2:3], v[6:7], v[2:3]
	s_branch .LBB22_1883
.LBB22_1881:
	s_mov_b64 s[0:1], -1
                                        ; implicit-def: $vgpr2_vgpr3
.LBB22_1882:
	s_mov_b64 s[22:23], 0
.LBB22_1883:
	s_and_b64 vcc, exec, s[22:23]
	s_cbranch_vccz .LBB22_1901
; %bb.1884:
	v_mov_b32_e32 v2, 27
	v_cmp_lt_i16_sdwa s[20:21], v17, v2 src0_sel:BYTE_0 src1_sel:DWORD
	s_and_b64 vcc, exec, s[20:21]
	s_cbranch_vccnz .LBB22_1887
; %bb.1885:
	v_cmp_gt_i16_sdwa s[20:21], v17, v2 src0_sel:BYTE_0 src1_sel:DWORD
	s_and_b64 vcc, exec, s[20:21]
	s_cbranch_vccz .LBB22_1888
; %bb.1886:
	global_load_dword v2, v[4:5], off
	s_mov_b64 s[20:21], 0
	s_waitcnt vmcnt(0)
	v_cvt_f64_u32_e32 v[2:3], v2
	s_branch .LBB22_1889
.LBB22_1887:
	s_mov_b64 s[20:21], -1
                                        ; implicit-def: $vgpr2_vgpr3
	s_branch .LBB22_1892
.LBB22_1888:
	s_mov_b64 s[20:21], -1
                                        ; implicit-def: $vgpr2_vgpr3
.LBB22_1889:
	s_andn2_b64 vcc, exec, s[20:21]
	s_cbranch_vccnz .LBB22_1891
; %bb.1890:
	global_load_ushort v2, v[4:5], off
	s_waitcnt vmcnt(0)
	v_cvt_f64_u32_e32 v[2:3], v2
.LBB22_1891:
	s_mov_b64 s[20:21], 0
.LBB22_1892:
	s_andn2_b64 vcc, exec, s[20:21]
	s_cbranch_vccnz .LBB22_1900
; %bb.1893:
	global_load_ubyte v6, v[4:5], off
	s_movk_i32 s15, 0x7f
	s_mov_b64 s[20:21], 0
                                        ; implicit-def: $sgpr22_sgpr23
	s_waitcnt vmcnt(0)
	v_cmp_lt_i16_e32 vcc, s15, v6
	s_and_saveexec_b64 s[24:25], vcc
	s_xor_b64 s[24:25], exec, s[24:25]
	s_cbranch_execz .LBB22_1914
; %bb.1894:
	s_movk_i32 s15, 0x80
	v_cmp_eq_u16_e32 vcc, s15, v6
	s_mov_b64 s[26:27], -1
                                        ; implicit-def: $sgpr22_sgpr23
	s_and_saveexec_b64 s[20:21], vcc
; %bb.1895:
	s_mov_b32 s23, 0x7ff80000
	s_brev_b32 s22, 4
	s_xor_b64 s[26:27], exec, -1
; %bb.1896:
	s_or_b64 exec, exec, s[20:21]
	s_and_b64 s[20:21], s[26:27], exec
	s_or_saveexec_b64 s[24:25], s[24:25]
	v_pk_mov_b32 v[2:3], s[22:23], s[22:23] op_sel:[0,1]
	s_xor_b64 exec, exec, s[24:25]
	s_cbranch_execnz .LBB22_1915
.LBB22_1897:
	s_or_b64 exec, exec, s[24:25]
	s_and_saveexec_b64 s[22:23], s[20:21]
	s_cbranch_execz .LBB22_1899
.LBB22_1898:
	v_and_b32_e32 v3, 0xffff, v6
	v_lshlrev_b32_e32 v2, 24, v6
	v_and_b32_e32 v6, 7, v3
	v_ffbh_u32_e32 v9, v6
	v_min_u32_e32 v9, 32, v9
	v_subrev_u32_e32 v11, 28, v9
	v_bfe_u32 v7, v3, 3, 4
	v_lshlrev_b32_e32 v3, v11, v3
	v_sub_u32_e32 v9, 29, v9
	v_and_b32_e32 v3, 7, v3
	v_cmp_eq_u32_e32 vcc, 0, v7
	v_cndmask_b32_e32 v7, v7, v9, vcc
	v_cndmask_b32_e32 v3, v6, v3, vcc
	v_mov_b32_e32 v6, 0x3b800000
	v_lshlrev_b32_e32 v3, 20, v3
	v_and_b32_e32 v2, 0x80000000, v2
	v_lshl_add_u32 v6, v7, 23, v6
	v_or3_b32 v2, v2, v6, v3
	v_cvt_f64_f32_e32 v[2:3], v2
.LBB22_1899:
	s_or_b64 exec, exec, s[22:23]
.LBB22_1900:
	s_mov_b64 s[20:21], -1
.LBB22_1901:
	s_mov_b64 s[22:23], 0
.LBB22_1902:
	s_and_b64 vcc, exec, s[22:23]
	s_cbranch_vccz .LBB22_1935
; %bb.1903:
	v_mov_b32_e32 v2, 22
	v_cmp_gt_i16_sdwa s[16:17], v17, v2 src0_sel:BYTE_0 src1_sel:DWORD
	s_and_b64 vcc, exec, s[16:17]
	s_cbranch_vccz .LBB22_1913
; %bb.1904:
	v_mov_b32_e32 v2, 24
	v_cmp_lt_i16_sdwa s[16:17], v17, v2 src0_sel:BYTE_0 src1_sel:DWORD
	s_and_b64 vcc, exec, s[16:17]
	s_cbranch_vccnz .LBB22_1916
; %bb.1905:
	v_cmp_gt_i16_sdwa s[16:17], v17, v2 src0_sel:BYTE_0 src1_sel:DWORD
	s_and_b64 vcc, exec, s[16:17]
	s_cbranch_vccz .LBB22_1917
; %bb.1906:
	global_load_ubyte v6, v[4:5], off
	s_movk_i32 s15, 0x7f
	s_mov_b64 s[16:17], 0
                                        ; implicit-def: $sgpr20_sgpr21
	s_waitcnt vmcnt(0)
	v_cmp_lt_i16_e32 vcc, s15, v6
	s_and_saveexec_b64 s[22:23], vcc
	s_xor_b64 s[22:23], exec, s[22:23]
	s_cbranch_execz .LBB22_1929
; %bb.1907:
	s_movk_i32 s15, 0x80
	v_cmp_eq_u16_e32 vcc, s15, v6
	s_mov_b64 s[24:25], -1
                                        ; implicit-def: $sgpr20_sgpr21
	s_and_saveexec_b64 s[16:17], vcc
; %bb.1908:
	s_mov_b32 s21, 0x7ff80000
	s_brev_b32 s20, 4
	s_xor_b64 s[24:25], exec, -1
; %bb.1909:
	s_or_b64 exec, exec, s[16:17]
	s_and_b64 s[16:17], s[24:25], exec
	s_or_saveexec_b64 s[22:23], s[22:23]
	v_pk_mov_b32 v[2:3], s[20:21], s[20:21] op_sel:[0,1]
	s_xor_b64 exec, exec, s[22:23]
	s_cbranch_execnz .LBB22_1930
.LBB22_1910:
	s_or_b64 exec, exec, s[22:23]
	s_and_saveexec_b64 s[20:21], s[16:17]
	s_cbranch_execz .LBB22_1912
.LBB22_1911:
	v_and_b32_e32 v3, 0xffff, v6
	v_lshlrev_b32_e32 v2, 24, v6
	v_and_b32_e32 v6, 3, v3
	v_ffbh_u32_e32 v9, v6
	v_min_u32_e32 v9, 32, v9
	v_subrev_u32_e32 v11, 29, v9
	v_bfe_u32 v7, v3, 2, 5
	v_lshlrev_b32_e32 v3, v11, v3
	v_sub_u32_e32 v9, 30, v9
	v_and_b32_e32 v3, 3, v3
	v_cmp_eq_u32_e32 vcc, 0, v7
	v_cndmask_b32_e32 v7, v7, v9, vcc
	v_cndmask_b32_e32 v3, v6, v3, vcc
	v_mov_b32_e32 v6, 0x37800000
	v_lshlrev_b32_e32 v3, 21, v3
	v_and_b32_e32 v2, 0x80000000, v2
	v_lshl_add_u32 v6, v7, 23, v6
	v_or3_b32 v2, v2, v6, v3
	v_cvt_f64_f32_e32 v[2:3], v2
.LBB22_1912:
	s_or_b64 exec, exec, s[20:21]
	s_mov_b64 s[16:17], 0
	s_branch .LBB22_1918
.LBB22_1913:
	s_mov_b64 s[16:17], -1
                                        ; implicit-def: $vgpr2_vgpr3
	s_branch .LBB22_1924
.LBB22_1914:
	s_or_saveexec_b64 s[24:25], s[24:25]
	v_pk_mov_b32 v[2:3], s[22:23], s[22:23] op_sel:[0,1]
	s_xor_b64 exec, exec, s[24:25]
	s_cbranch_execz .LBB22_1897
.LBB22_1915:
	v_cmp_ne_u16_e32 vcc, 0, v6
	s_andn2_b64 s[20:21], s[20:21], exec
	s_and_b64 s[22:23], vcc, exec
	v_pk_mov_b32 v[2:3], 0, 0
	s_or_b64 s[20:21], s[20:21], s[22:23]
	s_or_b64 exec, exec, s[24:25]
	s_and_saveexec_b64 s[22:23], s[20:21]
	s_cbranch_execnz .LBB22_1898
	s_branch .LBB22_1899
.LBB22_1916:
	s_mov_b64 s[16:17], -1
                                        ; implicit-def: $vgpr2_vgpr3
	s_branch .LBB22_1921
.LBB22_1917:
	s_mov_b64 s[16:17], -1
                                        ; implicit-def: $vgpr2_vgpr3
.LBB22_1918:
	s_and_b64 vcc, exec, s[16:17]
	s_cbranch_vccz .LBB22_1920
; %bb.1919:
	global_load_ubyte v2, v[4:5], off
	s_mov_b32 s15, 0x7f800000
	s_waitcnt vmcnt(0)
	v_lshlrev_b32_e32 v2, 24, v2
	v_and_b32_e32 v3, 0x7f000000, v2
	v_ffbh_u32_e32 v6, v3
	v_min_u32_e32 v6, 32, v6
	v_sub_u32_e64 v6, v6, 4 clamp
	v_lshlrev_b32_e32 v9, v6, v3
	v_lshlrev_b32_e32 v6, 23, v6
	v_lshrrev_b32_e32 v9, 4, v9
	v_add_u32_e32 v7, 0x1000000, v3
	v_sub_u32_e32 v6, v9, v6
	v_ashrrev_i32_e32 v7, 8, v7
	v_add_u32_e32 v6, 0x3c000000, v6
	v_and_or_b32 v6, v7, s15, v6
	v_cmp_ne_u32_e32 vcc, 0, v3
	v_cndmask_b32_e32 v3, 0, v6, vcc
	s_brev_b32 s15, 1
	v_and_or_b32 v2, v2, s15, v3
	v_cvt_f64_f32_e32 v[2:3], v2
.LBB22_1920:
	s_mov_b64 s[16:17], 0
.LBB22_1921:
	s_andn2_b64 vcc, exec, s[16:17]
	s_cbranch_vccnz .LBB22_1923
; %bb.1922:
	global_load_ubyte v2, v[4:5], off
	s_movk_i32 s15, 0x7f00
	s_brev_b32 s16, 16
	s_waitcnt vmcnt(0)
	v_lshlrev_b16_e32 v3, 8, v2
	v_lshlrev_b32_e32 v2, 25, v2
	v_lshrrev_b32_e32 v6, 4, v2
	v_and_or_b32 v7, v3, s15, 0.5
	v_or_b32_e32 v6, 0x70000000, v6
	v_add_f32_e32 v7, -0.5, v7
	v_mul_f32_e32 v6, 0x7800000, v6
	v_cmp_gt_u32_e32 vcc, s16, v2
	v_bfe_i32 v3, v3, 0, 16
	v_cndmask_b32_e32 v2, v6, v7, vcc
	s_brev_b32 s15, 1
	v_and_or_b32 v2, v3, s15, v2
	v_cvt_f64_f32_e32 v[2:3], v2
.LBB22_1923:
	s_mov_b64 s[16:17], 0
	s_mov_b64 s[20:21], -1
.LBB22_1924:
	s_andn2_b64 vcc, exec, s[16:17]
	s_mov_b64 s[16:17], 0
	s_cbranch_vccnz .LBB22_1935
; %bb.1925:
	v_mov_b32_e32 v2, 14
	v_cmp_gt_i16_sdwa s[16:17], v17, v2 src0_sel:BYTE_0 src1_sel:DWORD
	s_and_b64 vcc, exec, s[16:17]
	s_cbranch_vccz .LBB22_1928
; %bb.1926:
	v_mov_b32_e32 v2, 15
	v_cmp_eq_u16_sdwa s[0:1], v17, v2 src0_sel:BYTE_0 src1_sel:DWORD
	s_and_b64 vcc, exec, s[0:1]
	s_cbranch_vccz .LBB22_1931
; %bb.1927:
	global_load_ushort v2, v[4:5], off
	s_mov_b64 s[0:1], 0
	s_mov_b64 s[20:21], -1
	s_waitcnt vmcnt(0)
	v_lshlrev_b32_e32 v2, 16, v2
	v_cvt_f64_f32_e32 v[2:3], v2
	s_branch .LBB22_1932
.LBB22_1928:
	s_mov_b64 s[22:23], -1
                                        ; implicit-def: $vgpr2_vgpr3
	s_branch .LBB22_1933
.LBB22_1929:
	s_or_saveexec_b64 s[22:23], s[22:23]
	v_pk_mov_b32 v[2:3], s[20:21], s[20:21] op_sel:[0,1]
	s_xor_b64 exec, exec, s[22:23]
	s_cbranch_execz .LBB22_1910
.LBB22_1930:
	v_cmp_ne_u16_e32 vcc, 0, v6
	s_andn2_b64 s[16:17], s[16:17], exec
	s_and_b64 s[20:21], vcc, exec
	v_pk_mov_b32 v[2:3], 0, 0
	s_or_b64 s[16:17], s[16:17], s[20:21]
	s_or_b64 exec, exec, s[22:23]
	s_and_saveexec_b64 s[20:21], s[16:17]
	s_cbranch_execnz .LBB22_1911
	s_branch .LBB22_1912
.LBB22_1931:
	s_mov_b64 s[0:1], -1
                                        ; implicit-def: $vgpr2_vgpr3
.LBB22_1932:
	s_mov_b64 s[22:23], 0
.LBB22_1933:
	s_mov_b64 s[16:17], 0
	s_and_b64 vcc, exec, s[22:23]
	s_cbranch_vccz .LBB22_1935
; %bb.1934:
	v_mov_b32_e32 v2, 11
	v_cmp_ne_u16_sdwa s[0:1], v17, v2 src0_sel:BYTE_0 src1_sel:DWORD
	s_mov_b64 s[16:17], -1
                                        ; implicit-def: $vgpr2_vgpr3
.LBB22_1935:
	s_and_b64 vcc, exec, s[0:1]
	s_cbranch_vccnz .LBB22_1998
; %bb.1936:
	s_andn2_b64 vcc, exec, s[16:17]
	s_cbranch_vccnz .LBB22_1938
.LBB22_1937:
	global_load_ubyte v3, v[4:5], off
	v_mov_b32_e32 v6, 0x3ff00000
	v_mov_b32_e32 v2, 0
	s_mov_b64 s[20:21], -1
	s_waitcnt vmcnt(0)
	v_cmp_ne_u16_e32 vcc, 0, v3
	v_cndmask_b32_e32 v3, 0, v6, vcc
.LBB22_1938:
	s_branch .LBB22_1866
.LBB22_1939:
	v_mov_b32_e32 v2, 5
	v_cmp_lt_i16_sdwa s[0:1], v17, v2 src0_sel:BYTE_0 src1_sel:DWORD
	s_and_b64 vcc, exec, s[0:1]
	s_cbranch_vccnz .LBB22_1944
; %bb.1940:
	v_mov_b32_e32 v2, 8
	v_cmp_lt_i16_sdwa s[0:1], v17, v2 src0_sel:BYTE_0 src1_sel:DWORD
	s_and_b64 vcc, exec, s[0:1]
	s_cbranch_vccnz .LBB22_1945
; %bb.1941:
	;; [unrolled: 5-line block ×3, first 2 shown]
	v_cmp_gt_i16_sdwa s[0:1], v17, v2 src0_sel:BYTE_0 src1_sel:DWORD
	s_and_b64 vcc, exec, s[0:1]
	s_cbranch_vccz .LBB22_1947
; %bb.1943:
	global_load_dwordx2 v[2:3], v[4:5], off
	s_mov_b64 s[0:1], 0
	s_branch .LBB22_1948
.LBB22_1944:
	s_mov_b64 s[0:1], -1
                                        ; implicit-def: $vgpr2_vgpr3
	s_branch .LBB22_1966
.LBB22_1945:
	s_mov_b64 s[0:1], -1
                                        ; implicit-def: $vgpr2_vgpr3
	s_branch .LBB22_1954
.LBB22_1946:
	s_mov_b64 s[0:1], -1
                                        ; implicit-def: $vgpr2_vgpr3
	s_branch .LBB22_1951
.LBB22_1947:
	s_mov_b64 s[0:1], -1
                                        ; implicit-def: $vgpr2_vgpr3
.LBB22_1948:
	s_andn2_b64 vcc, exec, s[0:1]
	s_cbranch_vccnz .LBB22_1950
; %bb.1949:
	global_load_dword v2, v[4:5], off
	s_waitcnt vmcnt(0)
	v_cvt_f64_f32_e32 v[2:3], v2
.LBB22_1950:
	s_mov_b64 s[0:1], 0
.LBB22_1951:
	s_andn2_b64 vcc, exec, s[0:1]
	s_cbranch_vccnz .LBB22_1953
; %bb.1952:
	global_load_dword v2, v[4:5], off
	s_waitcnt vmcnt(0)
	v_cvt_f32_f16_e32 v2, v2
	v_cvt_f64_f32_e32 v[2:3], v2
.LBB22_1953:
	s_mov_b64 s[0:1], 0
.LBB22_1954:
	s_andn2_b64 vcc, exec, s[0:1]
	s_cbranch_vccnz .LBB22_1965
; %bb.1955:
	s_waitcnt vmcnt(0)
	v_mov_b32_e32 v2, 6
	v_cmp_lt_i16_sdwa s[0:1], v17, v2 src0_sel:BYTE_0 src1_sel:DWORD
	s_and_b64 vcc, exec, s[0:1]
	s_cbranch_vccnz .LBB22_1958
; %bb.1956:
	v_cmp_gt_i16_sdwa s[0:1], v17, v2 src0_sel:BYTE_0 src1_sel:DWORD
	s_and_b64 vcc, exec, s[0:1]
	s_cbranch_vccz .LBB22_1959
; %bb.1957:
	global_load_dwordx2 v[2:3], v[4:5], off
	s_mov_b64 s[0:1], 0
	s_branch .LBB22_1960
.LBB22_1958:
	s_mov_b64 s[0:1], -1
                                        ; implicit-def: $vgpr2_vgpr3
	s_branch .LBB22_1963
.LBB22_1959:
	s_mov_b64 s[0:1], -1
                                        ; implicit-def: $vgpr2_vgpr3
.LBB22_1960:
	s_andn2_b64 vcc, exec, s[0:1]
	s_cbranch_vccnz .LBB22_1962
; %bb.1961:
	global_load_dword v2, v[4:5], off
	s_waitcnt vmcnt(0)
	v_cvt_f64_f32_e32 v[2:3], v2
.LBB22_1962:
	s_mov_b64 s[0:1], 0
.LBB22_1963:
	s_andn2_b64 vcc, exec, s[0:1]
	s_cbranch_vccnz .LBB22_1965
; %bb.1964:
	global_load_ushort v2, v[4:5], off
	s_waitcnt vmcnt(0)
	v_cvt_f32_f16_e32 v2, v2
	v_cvt_f64_f32_e32 v[2:3], v2
.LBB22_1965:
	s_mov_b64 s[0:1], 0
.LBB22_1966:
	s_andn2_b64 vcc, exec, s[0:1]
	s_cbranch_vccnz .LBB22_1986
; %bb.1967:
	s_waitcnt vmcnt(0)
	v_mov_b32_e32 v2, 2
	v_cmp_lt_i16_sdwa s[0:1], v17, v2 src0_sel:BYTE_0 src1_sel:DWORD
	s_and_b64 vcc, exec, s[0:1]
	s_cbranch_vccnz .LBB22_1971
; %bb.1968:
	v_mov_b32_e32 v2, 3
	v_cmp_lt_i16_sdwa s[0:1], v17, v2 src0_sel:BYTE_0 src1_sel:DWORD
	s_and_b64 vcc, exec, s[0:1]
	s_cbranch_vccnz .LBB22_1972
; %bb.1969:
	v_cmp_gt_i16_sdwa s[0:1], v17, v2 src0_sel:BYTE_0 src1_sel:DWORD
	s_and_b64 vcc, exec, s[0:1]
	s_cbranch_vccz .LBB22_1973
; %bb.1970:
	global_load_dwordx2 v[2:3], v[4:5], off
	s_mov_b64 s[0:1], 0
	s_waitcnt vmcnt(0)
	v_cvt_f64_i32_e32 v[6:7], v3
	v_cvt_f64_u32_e32 v[2:3], v2
	v_ldexp_f64 v[6:7], v[6:7], 32
	v_add_f64 v[2:3], v[6:7], v[2:3]
	s_branch .LBB22_1974
.LBB22_1971:
	s_mov_b64 s[0:1], -1
                                        ; implicit-def: $vgpr2_vgpr3
	s_branch .LBB22_1980
.LBB22_1972:
	s_mov_b64 s[0:1], -1
                                        ; implicit-def: $vgpr2_vgpr3
	s_branch .LBB22_1977
.LBB22_1973:
	s_mov_b64 s[0:1], -1
                                        ; implicit-def: $vgpr2_vgpr3
.LBB22_1974:
	s_andn2_b64 vcc, exec, s[0:1]
	s_cbranch_vccnz .LBB22_1976
; %bb.1975:
	global_load_dword v2, v[4:5], off
	s_waitcnt vmcnt(0)
	v_cvt_f64_i32_e32 v[2:3], v2
.LBB22_1976:
	s_mov_b64 s[0:1], 0
.LBB22_1977:
	s_andn2_b64 vcc, exec, s[0:1]
	s_cbranch_vccnz .LBB22_1979
; %bb.1978:
	global_load_sshort v2, v[4:5], off
	s_waitcnt vmcnt(0)
	v_cvt_f64_i32_e32 v[2:3], v2
.LBB22_1979:
	s_mov_b64 s[0:1], 0
.LBB22_1980:
	s_andn2_b64 vcc, exec, s[0:1]
	s_cbranch_vccnz .LBB22_1986
; %bb.1981:
	v_mov_b32_e32 v2, 0
	v_cmp_gt_i16_sdwa s[0:1], v17, v2 src0_sel:BYTE_0 src1_sel:DWORD
	s_and_b64 vcc, exec, s[0:1]
	s_cbranch_vccz .LBB22_1983
; %bb.1982:
	global_load_sbyte v2, v[4:5], off
	s_mov_b64 s[0:1], 0
	s_waitcnt vmcnt(0)
	v_cvt_f64_i32_e32 v[2:3], v2
	s_branch .LBB22_1984
.LBB22_1983:
	s_mov_b64 s[0:1], -1
                                        ; implicit-def: $vgpr2_vgpr3
.LBB22_1984:
	s_andn2_b64 vcc, exec, s[0:1]
	s_cbranch_vccnz .LBB22_1986
; %bb.1985:
	global_load_ubyte v2, v[4:5], off
	s_waitcnt vmcnt(0)
	v_cvt_f64_u32_e32 v[2:3], v2
.LBB22_1986:
.LBB22_1987:
	s_lshl_b32 s26, s14, 7
	v_add_u32_e32 v11, s26, v8
	v_ashrrev_i32_e32 v5, 31, v11
	v_mov_b32_e32 v6, s3
	v_add_co_u32_e32 v4, vcc, s2, v11
	v_addc_co_u32_e32 v5, vcc, v6, v5, vcc
	v_mov_b32_e32 v6, 11
	v_cmp_lt_i16_sdwa s[0:1], v16, v6 src0_sel:BYTE_0 src1_sel:DWORD
	s_and_b64 vcc, exec, s[0:1]
	s_cbranch_vccnz .LBB22_1994
; %bb.1988:
	v_mov_b32_e32 v6, 25
	v_cmp_gt_i16_sdwa s[0:1], v16, v6 src0_sel:BYTE_0 src1_sel:DWORD
	s_mov_b64 s[14:15], 0
	s_and_b64 vcc, exec, s[0:1]
	s_cbranch_vccz .LBB22_1995
; %bb.1989:
	v_mov_b32_e32 v6, 28
	v_cmp_gt_i16_sdwa s[0:1], v16, v6 src0_sel:BYTE_0 src1_sel:DWORD
	s_and_b64 vcc, exec, s[0:1]
	s_cbranch_vccz .LBB22_1996
; %bb.1990:
	v_mov_b32_e32 v6, 43
	v_cmp_gt_i16_sdwa s[0:1], v16, v6 src0_sel:BYTE_0 src1_sel:DWORD
	;; [unrolled: 5-line block ×3, first 2 shown]
	s_and_b64 vcc, exec, s[0:1]
	s_cbranch_vccz .LBB22_1999
; %bb.1992:
	v_mov_b32_e32 v6, 46
	v_cmp_eq_u16_sdwa s[0:1], v16, v6 src0_sel:BYTE_0 src1_sel:DWORD
	s_mov_b64 s[20:21], 0
	s_and_b64 vcc, exec, s[0:1]
	s_cbranch_vccz .LBB22_2000
; %bb.1993:
	global_load_dword v6, v[4:5], off
	s_mov_b64 s[0:1], 0
	s_mov_b64 s[16:17], -1
	s_waitcnt vmcnt(0)
	v_lshlrev_b32_e32 v6, 16, v6
	v_cvt_f64_f32_e32 v[6:7], v6
	s_branch .LBB22_2001
.LBB22_1994:
	s_mov_b64 s[0:1], -1
	s_mov_b64 s[16:17], 0
                                        ; implicit-def: $vgpr6_vgpr7
	s_branch .LBB22_2067
.LBB22_1995:
	s_mov_b64 s[20:21], -1
	s_mov_b64 s[16:17], 0
	s_mov_b64 s[0:1], 0
                                        ; implicit-def: $vgpr6_vgpr7
	s_branch .LBB22_2030
.LBB22_1996:
	s_mov_b64 s[20:21], -1
	s_mov_b64 s[16:17], 0
	s_mov_b64 s[0:1], 0
                                        ; implicit-def: $vgpr6_vgpr7
	s_branch .LBB22_2011
.LBB22_1997:
	s_mov_b64 s[20:21], -1
	s_mov_b64 s[16:17], 0
	s_mov_b64 s[0:1], 0
                                        ; implicit-def: $vgpr6_vgpr7
	s_branch .LBB22_2006
.LBB22_1998:
	s_trap 2
	s_or_b64 s[18:19], s[18:19], exec
                                        ; implicit-def: $vgpr2_vgpr3
	s_cbranch_execz .LBB22_1937
	s_branch .LBB22_1938
.LBB22_1999:
	s_mov_b64 s[20:21], -1
	s_mov_b64 s[16:17], 0
	s_mov_b64 s[0:1], 0
                                        ; implicit-def: $vgpr6_vgpr7
	s_branch .LBB22_2001
.LBB22_2000:
	s_mov_b64 s[0:1], -1
                                        ; implicit-def: $vgpr6_vgpr7
	s_mov_b64 s[16:17], 0
.LBB22_2001:
	s_and_b64 vcc, exec, s[20:21]
	s_cbranch_vccz .LBB22_2005
; %bb.2002:
	v_mov_b32_e32 v6, 44
	v_cmp_eq_u16_sdwa s[0:1], v16, v6 src0_sel:BYTE_0 src1_sel:DWORD
	s_and_b64 vcc, exec, s[0:1]
	s_cbranch_vccz .LBB22_2004
; %bb.2003:
	global_load_ubyte v8, v[4:5], off
	s_movk_i32 s16, 0xff
	v_bfrev_b32_e32 v9, 4
	v_mov_b32_e32 v12, 0x7ff80000
	v_bfrev_b32_e32 v13, 28
	s_mov_b64 s[0:1], 0
	s_waitcnt vmcnt(0)
	v_lshlrev_b32_e32 v6, 23, v8
	v_cvt_f64_f32_e32 v[6:7], v6
	v_cmp_ne_u32_e32 vcc, s16, v8
	v_cndmask_b32_e32 v6, v9, v6, vcc
	v_cndmask_b32_e32 v7, v12, v7, vcc
	v_cmp_ne_u32_e32 vcc, 0, v8
	v_cndmask_b32_e32 v7, v13, v7, vcc
	v_cndmask_b32_e32 v6, 0, v6, vcc
	s_mov_b64 s[16:17], -1
	s_branch .LBB22_2005
.LBB22_2004:
	s_mov_b64 s[0:1], -1
                                        ; implicit-def: $vgpr6_vgpr7
.LBB22_2005:
	s_mov_b64 s[20:21], 0
.LBB22_2006:
	s_and_b64 vcc, exec, s[20:21]
	s_cbranch_vccz .LBB22_2010
; %bb.2007:
	v_mov_b32_e32 v6, 29
	v_cmp_eq_u16_sdwa s[0:1], v16, v6 src0_sel:BYTE_0 src1_sel:DWORD
	s_and_b64 vcc, exec, s[0:1]
	s_cbranch_vccz .LBB22_2009
; %bb.2008:
	global_load_dwordx2 v[6:7], v[4:5], off
	s_mov_b64 s[0:1], 0
	s_mov_b64 s[16:17], -1
	s_mov_b64 s[20:21], 0
	s_waitcnt vmcnt(0)
	v_cvt_f64_u32_e32 v[8:9], v7
	v_cvt_f64_u32_e32 v[6:7], v6
	v_ldexp_f64 v[8:9], v[8:9], 32
	v_add_f64 v[6:7], v[8:9], v[6:7]
	s_branch .LBB22_2011
.LBB22_2009:
	s_mov_b64 s[0:1], -1
                                        ; implicit-def: $vgpr6_vgpr7
.LBB22_2010:
	s_mov_b64 s[20:21], 0
.LBB22_2011:
	s_and_b64 vcc, exec, s[20:21]
	s_cbranch_vccz .LBB22_2029
; %bb.2012:
	v_mov_b32_e32 v6, 27
	v_cmp_lt_i16_sdwa s[16:17], v16, v6 src0_sel:BYTE_0 src1_sel:DWORD
	s_and_b64 vcc, exec, s[16:17]
	s_cbranch_vccnz .LBB22_2015
; %bb.2013:
	v_cmp_gt_i16_sdwa s[16:17], v16, v6 src0_sel:BYTE_0 src1_sel:DWORD
	s_and_b64 vcc, exec, s[16:17]
	s_cbranch_vccz .LBB22_2016
; %bb.2014:
	global_load_dword v6, v[4:5], off
	s_mov_b64 s[16:17], 0
	s_waitcnt vmcnt(0)
	v_cvt_f64_u32_e32 v[6:7], v6
	s_branch .LBB22_2017
.LBB22_2015:
	s_mov_b64 s[16:17], -1
                                        ; implicit-def: $vgpr6_vgpr7
	s_branch .LBB22_2020
.LBB22_2016:
	s_mov_b64 s[16:17], -1
                                        ; implicit-def: $vgpr6_vgpr7
.LBB22_2017:
	s_andn2_b64 vcc, exec, s[16:17]
	s_cbranch_vccnz .LBB22_2019
; %bb.2018:
	global_load_ushort v6, v[4:5], off
	s_waitcnt vmcnt(0)
	v_cvt_f64_u32_e32 v[6:7], v6
.LBB22_2019:
	s_mov_b64 s[16:17], 0
.LBB22_2020:
	s_andn2_b64 vcc, exec, s[16:17]
	s_cbranch_vccnz .LBB22_2028
; %bb.2021:
	global_load_ubyte v8, v[4:5], off
	s_movk_i32 s16, 0x7f
                                        ; implicit-def: $sgpr20_sgpr21
	s_waitcnt vmcnt(0)
	v_cmp_lt_i16_e32 vcc, s16, v8
	s_mov_b64 s[16:17], 0
	s_and_saveexec_b64 s[22:23], vcc
	s_xor_b64 s[22:23], exec, s[22:23]
	s_cbranch_execz .LBB22_2042
; %bb.2022:
	s_movk_i32 s16, 0x80
	v_cmp_eq_u16_e32 vcc, s16, v8
	s_mov_b64 s[24:25], -1
                                        ; implicit-def: $sgpr20_sgpr21
	s_and_saveexec_b64 s[16:17], vcc
; %bb.2023:
	s_mov_b32 s21, 0x7ff80000
	s_brev_b32 s20, 4
	s_xor_b64 s[24:25], exec, -1
; %bb.2024:
	s_or_b64 exec, exec, s[16:17]
	s_and_b64 s[16:17], s[24:25], exec
	s_or_saveexec_b64 s[22:23], s[22:23]
	v_pk_mov_b32 v[6:7], s[20:21], s[20:21] op_sel:[0,1]
	s_xor_b64 exec, exec, s[22:23]
	s_cbranch_execnz .LBB22_2043
.LBB22_2025:
	s_or_b64 exec, exec, s[22:23]
	s_and_saveexec_b64 s[20:21], s[16:17]
	s_cbranch_execz .LBB22_2027
.LBB22_2026:
	v_and_b32_e32 v7, 0xffff, v8
	v_lshlrev_b32_e32 v6, 24, v8
	v_and_b32_e32 v8, 7, v7
	v_ffbh_u32_e32 v12, v8
	v_min_u32_e32 v12, 32, v12
	v_subrev_u32_e32 v13, 28, v12
	v_bfe_u32 v9, v7, 3, 4
	v_lshlrev_b32_e32 v7, v13, v7
	v_sub_u32_e32 v12, 29, v12
	v_and_b32_e32 v7, 7, v7
	v_cmp_eq_u32_e32 vcc, 0, v9
	v_cndmask_b32_e32 v9, v9, v12, vcc
	v_cndmask_b32_e32 v7, v8, v7, vcc
	v_mov_b32_e32 v8, 0x3b800000
	v_lshlrev_b32_e32 v7, 20, v7
	v_and_b32_e32 v6, 0x80000000, v6
	v_lshl_add_u32 v8, v9, 23, v8
	v_or3_b32 v6, v6, v8, v7
	v_cvt_f64_f32_e32 v[6:7], v6
.LBB22_2027:
	s_or_b64 exec, exec, s[20:21]
.LBB22_2028:
	s_mov_b64 s[16:17], -1
.LBB22_2029:
	s_mov_b64 s[20:21], 0
.LBB22_2030:
	s_and_b64 vcc, exec, s[20:21]
	s_cbranch_vccz .LBB22_2063
; %bb.2031:
	v_mov_b32_e32 v6, 22
	v_cmp_gt_i16_sdwa s[14:15], v16, v6 src0_sel:BYTE_0 src1_sel:DWORD
	s_and_b64 vcc, exec, s[14:15]
	s_cbranch_vccz .LBB22_2041
; %bb.2032:
	v_mov_b32_e32 v6, 24
	v_cmp_lt_i16_sdwa s[14:15], v16, v6 src0_sel:BYTE_0 src1_sel:DWORD
	s_and_b64 vcc, exec, s[14:15]
	s_cbranch_vccnz .LBB22_2044
; %bb.2033:
	v_cmp_gt_i16_sdwa s[14:15], v16, v6 src0_sel:BYTE_0 src1_sel:DWORD
	s_and_b64 vcc, exec, s[14:15]
	s_cbranch_vccz .LBB22_2045
; %bb.2034:
	global_load_ubyte v8, v[4:5], off
	s_movk_i32 s14, 0x7f
                                        ; implicit-def: $sgpr16_sgpr17
	s_waitcnt vmcnt(0)
	v_cmp_lt_i16_e32 vcc, s14, v8
	s_mov_b64 s[14:15], 0
	s_and_saveexec_b64 s[20:21], vcc
	s_xor_b64 s[20:21], exec, s[20:21]
	s_cbranch_execz .LBB22_2057
; %bb.2035:
	s_movk_i32 s14, 0x80
	v_cmp_eq_u16_e32 vcc, s14, v8
	s_mov_b64 s[22:23], -1
                                        ; implicit-def: $sgpr16_sgpr17
	s_and_saveexec_b64 s[14:15], vcc
; %bb.2036:
	s_mov_b32 s17, 0x7ff80000
	s_brev_b32 s16, 4
	s_xor_b64 s[22:23], exec, -1
; %bb.2037:
	s_or_b64 exec, exec, s[14:15]
	s_and_b64 s[14:15], s[22:23], exec
	s_or_saveexec_b64 s[20:21], s[20:21]
	v_pk_mov_b32 v[6:7], s[16:17], s[16:17] op_sel:[0,1]
	s_xor_b64 exec, exec, s[20:21]
	s_cbranch_execnz .LBB22_2058
.LBB22_2038:
	s_or_b64 exec, exec, s[20:21]
	s_and_saveexec_b64 s[16:17], s[14:15]
	s_cbranch_execz .LBB22_2040
.LBB22_2039:
	v_and_b32_e32 v7, 0xffff, v8
	v_lshlrev_b32_e32 v6, 24, v8
	v_and_b32_e32 v8, 3, v7
	v_ffbh_u32_e32 v12, v8
	v_min_u32_e32 v12, 32, v12
	v_subrev_u32_e32 v13, 29, v12
	v_bfe_u32 v9, v7, 2, 5
	v_lshlrev_b32_e32 v7, v13, v7
	v_sub_u32_e32 v12, 30, v12
	v_and_b32_e32 v7, 3, v7
	v_cmp_eq_u32_e32 vcc, 0, v9
	v_cndmask_b32_e32 v9, v9, v12, vcc
	v_cndmask_b32_e32 v7, v8, v7, vcc
	v_mov_b32_e32 v8, 0x37800000
	v_lshlrev_b32_e32 v7, 21, v7
	v_and_b32_e32 v6, 0x80000000, v6
	v_lshl_add_u32 v8, v9, 23, v8
	v_or3_b32 v6, v6, v8, v7
	v_cvt_f64_f32_e32 v[6:7], v6
.LBB22_2040:
	s_or_b64 exec, exec, s[16:17]
	s_mov_b64 s[14:15], 0
	s_branch .LBB22_2046
.LBB22_2041:
	s_mov_b64 s[14:15], -1
                                        ; implicit-def: $vgpr6_vgpr7
	s_branch .LBB22_2052
.LBB22_2042:
	s_or_saveexec_b64 s[22:23], s[22:23]
	v_pk_mov_b32 v[6:7], s[20:21], s[20:21] op_sel:[0,1]
	s_xor_b64 exec, exec, s[22:23]
	s_cbranch_execz .LBB22_2025
.LBB22_2043:
	v_cmp_ne_u16_e32 vcc, 0, v8
	s_andn2_b64 s[16:17], s[16:17], exec
	s_and_b64 s[20:21], vcc, exec
	v_pk_mov_b32 v[6:7], 0, 0
	s_or_b64 s[16:17], s[16:17], s[20:21]
	s_or_b64 exec, exec, s[22:23]
	s_and_saveexec_b64 s[20:21], s[16:17]
	s_cbranch_execnz .LBB22_2026
	s_branch .LBB22_2027
.LBB22_2044:
	s_mov_b64 s[14:15], -1
                                        ; implicit-def: $vgpr6_vgpr7
	s_branch .LBB22_2049
.LBB22_2045:
	s_mov_b64 s[14:15], -1
                                        ; implicit-def: $vgpr6_vgpr7
.LBB22_2046:
	s_and_b64 vcc, exec, s[14:15]
	s_cbranch_vccz .LBB22_2048
; %bb.2047:
	global_load_ubyte v6, v[4:5], off
	s_mov_b32 s14, 0x7f800000
	s_waitcnt vmcnt(0)
	v_lshlrev_b32_e32 v6, 24, v6
	v_and_b32_e32 v7, 0x7f000000, v6
	v_ffbh_u32_e32 v8, v7
	v_min_u32_e32 v8, 32, v8
	v_sub_u32_e64 v8, v8, 4 clamp
	v_lshlrev_b32_e32 v12, v8, v7
	v_lshlrev_b32_e32 v8, 23, v8
	v_lshrrev_b32_e32 v12, 4, v12
	v_add_u32_e32 v9, 0x1000000, v7
	v_sub_u32_e32 v8, v12, v8
	v_ashrrev_i32_e32 v9, 8, v9
	v_add_u32_e32 v8, 0x3c000000, v8
	v_and_or_b32 v8, v9, s14, v8
	v_cmp_ne_u32_e32 vcc, 0, v7
	v_cndmask_b32_e32 v7, 0, v8, vcc
	s_brev_b32 s14, 1
	v_and_or_b32 v6, v6, s14, v7
	v_cvt_f64_f32_e32 v[6:7], v6
.LBB22_2048:
	s_mov_b64 s[14:15], 0
.LBB22_2049:
	s_andn2_b64 vcc, exec, s[14:15]
	s_cbranch_vccnz .LBB22_2051
; %bb.2050:
	global_load_ubyte v6, v[4:5], off
	s_movk_i32 s14, 0x7f00
	s_brev_b32 s15, 16
	s_waitcnt vmcnt(0)
	v_lshlrev_b16_e32 v7, 8, v6
	v_lshlrev_b32_e32 v6, 25, v6
	v_lshrrev_b32_e32 v8, 4, v6
	v_and_or_b32 v9, v7, s14, 0.5
	v_or_b32_e32 v8, 0x70000000, v8
	v_add_f32_e32 v9, -0.5, v9
	v_mul_f32_e32 v8, 0x7800000, v8
	v_cmp_gt_u32_e32 vcc, s15, v6
	v_bfe_i32 v7, v7, 0, 16
	v_cndmask_b32_e32 v6, v8, v9, vcc
	s_brev_b32 s14, 1
	v_and_or_b32 v6, v7, s14, v6
	v_cvt_f64_f32_e32 v[6:7], v6
.LBB22_2051:
	s_mov_b64 s[14:15], 0
	s_mov_b64 s[16:17], -1
.LBB22_2052:
	s_andn2_b64 vcc, exec, s[14:15]
	s_mov_b64 s[14:15], 0
	s_cbranch_vccnz .LBB22_2063
; %bb.2053:
	v_mov_b32_e32 v6, 14
	v_cmp_gt_i16_sdwa s[14:15], v16, v6 src0_sel:BYTE_0 src1_sel:DWORD
	s_and_b64 vcc, exec, s[14:15]
	s_cbranch_vccz .LBB22_2056
; %bb.2054:
	v_mov_b32_e32 v6, 15
	v_cmp_eq_u16_sdwa s[0:1], v16, v6 src0_sel:BYTE_0 src1_sel:DWORD
	s_and_b64 vcc, exec, s[0:1]
	s_cbranch_vccz .LBB22_2059
; %bb.2055:
	global_load_ushort v6, v[4:5], off
	s_mov_b64 s[0:1], 0
	s_mov_b64 s[16:17], -1
	s_waitcnt vmcnt(0)
	v_lshlrev_b32_e32 v6, 16, v6
	v_cvt_f64_f32_e32 v[6:7], v6
	s_branch .LBB22_2060
.LBB22_2056:
	s_mov_b64 s[20:21], -1
                                        ; implicit-def: $vgpr6_vgpr7
	s_branch .LBB22_2061
.LBB22_2057:
	s_or_saveexec_b64 s[20:21], s[20:21]
	v_pk_mov_b32 v[6:7], s[16:17], s[16:17] op_sel:[0,1]
	s_xor_b64 exec, exec, s[20:21]
	s_cbranch_execz .LBB22_2038
.LBB22_2058:
	v_cmp_ne_u16_e32 vcc, 0, v8
	s_andn2_b64 s[14:15], s[14:15], exec
	s_and_b64 s[16:17], vcc, exec
	v_pk_mov_b32 v[6:7], 0, 0
	s_or_b64 s[14:15], s[14:15], s[16:17]
	s_or_b64 exec, exec, s[20:21]
	s_and_saveexec_b64 s[16:17], s[14:15]
	s_cbranch_execnz .LBB22_2039
	s_branch .LBB22_2040
.LBB22_2059:
	s_mov_b64 s[0:1], -1
                                        ; implicit-def: $vgpr6_vgpr7
.LBB22_2060:
	s_mov_b64 s[20:21], 0
.LBB22_2061:
	s_mov_b64 s[14:15], 0
	s_and_b64 vcc, exec, s[20:21]
	s_cbranch_vccz .LBB22_2063
; %bb.2062:
	v_mov_b32_e32 v6, 11
	v_cmp_ne_u16_sdwa s[0:1], v16, v6 src0_sel:BYTE_0 src1_sel:DWORD
	s_mov_b64 s[14:15], -1
                                        ; implicit-def: $vgpr6_vgpr7
.LBB22_2063:
	s_and_b64 vcc, exec, s[0:1]
	s_cbranch_vccnz .LBB22_2140
; %bb.2064:
	s_andn2_b64 vcc, exec, s[14:15]
	s_cbranch_vccnz .LBB22_2066
.LBB22_2065:
	global_load_ubyte v7, v[4:5], off
	v_mov_b32_e32 v8, 0x3ff00000
	v_mov_b32_e32 v6, 0
	s_mov_b64 s[16:17], -1
	s_waitcnt vmcnt(0)
	v_cmp_ne_u16_e32 vcc, 0, v7
	v_cndmask_b32_e32 v7, 0, v8, vcc
.LBB22_2066:
	s_mov_b64 s[0:1], 0
.LBB22_2067:
	s_and_b64 vcc, exec, s[0:1]
	s_cbranch_vccz .LBB22_2116
; %bb.2068:
	v_mov_b32_e32 v6, 5
	v_cmp_lt_i16_sdwa s[0:1], v16, v6 src0_sel:BYTE_0 src1_sel:DWORD
	s_and_b64 vcc, exec, s[0:1]
	s_cbranch_vccnz .LBB22_2073
; %bb.2069:
	v_mov_b32_e32 v6, 8
	v_cmp_lt_i16_sdwa s[0:1], v16, v6 src0_sel:BYTE_0 src1_sel:DWORD
	s_and_b64 vcc, exec, s[0:1]
	s_cbranch_vccnz .LBB22_2074
	;; [unrolled: 5-line block ×3, first 2 shown]
; %bb.2071:
	v_cmp_gt_i16_sdwa s[0:1], v16, v6 src0_sel:BYTE_0 src1_sel:DWORD
	s_and_b64 vcc, exec, s[0:1]
	s_cbranch_vccz .LBB22_2076
; %bb.2072:
	global_load_dwordx2 v[6:7], v[4:5], off
	s_mov_b64 s[0:1], 0
	s_branch .LBB22_2077
.LBB22_2073:
	s_mov_b64 s[0:1], -1
                                        ; implicit-def: $vgpr6_vgpr7
	s_branch .LBB22_2095
.LBB22_2074:
	s_mov_b64 s[0:1], -1
                                        ; implicit-def: $vgpr6_vgpr7
	s_branch .LBB22_2083
.LBB22_2075:
	s_mov_b64 s[0:1], -1
                                        ; implicit-def: $vgpr6_vgpr7
	s_branch .LBB22_2080
.LBB22_2076:
	s_mov_b64 s[0:1], -1
                                        ; implicit-def: $vgpr6_vgpr7
.LBB22_2077:
	s_andn2_b64 vcc, exec, s[0:1]
	s_cbranch_vccnz .LBB22_2079
; %bb.2078:
	global_load_dword v6, v[4:5], off
	s_waitcnt vmcnt(0)
	v_cvt_f64_f32_e32 v[6:7], v6
.LBB22_2079:
	s_mov_b64 s[0:1], 0
.LBB22_2080:
	s_andn2_b64 vcc, exec, s[0:1]
	s_cbranch_vccnz .LBB22_2082
; %bb.2081:
	global_load_dword v6, v[4:5], off
	s_waitcnt vmcnt(0)
	v_cvt_f32_f16_e32 v6, v6
	v_cvt_f64_f32_e32 v[6:7], v6
.LBB22_2082:
	s_mov_b64 s[0:1], 0
.LBB22_2083:
	s_andn2_b64 vcc, exec, s[0:1]
	s_cbranch_vccnz .LBB22_2094
; %bb.2084:
	s_waitcnt vmcnt(0)
	v_mov_b32_e32 v6, 6
	v_cmp_lt_i16_sdwa s[0:1], v16, v6 src0_sel:BYTE_0 src1_sel:DWORD
	s_and_b64 vcc, exec, s[0:1]
	s_cbranch_vccnz .LBB22_2087
; %bb.2085:
	v_cmp_gt_i16_sdwa s[0:1], v16, v6 src0_sel:BYTE_0 src1_sel:DWORD
	s_and_b64 vcc, exec, s[0:1]
	s_cbranch_vccz .LBB22_2088
; %bb.2086:
	global_load_dwordx2 v[6:7], v[4:5], off
	s_mov_b64 s[0:1], 0
	s_branch .LBB22_2089
.LBB22_2087:
	s_mov_b64 s[0:1], -1
                                        ; implicit-def: $vgpr6_vgpr7
	s_branch .LBB22_2092
.LBB22_2088:
	s_mov_b64 s[0:1], -1
                                        ; implicit-def: $vgpr6_vgpr7
.LBB22_2089:
	s_andn2_b64 vcc, exec, s[0:1]
	s_cbranch_vccnz .LBB22_2091
; %bb.2090:
	global_load_dword v6, v[4:5], off
	s_waitcnt vmcnt(0)
	v_cvt_f64_f32_e32 v[6:7], v6
.LBB22_2091:
	s_mov_b64 s[0:1], 0
.LBB22_2092:
	s_andn2_b64 vcc, exec, s[0:1]
	s_cbranch_vccnz .LBB22_2094
; %bb.2093:
	global_load_ushort v6, v[4:5], off
	s_waitcnt vmcnt(0)
	v_cvt_f32_f16_e32 v6, v6
	v_cvt_f64_f32_e32 v[6:7], v6
.LBB22_2094:
	s_mov_b64 s[0:1], 0
.LBB22_2095:
	s_andn2_b64 vcc, exec, s[0:1]
	s_cbranch_vccnz .LBB22_2115
; %bb.2096:
	s_waitcnt vmcnt(0)
	v_mov_b32_e32 v6, 2
	v_cmp_lt_i16_sdwa s[0:1], v16, v6 src0_sel:BYTE_0 src1_sel:DWORD
	s_and_b64 vcc, exec, s[0:1]
	s_cbranch_vccnz .LBB22_2100
; %bb.2097:
	v_mov_b32_e32 v6, 3
	v_cmp_lt_i16_sdwa s[0:1], v16, v6 src0_sel:BYTE_0 src1_sel:DWORD
	s_and_b64 vcc, exec, s[0:1]
	s_cbranch_vccnz .LBB22_2101
; %bb.2098:
	v_cmp_gt_i16_sdwa s[0:1], v16, v6 src0_sel:BYTE_0 src1_sel:DWORD
	s_and_b64 vcc, exec, s[0:1]
	s_cbranch_vccz .LBB22_2102
; %bb.2099:
	global_load_dwordx2 v[6:7], v[4:5], off
	s_mov_b64 s[0:1], 0
	s_waitcnt vmcnt(0)
	v_cvt_f64_i32_e32 v[8:9], v7
	v_cvt_f64_u32_e32 v[6:7], v6
	v_ldexp_f64 v[8:9], v[8:9], 32
	v_add_f64 v[6:7], v[8:9], v[6:7]
	s_branch .LBB22_2103
.LBB22_2100:
	s_mov_b64 s[0:1], -1
                                        ; implicit-def: $vgpr6_vgpr7
	s_branch .LBB22_2109
.LBB22_2101:
	s_mov_b64 s[0:1], -1
                                        ; implicit-def: $vgpr6_vgpr7
	s_branch .LBB22_2106
.LBB22_2102:
	s_mov_b64 s[0:1], -1
                                        ; implicit-def: $vgpr6_vgpr7
.LBB22_2103:
	s_andn2_b64 vcc, exec, s[0:1]
	s_cbranch_vccnz .LBB22_2105
; %bb.2104:
	global_load_dword v6, v[4:5], off
	s_waitcnt vmcnt(0)
	v_cvt_f64_i32_e32 v[6:7], v6
.LBB22_2105:
	s_mov_b64 s[0:1], 0
.LBB22_2106:
	s_andn2_b64 vcc, exec, s[0:1]
	s_cbranch_vccnz .LBB22_2108
; %bb.2107:
	global_load_sshort v6, v[4:5], off
	s_waitcnt vmcnt(0)
	v_cvt_f64_i32_e32 v[6:7], v6
.LBB22_2108:
	s_mov_b64 s[0:1], 0
.LBB22_2109:
	s_andn2_b64 vcc, exec, s[0:1]
	s_cbranch_vccnz .LBB22_2115
; %bb.2110:
	v_mov_b32_e32 v6, 0
	v_cmp_gt_i16_sdwa s[0:1], v16, v6 src0_sel:BYTE_0 src1_sel:DWORD
	s_and_b64 vcc, exec, s[0:1]
	s_cbranch_vccz .LBB22_2112
; %bb.2111:
	global_load_sbyte v6, v[4:5], off
	s_mov_b64 s[0:1], 0
	s_waitcnt vmcnt(0)
	v_cvt_f64_i32_e32 v[6:7], v6
	s_branch .LBB22_2113
.LBB22_2112:
	s_mov_b64 s[0:1], -1
                                        ; implicit-def: $vgpr6_vgpr7
.LBB22_2113:
	s_andn2_b64 vcc, exec, s[0:1]
	s_cbranch_vccnz .LBB22_2115
; %bb.2114:
	global_load_ubyte v4, v[4:5], off
	s_waitcnt vmcnt(0)
	v_cvt_f64_u32_e32 v[6:7], v4
.LBB22_2115:
	s_mov_b64 s[16:17], -1
.LBB22_2116:
	s_andn2_b64 vcc, exec, s[16:17]
	s_cbranch_vccnz .LBB22_2682
; %bb.2117:
	s_waitcnt vmcnt(0)
	v_trunc_f64_e32 v[4:5], v[6:7]
	s_movk_i32 s0, 0xffe0
	v_ldexp_f64 v[6:7], v[4:5], s0
	v_floor_f64_e32 v[8:9], v[6:7]
	v_fmac_f64_e32 v[4:5], 0xc1f00000, v[8:9]
	v_cvt_i32_f64_e32 v7, v[8:9]
	v_cvt_u32_f64_e32 v6, v[4:5]
	v_cmp_lt_i64_e32 vcc, -1, v[6:7]
	v_pk_mov_b32 v[4:5], 0, 0
	s_and_saveexec_b64 s[0:1], vcc
	s_cbranch_execz .LBB22_2129
; %bb.2118:
	v_mov_b32_e32 v4, 0
	v_cmp_lt_i64_e32 vcc, 0, v[6:7]
	v_mov_b32_e32 v5, 0x3ff00000
	s_and_saveexec_b64 s[14:15], vcc
	s_cbranch_execz .LBB22_2128
; %bb.2119:
	v_cmp_ne_u64_e32 vcc, 1, v[6:7]
                                        ; implicit-def: $vgpr4_vgpr5
	s_and_saveexec_b64 s[16:17], vcc
	s_xor_b64 s[16:17], exec, s[16:17]
	s_cbranch_execz .LBB22_2125
; %bb.2120:
	s_mov_b64 s[20:21], 0x201
	v_mov_b32_e32 v4, 0
	v_cmp_gt_u64_e32 vcc, s[20:21], v[6:7]
	v_mov_b32_e32 v5, 0x7ff80000
	s_and_saveexec_b64 s[20:21], vcc
	s_cbranch_execz .LBB22_2124
; %bb.2121:
	v_mov_b32_e32 v8, 0
	s_mov_b64 s[24:25], 1
	s_mov_b64 s[22:23], 0
	v_mov_b32_e32 v9, 0x3ff00000
	v_pk_mov_b32 v[4:5], v[2:3], v[2:3] op_sel:[0,1]
.LBB22_2122:                            ; =>This Inner Loop Header: Depth=1
	v_cvt_f64_u32_e32 v[12:13], s25
	v_cvt_f64_u32_e32 v[18:19], s24
	s_add_u32 s24, s24, 1
	v_ldexp_f64 v[12:13], v[12:13], 32
	s_addc_u32 s25, s25, 0
	v_add_f64 v[12:13], v[12:13], v[18:19]
	v_cmp_eq_u64_e32 vcc, s[24:25], v[6:7]
	v_mul_f64 v[12:13], v[8:9], v[12:13]
	s_or_b64 s[22:23], vcc, s[22:23]
	v_pk_mov_b32 v[8:9], v[4:5], v[4:5] op_sel:[0,1]
	v_fma_f64 v[4:5], v[2:3], v[4:5], -v[12:13]
	s_andn2_b64 exec, exec, s[22:23]
	s_cbranch_execnz .LBB22_2122
; %bb.2123:
	s_or_b64 exec, exec, s[22:23]
.LBB22_2124:
	s_or_b64 exec, exec, s[20:21]
                                        ; implicit-def: $vgpr2_vgpr3
.LBB22_2125:
	s_andn2_saveexec_b64 s[16:17], s[16:17]
; %bb.2126:
	v_pk_mov_b32 v[4:5], v[2:3], v[2:3] op_sel:[0,1]
; %bb.2127:
	s_or_b64 exec, exec, s[16:17]
.LBB22_2128:
	s_or_b64 exec, exec, s[14:15]
.LBB22_2129:
	s_or_b64 exec, exec, s[0:1]
	v_add_u32_e32 v12, s13, v10
	v_ashrrev_i32_e32 v2, 31, v12
	v_mov_b32_e32 v3, s11
	v_add_co_u32_e32 v6, vcc, s10, v12
	v_addc_co_u32_e32 v7, vcc, v3, v2, vcc
	v_mov_b32_e32 v2, 11
	v_cmp_lt_i16_sdwa s[0:1], v17, v2 src0_sel:BYTE_0 src1_sel:DWORD
	s_and_b64 vcc, exec, s[0:1]
	s_cbranch_vccnz .LBB22_2136
; %bb.2130:
	v_mov_b32_e32 v2, 25
	v_cmp_gt_i16_sdwa s[0:1], v17, v2 src0_sel:BYTE_0 src1_sel:DWORD
	s_mov_b64 s[14:15], 0
	s_and_b64 vcc, exec, s[0:1]
	s_cbranch_vccz .LBB22_2137
; %bb.2131:
	v_mov_b32_e32 v2, 28
	v_cmp_gt_i16_sdwa s[0:1], v17, v2 src0_sel:BYTE_0 src1_sel:DWORD
	s_and_b64 vcc, exec, s[0:1]
	s_cbranch_vccz .LBB22_2138
; %bb.2132:
	v_mov_b32_e32 v2, 43
	v_cmp_gt_i16_sdwa s[0:1], v17, v2 src0_sel:BYTE_0 src1_sel:DWORD
	;; [unrolled: 5-line block ×3, first 2 shown]
	s_and_b64 vcc, exec, s[0:1]
	s_cbranch_vccz .LBB22_2141
; %bb.2134:
	v_mov_b32_e32 v2, 46
	v_cmp_eq_u16_sdwa s[0:1], v17, v2 src0_sel:BYTE_0 src1_sel:DWORD
	s_mov_b64 s[20:21], 0
	s_and_b64 vcc, exec, s[0:1]
	s_cbranch_vccz .LBB22_2142
; %bb.2135:
	global_load_dword v2, v[6:7], off
	s_mov_b64 s[0:1], 0
	s_mov_b64 s[16:17], -1
	s_waitcnt vmcnt(0)
	v_lshlrev_b32_e32 v2, 16, v2
	v_cvt_f64_f32_e32 v[2:3], v2
	s_branch .LBB22_2143
.LBB22_2136:
	s_mov_b64 s[0:1], -1
	s_mov_b64 s[16:17], 0
                                        ; implicit-def: $vgpr2_vgpr3
	s_branch .LBB22_2209
.LBB22_2137:
	s_mov_b64 s[20:21], -1
	s_mov_b64 s[16:17], 0
	s_mov_b64 s[0:1], 0
                                        ; implicit-def: $vgpr2_vgpr3
	s_branch .LBB22_2172
.LBB22_2138:
	s_mov_b64 s[20:21], -1
	s_mov_b64 s[16:17], 0
	s_mov_b64 s[0:1], 0
                                        ; implicit-def: $vgpr2_vgpr3
	s_branch .LBB22_2153
.LBB22_2139:
	s_mov_b64 s[20:21], -1
	s_mov_b64 s[16:17], 0
	s_mov_b64 s[0:1], 0
                                        ; implicit-def: $vgpr2_vgpr3
	s_branch .LBB22_2148
.LBB22_2140:
	s_trap 2
	s_or_b64 s[18:19], s[18:19], exec
                                        ; implicit-def: $vgpr6_vgpr7
	s_cbranch_execz .LBB22_2065
	s_branch .LBB22_2066
.LBB22_2141:
	s_mov_b64 s[20:21], -1
	s_mov_b64 s[16:17], 0
	s_mov_b64 s[0:1], 0
                                        ; implicit-def: $vgpr2_vgpr3
	s_branch .LBB22_2143
.LBB22_2142:
	s_mov_b64 s[0:1], -1
                                        ; implicit-def: $vgpr2_vgpr3
	s_mov_b64 s[16:17], 0
.LBB22_2143:
	s_and_b64 vcc, exec, s[20:21]
	s_cbranch_vccz .LBB22_2147
; %bb.2144:
	v_mov_b32_e32 v2, 44
	v_cmp_eq_u16_sdwa s[0:1], v17, v2 src0_sel:BYTE_0 src1_sel:DWORD
	s_and_b64 vcc, exec, s[0:1]
	s_cbranch_vccz .LBB22_2146
; %bb.2145:
	global_load_ubyte v8, v[6:7], off
	s_movk_i32 s16, 0xff
	v_bfrev_b32_e32 v9, 4
	v_mov_b32_e32 v10, 0x7ff80000
	v_bfrev_b32_e32 v13, 28
	s_mov_b64 s[0:1], 0
	s_waitcnt vmcnt(0)
	v_lshlrev_b32_e32 v2, 23, v8
	v_cvt_f64_f32_e32 v[2:3], v2
	v_cmp_ne_u32_e32 vcc, s16, v8
	v_cndmask_b32_e32 v2, v9, v2, vcc
	v_cndmask_b32_e32 v3, v10, v3, vcc
	v_cmp_ne_u32_e32 vcc, 0, v8
	v_cndmask_b32_e32 v3, v13, v3, vcc
	v_cndmask_b32_e32 v2, 0, v2, vcc
	s_mov_b64 s[16:17], -1
	s_branch .LBB22_2147
.LBB22_2146:
	s_mov_b64 s[0:1], -1
                                        ; implicit-def: $vgpr2_vgpr3
.LBB22_2147:
	s_mov_b64 s[20:21], 0
.LBB22_2148:
	s_and_b64 vcc, exec, s[20:21]
	s_cbranch_vccz .LBB22_2152
; %bb.2149:
	v_mov_b32_e32 v2, 29
	v_cmp_eq_u16_sdwa s[0:1], v17, v2 src0_sel:BYTE_0 src1_sel:DWORD
	s_and_b64 vcc, exec, s[0:1]
	s_cbranch_vccz .LBB22_2151
; %bb.2150:
	global_load_dwordx2 v[2:3], v[6:7], off
	s_mov_b64 s[0:1], 0
	s_mov_b64 s[16:17], -1
	s_mov_b64 s[20:21], 0
	s_waitcnt vmcnt(0)
	v_cvt_f64_u32_e32 v[8:9], v3
	v_cvt_f64_u32_e32 v[2:3], v2
	v_ldexp_f64 v[8:9], v[8:9], 32
	v_add_f64 v[2:3], v[8:9], v[2:3]
	s_branch .LBB22_2153
.LBB22_2151:
	s_mov_b64 s[0:1], -1
                                        ; implicit-def: $vgpr2_vgpr3
.LBB22_2152:
	s_mov_b64 s[20:21], 0
.LBB22_2153:
	s_and_b64 vcc, exec, s[20:21]
	s_cbranch_vccz .LBB22_2171
; %bb.2154:
	v_mov_b32_e32 v2, 27
	v_cmp_lt_i16_sdwa s[16:17], v17, v2 src0_sel:BYTE_0 src1_sel:DWORD
	s_and_b64 vcc, exec, s[16:17]
	s_cbranch_vccnz .LBB22_2157
; %bb.2155:
	v_cmp_gt_i16_sdwa s[16:17], v17, v2 src0_sel:BYTE_0 src1_sel:DWORD
	s_and_b64 vcc, exec, s[16:17]
	s_cbranch_vccz .LBB22_2158
; %bb.2156:
	global_load_dword v2, v[6:7], off
	s_mov_b64 s[16:17], 0
	s_waitcnt vmcnt(0)
	v_cvt_f64_u32_e32 v[2:3], v2
	s_branch .LBB22_2159
.LBB22_2157:
	s_mov_b64 s[16:17], -1
                                        ; implicit-def: $vgpr2_vgpr3
	s_branch .LBB22_2162
.LBB22_2158:
	s_mov_b64 s[16:17], -1
                                        ; implicit-def: $vgpr2_vgpr3
.LBB22_2159:
	s_andn2_b64 vcc, exec, s[16:17]
	s_cbranch_vccnz .LBB22_2161
; %bb.2160:
	global_load_ushort v2, v[6:7], off
	s_waitcnt vmcnt(0)
	v_cvt_f64_u32_e32 v[2:3], v2
.LBB22_2161:
	s_mov_b64 s[16:17], 0
.LBB22_2162:
	s_andn2_b64 vcc, exec, s[16:17]
	s_cbranch_vccnz .LBB22_2170
; %bb.2163:
	global_load_ubyte v8, v[6:7], off
	s_movk_i32 s16, 0x7f
                                        ; implicit-def: $sgpr20_sgpr21
	s_waitcnt vmcnt(0)
	v_cmp_lt_i16_e32 vcc, s16, v8
	s_mov_b64 s[16:17], 0
	s_and_saveexec_b64 s[22:23], vcc
	s_xor_b64 s[22:23], exec, s[22:23]
	s_cbranch_execz .LBB22_2184
; %bb.2164:
	s_movk_i32 s16, 0x80
	v_cmp_eq_u16_e32 vcc, s16, v8
	s_mov_b64 s[24:25], -1
                                        ; implicit-def: $sgpr20_sgpr21
	s_and_saveexec_b64 s[16:17], vcc
; %bb.2165:
	s_mov_b32 s21, 0x7ff80000
	s_brev_b32 s20, 4
	s_xor_b64 s[24:25], exec, -1
; %bb.2166:
	s_or_b64 exec, exec, s[16:17]
	s_and_b64 s[16:17], s[24:25], exec
	s_or_saveexec_b64 s[22:23], s[22:23]
	v_pk_mov_b32 v[2:3], s[20:21], s[20:21] op_sel:[0,1]
	s_xor_b64 exec, exec, s[22:23]
	s_cbranch_execnz .LBB22_2185
.LBB22_2167:
	s_or_b64 exec, exec, s[22:23]
	s_and_saveexec_b64 s[20:21], s[16:17]
	s_cbranch_execz .LBB22_2169
.LBB22_2168:
	v_and_b32_e32 v3, 0xffff, v8
	v_lshlrev_b32_e32 v2, 24, v8
	v_and_b32_e32 v8, 7, v3
	v_ffbh_u32_e32 v10, v8
	v_min_u32_e32 v10, 32, v10
	v_subrev_u32_e32 v13, 28, v10
	v_bfe_u32 v9, v3, 3, 4
	v_lshlrev_b32_e32 v3, v13, v3
	v_sub_u32_e32 v10, 29, v10
	v_and_b32_e32 v3, 7, v3
	v_cmp_eq_u32_e32 vcc, 0, v9
	v_cndmask_b32_e32 v9, v9, v10, vcc
	v_cndmask_b32_e32 v3, v8, v3, vcc
	v_mov_b32_e32 v8, 0x3b800000
	v_lshlrev_b32_e32 v3, 20, v3
	v_and_b32_e32 v2, 0x80000000, v2
	v_lshl_add_u32 v8, v9, 23, v8
	v_or3_b32 v2, v2, v8, v3
	v_cvt_f64_f32_e32 v[2:3], v2
.LBB22_2169:
	s_or_b64 exec, exec, s[20:21]
.LBB22_2170:
	s_mov_b64 s[16:17], -1
.LBB22_2171:
	s_mov_b64 s[20:21], 0
.LBB22_2172:
	s_and_b64 vcc, exec, s[20:21]
	s_cbranch_vccz .LBB22_2205
; %bb.2173:
	v_mov_b32_e32 v2, 22
	v_cmp_gt_i16_sdwa s[14:15], v17, v2 src0_sel:BYTE_0 src1_sel:DWORD
	s_and_b64 vcc, exec, s[14:15]
	s_cbranch_vccz .LBB22_2183
; %bb.2174:
	v_mov_b32_e32 v2, 24
	v_cmp_lt_i16_sdwa s[14:15], v17, v2 src0_sel:BYTE_0 src1_sel:DWORD
	s_and_b64 vcc, exec, s[14:15]
	s_cbranch_vccnz .LBB22_2186
; %bb.2175:
	v_cmp_gt_i16_sdwa s[14:15], v17, v2 src0_sel:BYTE_0 src1_sel:DWORD
	s_and_b64 vcc, exec, s[14:15]
	s_cbranch_vccz .LBB22_2187
; %bb.2176:
	global_load_ubyte v8, v[6:7], off
	s_movk_i32 s14, 0x7f
                                        ; implicit-def: $sgpr16_sgpr17
	s_waitcnt vmcnt(0)
	v_cmp_lt_i16_e32 vcc, s14, v8
	s_mov_b64 s[14:15], 0
	s_and_saveexec_b64 s[20:21], vcc
	s_xor_b64 s[20:21], exec, s[20:21]
	s_cbranch_execz .LBB22_2199
; %bb.2177:
	s_movk_i32 s14, 0x80
	v_cmp_eq_u16_e32 vcc, s14, v8
	s_mov_b64 s[22:23], -1
                                        ; implicit-def: $sgpr16_sgpr17
	s_and_saveexec_b64 s[14:15], vcc
; %bb.2178:
	s_mov_b32 s17, 0x7ff80000
	s_brev_b32 s16, 4
	s_xor_b64 s[22:23], exec, -1
; %bb.2179:
	s_or_b64 exec, exec, s[14:15]
	s_and_b64 s[14:15], s[22:23], exec
	s_or_saveexec_b64 s[20:21], s[20:21]
	v_pk_mov_b32 v[2:3], s[16:17], s[16:17] op_sel:[0,1]
	s_xor_b64 exec, exec, s[20:21]
	s_cbranch_execnz .LBB22_2200
.LBB22_2180:
	s_or_b64 exec, exec, s[20:21]
	s_and_saveexec_b64 s[16:17], s[14:15]
	s_cbranch_execz .LBB22_2182
.LBB22_2181:
	v_and_b32_e32 v3, 0xffff, v8
	v_lshlrev_b32_e32 v2, 24, v8
	v_and_b32_e32 v8, 3, v3
	v_ffbh_u32_e32 v10, v8
	v_min_u32_e32 v10, 32, v10
	v_subrev_u32_e32 v13, 29, v10
	v_bfe_u32 v9, v3, 2, 5
	v_lshlrev_b32_e32 v3, v13, v3
	v_sub_u32_e32 v10, 30, v10
	v_and_b32_e32 v3, 3, v3
	v_cmp_eq_u32_e32 vcc, 0, v9
	v_cndmask_b32_e32 v9, v9, v10, vcc
	v_cndmask_b32_e32 v3, v8, v3, vcc
	v_mov_b32_e32 v8, 0x37800000
	v_lshlrev_b32_e32 v3, 21, v3
	v_and_b32_e32 v2, 0x80000000, v2
	v_lshl_add_u32 v8, v9, 23, v8
	v_or3_b32 v2, v2, v8, v3
	v_cvt_f64_f32_e32 v[2:3], v2
.LBB22_2182:
	s_or_b64 exec, exec, s[16:17]
	s_mov_b64 s[14:15], 0
	s_branch .LBB22_2188
.LBB22_2183:
	s_mov_b64 s[14:15], -1
                                        ; implicit-def: $vgpr2_vgpr3
	s_branch .LBB22_2194
.LBB22_2184:
	s_or_saveexec_b64 s[22:23], s[22:23]
	v_pk_mov_b32 v[2:3], s[20:21], s[20:21] op_sel:[0,1]
	s_xor_b64 exec, exec, s[22:23]
	s_cbranch_execz .LBB22_2167
.LBB22_2185:
	v_cmp_ne_u16_e32 vcc, 0, v8
	s_andn2_b64 s[16:17], s[16:17], exec
	s_and_b64 s[20:21], vcc, exec
	v_pk_mov_b32 v[2:3], 0, 0
	s_or_b64 s[16:17], s[16:17], s[20:21]
	s_or_b64 exec, exec, s[22:23]
	s_and_saveexec_b64 s[20:21], s[16:17]
	s_cbranch_execnz .LBB22_2168
	s_branch .LBB22_2169
.LBB22_2186:
	s_mov_b64 s[14:15], -1
                                        ; implicit-def: $vgpr2_vgpr3
	s_branch .LBB22_2191
.LBB22_2187:
	s_mov_b64 s[14:15], -1
                                        ; implicit-def: $vgpr2_vgpr3
.LBB22_2188:
	s_and_b64 vcc, exec, s[14:15]
	s_cbranch_vccz .LBB22_2190
; %bb.2189:
	global_load_ubyte v2, v[6:7], off
	s_mov_b32 s14, 0x7f800000
	s_waitcnt vmcnt(0)
	v_lshlrev_b32_e32 v2, 24, v2
	v_and_b32_e32 v3, 0x7f000000, v2
	v_ffbh_u32_e32 v8, v3
	v_min_u32_e32 v8, 32, v8
	v_sub_u32_e64 v8, v8, 4 clamp
	v_lshlrev_b32_e32 v10, v8, v3
	v_lshlrev_b32_e32 v8, 23, v8
	v_lshrrev_b32_e32 v10, 4, v10
	v_add_u32_e32 v9, 0x1000000, v3
	v_sub_u32_e32 v8, v10, v8
	v_ashrrev_i32_e32 v9, 8, v9
	v_add_u32_e32 v8, 0x3c000000, v8
	v_and_or_b32 v8, v9, s14, v8
	v_cmp_ne_u32_e32 vcc, 0, v3
	v_cndmask_b32_e32 v3, 0, v8, vcc
	s_brev_b32 s14, 1
	v_and_or_b32 v2, v2, s14, v3
	v_cvt_f64_f32_e32 v[2:3], v2
.LBB22_2190:
	s_mov_b64 s[14:15], 0
.LBB22_2191:
	s_andn2_b64 vcc, exec, s[14:15]
	s_cbranch_vccnz .LBB22_2193
; %bb.2192:
	global_load_ubyte v2, v[6:7], off
	s_movk_i32 s14, 0x7f00
	s_brev_b32 s15, 16
	s_waitcnt vmcnt(0)
	v_lshlrev_b16_e32 v3, 8, v2
	v_lshlrev_b32_e32 v2, 25, v2
	v_lshrrev_b32_e32 v8, 4, v2
	v_and_or_b32 v9, v3, s14, 0.5
	v_or_b32_e32 v8, 0x70000000, v8
	v_add_f32_e32 v9, -0.5, v9
	v_mul_f32_e32 v8, 0x7800000, v8
	v_cmp_gt_u32_e32 vcc, s15, v2
	v_bfe_i32 v3, v3, 0, 16
	v_cndmask_b32_e32 v2, v8, v9, vcc
	s_brev_b32 s14, 1
	v_and_or_b32 v2, v3, s14, v2
	v_cvt_f64_f32_e32 v[2:3], v2
.LBB22_2193:
	s_mov_b64 s[14:15], 0
	s_mov_b64 s[16:17], -1
.LBB22_2194:
	s_andn2_b64 vcc, exec, s[14:15]
	s_mov_b64 s[14:15], 0
	s_cbranch_vccnz .LBB22_2205
; %bb.2195:
	v_mov_b32_e32 v2, 14
	v_cmp_gt_i16_sdwa s[14:15], v17, v2 src0_sel:BYTE_0 src1_sel:DWORD
	s_and_b64 vcc, exec, s[14:15]
	s_cbranch_vccz .LBB22_2198
; %bb.2196:
	v_mov_b32_e32 v2, 15
	v_cmp_eq_u16_sdwa s[0:1], v17, v2 src0_sel:BYTE_0 src1_sel:DWORD
	s_and_b64 vcc, exec, s[0:1]
	s_cbranch_vccz .LBB22_2201
; %bb.2197:
	global_load_ushort v2, v[6:7], off
	s_mov_b64 s[0:1], 0
	s_mov_b64 s[16:17], -1
	s_waitcnt vmcnt(0)
	v_lshlrev_b32_e32 v2, 16, v2
	v_cvt_f64_f32_e32 v[2:3], v2
	s_branch .LBB22_2202
.LBB22_2198:
	s_mov_b64 s[20:21], -1
                                        ; implicit-def: $vgpr2_vgpr3
	s_branch .LBB22_2203
.LBB22_2199:
	s_or_saveexec_b64 s[20:21], s[20:21]
	v_pk_mov_b32 v[2:3], s[16:17], s[16:17] op_sel:[0,1]
	s_xor_b64 exec, exec, s[20:21]
	s_cbranch_execz .LBB22_2180
.LBB22_2200:
	v_cmp_ne_u16_e32 vcc, 0, v8
	s_andn2_b64 s[14:15], s[14:15], exec
	s_and_b64 s[16:17], vcc, exec
	v_pk_mov_b32 v[2:3], 0, 0
	s_or_b64 s[14:15], s[14:15], s[16:17]
	s_or_b64 exec, exec, s[20:21]
	s_and_saveexec_b64 s[16:17], s[14:15]
	s_cbranch_execnz .LBB22_2181
	s_branch .LBB22_2182
.LBB22_2201:
	s_mov_b64 s[0:1], -1
                                        ; implicit-def: $vgpr2_vgpr3
.LBB22_2202:
	s_mov_b64 s[20:21], 0
.LBB22_2203:
	s_mov_b64 s[14:15], 0
	s_and_b64 vcc, exec, s[20:21]
	s_cbranch_vccz .LBB22_2205
; %bb.2204:
	v_mov_b32_e32 v2, 11
	v_cmp_ne_u16_sdwa s[0:1], v17, v2 src0_sel:BYTE_0 src1_sel:DWORD
	s_mov_b64 s[14:15], -1
                                        ; implicit-def: $vgpr2_vgpr3
.LBB22_2205:
	s_and_b64 vcc, exec, s[0:1]
	s_cbranch_vccnz .LBB22_2270
; %bb.2206:
	s_andn2_b64 vcc, exec, s[14:15]
	s_cbranch_vccnz .LBB22_2208
.LBB22_2207:
	global_load_ubyte v3, v[6:7], off
	v_mov_b32_e32 v8, 0x3ff00000
	v_mov_b32_e32 v2, 0
	s_mov_b64 s[16:17], -1
	s_waitcnt vmcnt(0)
	v_cmp_ne_u16_e32 vcc, 0, v3
	v_cndmask_b32_e32 v3, 0, v8, vcc
.LBB22_2208:
	s_mov_b64 s[0:1], 0
.LBB22_2209:
	s_and_b64 vcc, exec, s[0:1]
	s_cbranch_vccz .LBB22_2258
; %bb.2210:
	v_mov_b32_e32 v2, 5
	v_cmp_lt_i16_sdwa s[0:1], v17, v2 src0_sel:BYTE_0 src1_sel:DWORD
	s_and_b64 vcc, exec, s[0:1]
	s_cbranch_vccnz .LBB22_2215
; %bb.2211:
	v_mov_b32_e32 v2, 8
	v_cmp_lt_i16_sdwa s[0:1], v17, v2 src0_sel:BYTE_0 src1_sel:DWORD
	s_and_b64 vcc, exec, s[0:1]
	s_cbranch_vccnz .LBB22_2216
	;; [unrolled: 5-line block ×3, first 2 shown]
; %bb.2213:
	v_cmp_gt_i16_sdwa s[0:1], v17, v2 src0_sel:BYTE_0 src1_sel:DWORD
	s_and_b64 vcc, exec, s[0:1]
	s_cbranch_vccz .LBB22_2218
; %bb.2214:
	global_load_dwordx2 v[2:3], v[6:7], off
	s_mov_b64 s[0:1], 0
	s_branch .LBB22_2219
.LBB22_2215:
	s_mov_b64 s[0:1], -1
                                        ; implicit-def: $vgpr2_vgpr3
	s_branch .LBB22_2237
.LBB22_2216:
	s_mov_b64 s[0:1], -1
                                        ; implicit-def: $vgpr2_vgpr3
	s_branch .LBB22_2225
.LBB22_2217:
	s_mov_b64 s[0:1], -1
                                        ; implicit-def: $vgpr2_vgpr3
	s_branch .LBB22_2222
.LBB22_2218:
	s_mov_b64 s[0:1], -1
                                        ; implicit-def: $vgpr2_vgpr3
.LBB22_2219:
	s_andn2_b64 vcc, exec, s[0:1]
	s_cbranch_vccnz .LBB22_2221
; %bb.2220:
	global_load_dword v2, v[6:7], off
	s_waitcnt vmcnt(0)
	v_cvt_f64_f32_e32 v[2:3], v2
.LBB22_2221:
	s_mov_b64 s[0:1], 0
.LBB22_2222:
	s_andn2_b64 vcc, exec, s[0:1]
	s_cbranch_vccnz .LBB22_2224
; %bb.2223:
	global_load_dword v2, v[6:7], off
	s_waitcnt vmcnt(0)
	v_cvt_f32_f16_e32 v2, v2
	v_cvt_f64_f32_e32 v[2:3], v2
.LBB22_2224:
	s_mov_b64 s[0:1], 0
.LBB22_2225:
	s_andn2_b64 vcc, exec, s[0:1]
	s_cbranch_vccnz .LBB22_2236
; %bb.2226:
	s_waitcnt vmcnt(0)
	v_mov_b32_e32 v2, 6
	v_cmp_lt_i16_sdwa s[0:1], v17, v2 src0_sel:BYTE_0 src1_sel:DWORD
	s_and_b64 vcc, exec, s[0:1]
	s_cbranch_vccnz .LBB22_2229
; %bb.2227:
	v_cmp_gt_i16_sdwa s[0:1], v17, v2 src0_sel:BYTE_0 src1_sel:DWORD
	s_and_b64 vcc, exec, s[0:1]
	s_cbranch_vccz .LBB22_2230
; %bb.2228:
	global_load_dwordx2 v[2:3], v[6:7], off
	s_mov_b64 s[0:1], 0
	s_branch .LBB22_2231
.LBB22_2229:
	s_mov_b64 s[0:1], -1
                                        ; implicit-def: $vgpr2_vgpr3
	s_branch .LBB22_2234
.LBB22_2230:
	s_mov_b64 s[0:1], -1
                                        ; implicit-def: $vgpr2_vgpr3
.LBB22_2231:
	s_andn2_b64 vcc, exec, s[0:1]
	s_cbranch_vccnz .LBB22_2233
; %bb.2232:
	global_load_dword v2, v[6:7], off
	s_waitcnt vmcnt(0)
	v_cvt_f64_f32_e32 v[2:3], v2
.LBB22_2233:
	s_mov_b64 s[0:1], 0
.LBB22_2234:
	s_andn2_b64 vcc, exec, s[0:1]
	s_cbranch_vccnz .LBB22_2236
; %bb.2235:
	global_load_ushort v2, v[6:7], off
	s_waitcnt vmcnt(0)
	v_cvt_f32_f16_e32 v2, v2
	v_cvt_f64_f32_e32 v[2:3], v2
.LBB22_2236:
	s_mov_b64 s[0:1], 0
.LBB22_2237:
	s_andn2_b64 vcc, exec, s[0:1]
	s_cbranch_vccnz .LBB22_2257
; %bb.2238:
	s_waitcnt vmcnt(0)
	v_mov_b32_e32 v2, 2
	v_cmp_lt_i16_sdwa s[0:1], v17, v2 src0_sel:BYTE_0 src1_sel:DWORD
	s_and_b64 vcc, exec, s[0:1]
	s_cbranch_vccnz .LBB22_2242
; %bb.2239:
	v_mov_b32_e32 v2, 3
	v_cmp_lt_i16_sdwa s[0:1], v17, v2 src0_sel:BYTE_0 src1_sel:DWORD
	s_and_b64 vcc, exec, s[0:1]
	s_cbranch_vccnz .LBB22_2243
; %bb.2240:
	v_cmp_gt_i16_sdwa s[0:1], v17, v2 src0_sel:BYTE_0 src1_sel:DWORD
	s_and_b64 vcc, exec, s[0:1]
	s_cbranch_vccz .LBB22_2244
; %bb.2241:
	global_load_dwordx2 v[2:3], v[6:7], off
	s_mov_b64 s[0:1], 0
	s_waitcnt vmcnt(0)
	v_cvt_f64_i32_e32 v[8:9], v3
	v_cvt_f64_u32_e32 v[2:3], v2
	v_ldexp_f64 v[8:9], v[8:9], 32
	v_add_f64 v[2:3], v[8:9], v[2:3]
	s_branch .LBB22_2245
.LBB22_2242:
	s_mov_b64 s[0:1], -1
                                        ; implicit-def: $vgpr2_vgpr3
	s_branch .LBB22_2251
.LBB22_2243:
	s_mov_b64 s[0:1], -1
                                        ; implicit-def: $vgpr2_vgpr3
	s_branch .LBB22_2248
.LBB22_2244:
	s_mov_b64 s[0:1], -1
                                        ; implicit-def: $vgpr2_vgpr3
.LBB22_2245:
	s_andn2_b64 vcc, exec, s[0:1]
	s_cbranch_vccnz .LBB22_2247
; %bb.2246:
	global_load_dword v2, v[6:7], off
	s_waitcnt vmcnt(0)
	v_cvt_f64_i32_e32 v[2:3], v2
.LBB22_2247:
	s_mov_b64 s[0:1], 0
.LBB22_2248:
	s_andn2_b64 vcc, exec, s[0:1]
	s_cbranch_vccnz .LBB22_2250
; %bb.2249:
	global_load_sshort v2, v[6:7], off
	s_waitcnt vmcnt(0)
	v_cvt_f64_i32_e32 v[2:3], v2
.LBB22_2250:
	s_mov_b64 s[0:1], 0
.LBB22_2251:
	s_andn2_b64 vcc, exec, s[0:1]
	s_cbranch_vccnz .LBB22_2257
; %bb.2252:
	v_mov_b32_e32 v2, 0
	v_cmp_gt_i16_sdwa s[0:1], v17, v2 src0_sel:BYTE_0 src1_sel:DWORD
	s_and_b64 vcc, exec, s[0:1]
	s_cbranch_vccz .LBB22_2254
; %bb.2253:
	global_load_sbyte v2, v[6:7], off
	s_mov_b64 s[0:1], 0
	s_waitcnt vmcnt(0)
	v_cvt_f64_i32_e32 v[2:3], v2
	s_branch .LBB22_2255
.LBB22_2254:
	s_mov_b64 s[0:1], -1
                                        ; implicit-def: $vgpr2_vgpr3
.LBB22_2255:
	s_andn2_b64 vcc, exec, s[0:1]
	s_cbranch_vccnz .LBB22_2257
; %bb.2256:
	global_load_ubyte v2, v[6:7], off
	s_waitcnt vmcnt(0)
	v_cvt_f64_u32_e32 v[2:3], v2
.LBB22_2257:
	s_mov_b64 s[16:17], -1
.LBB22_2258:
	s_andn2_b64 vcc, exec, s[16:17]
	s_cbranch_vccnz .LBB22_2682
; %bb.2259:
	v_add_u32_e32 v13, s26, v11
	v_ashrrev_i32_e32 v7, 31, v13
	v_mov_b32_e32 v8, s3
	v_add_co_u32_e32 v6, vcc, s2, v13
	v_addc_co_u32_e32 v7, vcc, v8, v7, vcc
	v_mov_b32_e32 v8, 11
	v_cmp_lt_i16_sdwa s[0:1], v16, v8 src0_sel:BYTE_0 src1_sel:DWORD
	s_and_b64 vcc, exec, s[0:1]
	s_cbranch_vccnz .LBB22_2266
; %bb.2260:
	v_mov_b32_e32 v8, 25
	v_cmp_gt_i16_sdwa s[0:1], v16, v8 src0_sel:BYTE_0 src1_sel:DWORD
	s_mov_b64 s[14:15], 0
	s_and_b64 vcc, exec, s[0:1]
	s_cbranch_vccz .LBB22_2267
; %bb.2261:
	v_mov_b32_e32 v8, 28
	v_cmp_gt_i16_sdwa s[0:1], v16, v8 src0_sel:BYTE_0 src1_sel:DWORD
	s_and_b64 vcc, exec, s[0:1]
	s_cbranch_vccz .LBB22_2268
; %bb.2262:
	v_mov_b32_e32 v8, 43
	v_cmp_gt_i16_sdwa s[0:1], v16, v8 src0_sel:BYTE_0 src1_sel:DWORD
	;; [unrolled: 5-line block ×3, first 2 shown]
	s_and_b64 vcc, exec, s[0:1]
	s_cbranch_vccz .LBB22_2271
; %bb.2264:
	v_mov_b32_e32 v8, 46
	v_cmp_eq_u16_sdwa s[0:1], v16, v8 src0_sel:BYTE_0 src1_sel:DWORD
	s_mov_b64 s[20:21], 0
	s_and_b64 vcc, exec, s[0:1]
	s_cbranch_vccz .LBB22_2274
; %bb.2265:
	global_load_dword v8, v[6:7], off
	s_mov_b64 s[0:1], 0
	s_mov_b64 s[16:17], -1
	s_waitcnt vmcnt(0)
	v_lshlrev_b32_e32 v8, 16, v8
	v_cvt_f64_f32_e32 v[8:9], v8
	s_branch .LBB22_2275
.LBB22_2266:
	s_mov_b64 s[0:1], -1
	s_mov_b64 s[16:17], 0
                                        ; implicit-def: $vgpr8_vgpr9
	s_branch .LBB22_2341
.LBB22_2267:
	s_mov_b64 s[20:21], -1
	s_mov_b64 s[16:17], 0
	s_mov_b64 s[0:1], 0
                                        ; implicit-def: $vgpr8_vgpr9
	s_branch .LBB22_2304
.LBB22_2268:
	s_mov_b64 s[20:21], -1
	s_mov_b64 s[16:17], 0
	s_mov_b64 s[0:1], 0
                                        ; implicit-def: $vgpr8_vgpr9
	s_branch .LBB22_2285
.LBB22_2269:
	s_mov_b64 s[20:21], -1
	s_mov_b64 s[16:17], 0
	s_mov_b64 s[0:1], 0
                                        ; implicit-def: $vgpr8_vgpr9
	s_branch .LBB22_2280
.LBB22_2270:
	s_trap 2
	s_or_b64 s[18:19], s[18:19], exec
                                        ; implicit-def: $vgpr2_vgpr3
	s_cbranch_execz .LBB22_2207
	s_branch .LBB22_2208
.LBB22_2271:
	s_mov_b64 s[20:21], -1
	s_mov_b64 s[16:17], 0
	s_mov_b64 s[0:1], 0
                                        ; implicit-def: $vgpr8_vgpr9
	s_branch .LBB22_2275
.LBB22_2272:
	s_or_saveexec_b64 s[44:45], s[44:45]
                                        ; implicit-def: $sgpr15
	s_xor_b64 exec, exec, s[44:45]
	s_cbranch_execz .LBB22_1121
.LBB22_2273:
	s_mov_b32 s15, 0x42800000
	v_add_f32_e64 v3, |v2|, s15
	v_and_b32_e32 v3, 0xff, v3
	v_cmp_ne_u32_e32 vcc, 0, v3
	s_andn2_b64 s[42:43], s[42:43], exec
	s_and_b64 s[46:47], vcc, exec
	s_mov_b32 s15, 0
	s_or_b64 s[42:43], s[42:43], s[46:47]
	s_or_b64 exec, exec, s[44:45]
	v_mov_b32_e32 v6, s15
	s_and_saveexec_b64 s[44:45], s[42:43]
	s_cbranch_execnz .LBB22_1122
	s_branch .LBB22_1123
.LBB22_2274:
	s_mov_b64 s[0:1], -1
                                        ; implicit-def: $vgpr8_vgpr9
	s_mov_b64 s[16:17], 0
.LBB22_2275:
	s_and_b64 vcc, exec, s[20:21]
	s_cbranch_vccz .LBB22_2279
; %bb.2276:
	v_mov_b32_e32 v8, 44
	v_cmp_eq_u16_sdwa s[0:1], v16, v8 src0_sel:BYTE_0 src1_sel:DWORD
	s_and_b64 vcc, exec, s[0:1]
	s_cbranch_vccz .LBB22_2278
; %bb.2277:
	global_load_ubyte v10, v[6:7], off
	s_movk_i32 s16, 0xff
	v_bfrev_b32_e32 v11, 4
	v_mov_b32_e32 v18, 0x7ff80000
	v_bfrev_b32_e32 v19, 28
	s_mov_b64 s[0:1], 0
	s_waitcnt vmcnt(0)
	v_lshlrev_b32_e32 v8, 23, v10
	v_cvt_f64_f32_e32 v[8:9], v8
	v_cmp_ne_u32_e32 vcc, s16, v10
	v_cndmask_b32_e32 v8, v11, v8, vcc
	v_cndmask_b32_e32 v9, v18, v9, vcc
	v_cmp_ne_u32_e32 vcc, 0, v10
	v_cndmask_b32_e32 v9, v19, v9, vcc
	v_cndmask_b32_e32 v8, 0, v8, vcc
	s_mov_b64 s[16:17], -1
	s_branch .LBB22_2279
.LBB22_2278:
	s_mov_b64 s[0:1], -1
                                        ; implicit-def: $vgpr8_vgpr9
.LBB22_2279:
	s_mov_b64 s[20:21], 0
.LBB22_2280:
	s_and_b64 vcc, exec, s[20:21]
	s_cbranch_vccz .LBB22_2284
; %bb.2281:
	v_mov_b32_e32 v8, 29
	v_cmp_eq_u16_sdwa s[0:1], v16, v8 src0_sel:BYTE_0 src1_sel:DWORD
	s_and_b64 vcc, exec, s[0:1]
	s_cbranch_vccz .LBB22_2283
; %bb.2282:
	global_load_dwordx2 v[8:9], v[6:7], off
	s_mov_b64 s[0:1], 0
	s_mov_b64 s[16:17], -1
	s_mov_b64 s[20:21], 0
	s_waitcnt vmcnt(0)
	v_cvt_f64_u32_e32 v[10:11], v9
	v_cvt_f64_u32_e32 v[8:9], v8
	v_ldexp_f64 v[10:11], v[10:11], 32
	v_add_f64 v[8:9], v[10:11], v[8:9]
	s_branch .LBB22_2285
.LBB22_2283:
	s_mov_b64 s[0:1], -1
                                        ; implicit-def: $vgpr8_vgpr9
.LBB22_2284:
	s_mov_b64 s[20:21], 0
.LBB22_2285:
	s_and_b64 vcc, exec, s[20:21]
	s_cbranch_vccz .LBB22_2303
; %bb.2286:
	v_mov_b32_e32 v8, 27
	v_cmp_lt_i16_sdwa s[16:17], v16, v8 src0_sel:BYTE_0 src1_sel:DWORD
	s_and_b64 vcc, exec, s[16:17]
	s_cbranch_vccnz .LBB22_2289
; %bb.2287:
	v_cmp_gt_i16_sdwa s[16:17], v16, v8 src0_sel:BYTE_0 src1_sel:DWORD
	s_and_b64 vcc, exec, s[16:17]
	s_cbranch_vccz .LBB22_2290
; %bb.2288:
	global_load_dword v8, v[6:7], off
	s_mov_b64 s[16:17], 0
	s_waitcnt vmcnt(0)
	v_cvt_f64_u32_e32 v[8:9], v8
	s_branch .LBB22_2291
.LBB22_2289:
	s_mov_b64 s[16:17], -1
                                        ; implicit-def: $vgpr8_vgpr9
	s_branch .LBB22_2294
.LBB22_2290:
	s_mov_b64 s[16:17], -1
                                        ; implicit-def: $vgpr8_vgpr9
.LBB22_2291:
	s_andn2_b64 vcc, exec, s[16:17]
	s_cbranch_vccnz .LBB22_2293
; %bb.2292:
	global_load_ushort v8, v[6:7], off
	s_waitcnt vmcnt(0)
	v_cvt_f64_u32_e32 v[8:9], v8
.LBB22_2293:
	s_mov_b64 s[16:17], 0
.LBB22_2294:
	s_andn2_b64 vcc, exec, s[16:17]
	s_cbranch_vccnz .LBB22_2302
; %bb.2295:
	global_load_ubyte v10, v[6:7], off
	s_movk_i32 s16, 0x7f
                                        ; implicit-def: $sgpr20_sgpr21
	s_waitcnt vmcnt(0)
	v_cmp_lt_i16_e32 vcc, s16, v10
	s_mov_b64 s[16:17], 0
	s_and_saveexec_b64 s[22:23], vcc
	s_xor_b64 s[22:23], exec, s[22:23]
	s_cbranch_execz .LBB22_2316
; %bb.2296:
	s_movk_i32 s16, 0x80
	v_cmp_eq_u16_e32 vcc, s16, v10
	s_mov_b64 s[24:25], -1
                                        ; implicit-def: $sgpr20_sgpr21
	s_and_saveexec_b64 s[16:17], vcc
; %bb.2297:
	s_mov_b32 s21, 0x7ff80000
	s_brev_b32 s20, 4
	s_xor_b64 s[24:25], exec, -1
; %bb.2298:
	s_or_b64 exec, exec, s[16:17]
	s_and_b64 s[16:17], s[24:25], exec
	s_or_saveexec_b64 s[22:23], s[22:23]
	v_pk_mov_b32 v[8:9], s[20:21], s[20:21] op_sel:[0,1]
	s_xor_b64 exec, exec, s[22:23]
	s_cbranch_execnz .LBB22_2317
.LBB22_2299:
	s_or_b64 exec, exec, s[22:23]
	s_and_saveexec_b64 s[20:21], s[16:17]
	s_cbranch_execz .LBB22_2301
.LBB22_2300:
	v_and_b32_e32 v9, 0xffff, v10
	v_lshlrev_b32_e32 v8, 24, v10
	v_and_b32_e32 v10, 7, v9
	v_ffbh_u32_e32 v18, v10
	v_min_u32_e32 v18, 32, v18
	v_subrev_u32_e32 v19, 28, v18
	v_bfe_u32 v11, v9, 3, 4
	v_lshlrev_b32_e32 v9, v19, v9
	v_sub_u32_e32 v18, 29, v18
	v_and_b32_e32 v9, 7, v9
	v_cmp_eq_u32_e32 vcc, 0, v11
	v_cndmask_b32_e32 v11, v11, v18, vcc
	v_cndmask_b32_e32 v9, v10, v9, vcc
	v_mov_b32_e32 v10, 0x3b800000
	v_lshlrev_b32_e32 v9, 20, v9
	v_and_b32_e32 v8, 0x80000000, v8
	v_lshl_add_u32 v10, v11, 23, v10
	v_or3_b32 v8, v8, v10, v9
	v_cvt_f64_f32_e32 v[8:9], v8
.LBB22_2301:
	s_or_b64 exec, exec, s[20:21]
.LBB22_2302:
	s_mov_b64 s[16:17], -1
.LBB22_2303:
	s_mov_b64 s[20:21], 0
.LBB22_2304:
	s_and_b64 vcc, exec, s[20:21]
	s_cbranch_vccz .LBB22_2337
; %bb.2305:
	v_mov_b32_e32 v8, 22
	v_cmp_gt_i16_sdwa s[14:15], v16, v8 src0_sel:BYTE_0 src1_sel:DWORD
	s_and_b64 vcc, exec, s[14:15]
	s_cbranch_vccz .LBB22_2315
; %bb.2306:
	v_mov_b32_e32 v8, 24
	v_cmp_lt_i16_sdwa s[14:15], v16, v8 src0_sel:BYTE_0 src1_sel:DWORD
	s_and_b64 vcc, exec, s[14:15]
	s_cbranch_vccnz .LBB22_2318
; %bb.2307:
	v_cmp_gt_i16_sdwa s[14:15], v16, v8 src0_sel:BYTE_0 src1_sel:DWORD
	s_and_b64 vcc, exec, s[14:15]
	s_cbranch_vccz .LBB22_2319
; %bb.2308:
	global_load_ubyte v10, v[6:7], off
	s_movk_i32 s14, 0x7f
                                        ; implicit-def: $sgpr16_sgpr17
	s_waitcnt vmcnt(0)
	v_cmp_lt_i16_e32 vcc, s14, v10
	s_mov_b64 s[14:15], 0
	s_and_saveexec_b64 s[20:21], vcc
	s_xor_b64 s[20:21], exec, s[20:21]
	s_cbranch_execz .LBB22_2331
; %bb.2309:
	s_movk_i32 s14, 0x80
	v_cmp_eq_u16_e32 vcc, s14, v10
	s_mov_b64 s[22:23], -1
                                        ; implicit-def: $sgpr16_sgpr17
	s_and_saveexec_b64 s[14:15], vcc
; %bb.2310:
	s_mov_b32 s17, 0x7ff80000
	s_brev_b32 s16, 4
	s_xor_b64 s[22:23], exec, -1
; %bb.2311:
	s_or_b64 exec, exec, s[14:15]
	s_and_b64 s[14:15], s[22:23], exec
	s_or_saveexec_b64 s[20:21], s[20:21]
	v_pk_mov_b32 v[8:9], s[16:17], s[16:17] op_sel:[0,1]
	s_xor_b64 exec, exec, s[20:21]
	s_cbranch_execnz .LBB22_2332
.LBB22_2312:
	s_or_b64 exec, exec, s[20:21]
	s_and_saveexec_b64 s[16:17], s[14:15]
	s_cbranch_execz .LBB22_2314
.LBB22_2313:
	v_and_b32_e32 v9, 0xffff, v10
	v_lshlrev_b32_e32 v8, 24, v10
	v_and_b32_e32 v10, 3, v9
	v_ffbh_u32_e32 v18, v10
	v_min_u32_e32 v18, 32, v18
	v_subrev_u32_e32 v19, 29, v18
	v_bfe_u32 v11, v9, 2, 5
	v_lshlrev_b32_e32 v9, v19, v9
	v_sub_u32_e32 v18, 30, v18
	v_and_b32_e32 v9, 3, v9
	v_cmp_eq_u32_e32 vcc, 0, v11
	v_cndmask_b32_e32 v11, v11, v18, vcc
	v_cndmask_b32_e32 v9, v10, v9, vcc
	v_mov_b32_e32 v10, 0x37800000
	v_lshlrev_b32_e32 v9, 21, v9
	v_and_b32_e32 v8, 0x80000000, v8
	v_lshl_add_u32 v10, v11, 23, v10
	v_or3_b32 v8, v8, v10, v9
	v_cvt_f64_f32_e32 v[8:9], v8
.LBB22_2314:
	s_or_b64 exec, exec, s[16:17]
	s_mov_b64 s[14:15], 0
	s_branch .LBB22_2320
.LBB22_2315:
	s_mov_b64 s[14:15], -1
                                        ; implicit-def: $vgpr8_vgpr9
	s_branch .LBB22_2326
.LBB22_2316:
	s_or_saveexec_b64 s[22:23], s[22:23]
	v_pk_mov_b32 v[8:9], s[20:21], s[20:21] op_sel:[0,1]
	s_xor_b64 exec, exec, s[22:23]
	s_cbranch_execz .LBB22_2299
.LBB22_2317:
	v_cmp_ne_u16_e32 vcc, 0, v10
	s_andn2_b64 s[16:17], s[16:17], exec
	s_and_b64 s[20:21], vcc, exec
	v_pk_mov_b32 v[8:9], 0, 0
	s_or_b64 s[16:17], s[16:17], s[20:21]
	s_or_b64 exec, exec, s[22:23]
	s_and_saveexec_b64 s[20:21], s[16:17]
	s_cbranch_execnz .LBB22_2300
	s_branch .LBB22_2301
.LBB22_2318:
	s_mov_b64 s[14:15], -1
                                        ; implicit-def: $vgpr8_vgpr9
	s_branch .LBB22_2323
.LBB22_2319:
	s_mov_b64 s[14:15], -1
                                        ; implicit-def: $vgpr8_vgpr9
.LBB22_2320:
	s_and_b64 vcc, exec, s[14:15]
	s_cbranch_vccz .LBB22_2322
; %bb.2321:
	global_load_ubyte v8, v[6:7], off
	s_mov_b32 s14, 0x7f800000
	s_waitcnt vmcnt(0)
	v_lshlrev_b32_e32 v8, 24, v8
	v_and_b32_e32 v9, 0x7f000000, v8
	v_ffbh_u32_e32 v10, v9
	v_min_u32_e32 v10, 32, v10
	v_sub_u32_e64 v10, v10, 4 clamp
	v_lshlrev_b32_e32 v18, v10, v9
	v_lshlrev_b32_e32 v10, 23, v10
	v_lshrrev_b32_e32 v18, 4, v18
	v_add_u32_e32 v11, 0x1000000, v9
	v_sub_u32_e32 v10, v18, v10
	v_ashrrev_i32_e32 v11, 8, v11
	v_add_u32_e32 v10, 0x3c000000, v10
	v_and_or_b32 v10, v11, s14, v10
	v_cmp_ne_u32_e32 vcc, 0, v9
	v_cndmask_b32_e32 v9, 0, v10, vcc
	s_brev_b32 s14, 1
	v_and_or_b32 v8, v8, s14, v9
	v_cvt_f64_f32_e32 v[8:9], v8
.LBB22_2322:
	s_mov_b64 s[14:15], 0
.LBB22_2323:
	s_andn2_b64 vcc, exec, s[14:15]
	s_cbranch_vccnz .LBB22_2325
; %bb.2324:
	global_load_ubyte v8, v[6:7], off
	s_movk_i32 s14, 0x7f00
	s_brev_b32 s15, 16
	s_waitcnt vmcnt(0)
	v_lshlrev_b16_e32 v9, 8, v8
	v_lshlrev_b32_e32 v8, 25, v8
	v_lshrrev_b32_e32 v10, 4, v8
	v_and_or_b32 v11, v9, s14, 0.5
	v_or_b32_e32 v10, 0x70000000, v10
	v_add_f32_e32 v11, -0.5, v11
	v_mul_f32_e32 v10, 0x7800000, v10
	v_cmp_gt_u32_e32 vcc, s15, v8
	v_bfe_i32 v9, v9, 0, 16
	v_cndmask_b32_e32 v8, v10, v11, vcc
	s_brev_b32 s14, 1
	v_and_or_b32 v8, v9, s14, v8
	v_cvt_f64_f32_e32 v[8:9], v8
.LBB22_2325:
	s_mov_b64 s[14:15], 0
	s_mov_b64 s[16:17], -1
.LBB22_2326:
	s_andn2_b64 vcc, exec, s[14:15]
	s_mov_b64 s[14:15], 0
	s_cbranch_vccnz .LBB22_2337
; %bb.2327:
	v_mov_b32_e32 v8, 14
	v_cmp_gt_i16_sdwa s[14:15], v16, v8 src0_sel:BYTE_0 src1_sel:DWORD
	s_and_b64 vcc, exec, s[14:15]
	s_cbranch_vccz .LBB22_2330
; %bb.2328:
	v_mov_b32_e32 v8, 15
	v_cmp_eq_u16_sdwa s[0:1], v16, v8 src0_sel:BYTE_0 src1_sel:DWORD
	s_and_b64 vcc, exec, s[0:1]
	s_cbranch_vccz .LBB22_2333
; %bb.2329:
	global_load_ushort v8, v[6:7], off
	s_mov_b64 s[0:1], 0
	s_mov_b64 s[16:17], -1
	s_waitcnt vmcnt(0)
	v_lshlrev_b32_e32 v8, 16, v8
	v_cvt_f64_f32_e32 v[8:9], v8
	s_branch .LBB22_2334
.LBB22_2330:
	s_mov_b64 s[20:21], -1
                                        ; implicit-def: $vgpr8_vgpr9
	s_branch .LBB22_2335
.LBB22_2331:
	s_or_saveexec_b64 s[20:21], s[20:21]
	v_pk_mov_b32 v[8:9], s[16:17], s[16:17] op_sel:[0,1]
	s_xor_b64 exec, exec, s[20:21]
	s_cbranch_execz .LBB22_2312
.LBB22_2332:
	v_cmp_ne_u16_e32 vcc, 0, v10
	s_andn2_b64 s[14:15], s[14:15], exec
	s_and_b64 s[16:17], vcc, exec
	v_pk_mov_b32 v[8:9], 0, 0
	s_or_b64 s[14:15], s[14:15], s[16:17]
	s_or_b64 exec, exec, s[20:21]
	s_and_saveexec_b64 s[16:17], s[14:15]
	s_cbranch_execnz .LBB22_2313
	s_branch .LBB22_2314
.LBB22_2333:
	s_mov_b64 s[0:1], -1
                                        ; implicit-def: $vgpr8_vgpr9
.LBB22_2334:
	s_mov_b64 s[20:21], 0
.LBB22_2335:
	s_mov_b64 s[14:15], 0
	s_and_b64 vcc, exec, s[20:21]
	s_cbranch_vccz .LBB22_2337
; %bb.2336:
	v_mov_b32_e32 v8, 11
	v_cmp_ne_u16_sdwa s[0:1], v16, v8 src0_sel:BYTE_0 src1_sel:DWORD
	s_mov_b64 s[14:15], -1
                                        ; implicit-def: $vgpr8_vgpr9
.LBB22_2337:
	s_and_b64 vcc, exec, s[0:1]
	s_cbranch_vccnz .LBB22_2414
; %bb.2338:
	s_andn2_b64 vcc, exec, s[14:15]
	s_cbranch_vccnz .LBB22_2340
.LBB22_2339:
	global_load_ubyte v9, v[6:7], off
	v_mov_b32_e32 v10, 0x3ff00000
	v_mov_b32_e32 v8, 0
	s_mov_b64 s[16:17], -1
	s_waitcnt vmcnt(0)
	v_cmp_ne_u16_e32 vcc, 0, v9
	v_cndmask_b32_e32 v9, 0, v10, vcc
.LBB22_2340:
	s_mov_b64 s[0:1], 0
.LBB22_2341:
	s_and_b64 vcc, exec, s[0:1]
	s_cbranch_vccz .LBB22_2390
; %bb.2342:
	v_mov_b32_e32 v8, 5
	v_cmp_lt_i16_sdwa s[0:1], v16, v8 src0_sel:BYTE_0 src1_sel:DWORD
	s_and_b64 vcc, exec, s[0:1]
	s_cbranch_vccnz .LBB22_2347
; %bb.2343:
	v_mov_b32_e32 v8, 8
	v_cmp_lt_i16_sdwa s[0:1], v16, v8 src0_sel:BYTE_0 src1_sel:DWORD
	s_and_b64 vcc, exec, s[0:1]
	s_cbranch_vccnz .LBB22_2348
	;; [unrolled: 5-line block ×3, first 2 shown]
; %bb.2345:
	v_cmp_gt_i16_sdwa s[0:1], v16, v8 src0_sel:BYTE_0 src1_sel:DWORD
	s_and_b64 vcc, exec, s[0:1]
	s_cbranch_vccz .LBB22_2350
; %bb.2346:
	global_load_dwordx2 v[8:9], v[6:7], off
	s_mov_b64 s[0:1], 0
	s_branch .LBB22_2351
.LBB22_2347:
	s_mov_b64 s[0:1], -1
                                        ; implicit-def: $vgpr8_vgpr9
	s_branch .LBB22_2369
.LBB22_2348:
	s_mov_b64 s[0:1], -1
                                        ; implicit-def: $vgpr8_vgpr9
	s_branch .LBB22_2357
.LBB22_2349:
	s_mov_b64 s[0:1], -1
                                        ; implicit-def: $vgpr8_vgpr9
	s_branch .LBB22_2354
.LBB22_2350:
	s_mov_b64 s[0:1], -1
                                        ; implicit-def: $vgpr8_vgpr9
.LBB22_2351:
	s_andn2_b64 vcc, exec, s[0:1]
	s_cbranch_vccnz .LBB22_2353
; %bb.2352:
	global_load_dword v8, v[6:7], off
	s_waitcnt vmcnt(0)
	v_cvt_f64_f32_e32 v[8:9], v8
.LBB22_2353:
	s_mov_b64 s[0:1], 0
.LBB22_2354:
	s_andn2_b64 vcc, exec, s[0:1]
	s_cbranch_vccnz .LBB22_2356
; %bb.2355:
	global_load_dword v8, v[6:7], off
	s_waitcnt vmcnt(0)
	v_cvt_f32_f16_e32 v8, v8
	v_cvt_f64_f32_e32 v[8:9], v8
.LBB22_2356:
	s_mov_b64 s[0:1], 0
.LBB22_2357:
	s_andn2_b64 vcc, exec, s[0:1]
	s_cbranch_vccnz .LBB22_2368
; %bb.2358:
	s_waitcnt vmcnt(0)
	v_mov_b32_e32 v8, 6
	v_cmp_lt_i16_sdwa s[0:1], v16, v8 src0_sel:BYTE_0 src1_sel:DWORD
	s_and_b64 vcc, exec, s[0:1]
	s_cbranch_vccnz .LBB22_2361
; %bb.2359:
	v_cmp_gt_i16_sdwa s[0:1], v16, v8 src0_sel:BYTE_0 src1_sel:DWORD
	s_and_b64 vcc, exec, s[0:1]
	s_cbranch_vccz .LBB22_2362
; %bb.2360:
	global_load_dwordx2 v[8:9], v[6:7], off
	s_mov_b64 s[0:1], 0
	s_branch .LBB22_2363
.LBB22_2361:
	s_mov_b64 s[0:1], -1
                                        ; implicit-def: $vgpr8_vgpr9
	s_branch .LBB22_2366
.LBB22_2362:
	s_mov_b64 s[0:1], -1
                                        ; implicit-def: $vgpr8_vgpr9
.LBB22_2363:
	s_andn2_b64 vcc, exec, s[0:1]
	s_cbranch_vccnz .LBB22_2365
; %bb.2364:
	global_load_dword v8, v[6:7], off
	s_waitcnt vmcnt(0)
	v_cvt_f64_f32_e32 v[8:9], v8
.LBB22_2365:
	s_mov_b64 s[0:1], 0
.LBB22_2366:
	s_andn2_b64 vcc, exec, s[0:1]
	s_cbranch_vccnz .LBB22_2368
; %bb.2367:
	global_load_ushort v8, v[6:7], off
	s_waitcnt vmcnt(0)
	v_cvt_f32_f16_e32 v8, v8
	v_cvt_f64_f32_e32 v[8:9], v8
.LBB22_2368:
	s_mov_b64 s[0:1], 0
.LBB22_2369:
	s_andn2_b64 vcc, exec, s[0:1]
	s_cbranch_vccnz .LBB22_2389
; %bb.2370:
	s_waitcnt vmcnt(0)
	v_mov_b32_e32 v8, 2
	v_cmp_lt_i16_sdwa s[0:1], v16, v8 src0_sel:BYTE_0 src1_sel:DWORD
	s_and_b64 vcc, exec, s[0:1]
	s_cbranch_vccnz .LBB22_2374
; %bb.2371:
	v_mov_b32_e32 v8, 3
	v_cmp_lt_i16_sdwa s[0:1], v16, v8 src0_sel:BYTE_0 src1_sel:DWORD
	s_and_b64 vcc, exec, s[0:1]
	s_cbranch_vccnz .LBB22_2375
; %bb.2372:
	v_cmp_gt_i16_sdwa s[0:1], v16, v8 src0_sel:BYTE_0 src1_sel:DWORD
	s_and_b64 vcc, exec, s[0:1]
	s_cbranch_vccz .LBB22_2376
; %bb.2373:
	global_load_dwordx2 v[8:9], v[6:7], off
	s_mov_b64 s[0:1], 0
	s_waitcnt vmcnt(0)
	v_cvt_f64_i32_e32 v[10:11], v9
	v_cvt_f64_u32_e32 v[8:9], v8
	v_ldexp_f64 v[10:11], v[10:11], 32
	v_add_f64 v[8:9], v[10:11], v[8:9]
	s_branch .LBB22_2377
.LBB22_2374:
	s_mov_b64 s[0:1], -1
                                        ; implicit-def: $vgpr8_vgpr9
	s_branch .LBB22_2383
.LBB22_2375:
	s_mov_b64 s[0:1], -1
                                        ; implicit-def: $vgpr8_vgpr9
	s_branch .LBB22_2380
.LBB22_2376:
	s_mov_b64 s[0:1], -1
                                        ; implicit-def: $vgpr8_vgpr9
.LBB22_2377:
	s_andn2_b64 vcc, exec, s[0:1]
	s_cbranch_vccnz .LBB22_2379
; %bb.2378:
	global_load_dword v8, v[6:7], off
	s_waitcnt vmcnt(0)
	v_cvt_f64_i32_e32 v[8:9], v8
.LBB22_2379:
	s_mov_b64 s[0:1], 0
.LBB22_2380:
	s_andn2_b64 vcc, exec, s[0:1]
	s_cbranch_vccnz .LBB22_2382
; %bb.2381:
	global_load_sshort v8, v[6:7], off
	s_waitcnt vmcnt(0)
	v_cvt_f64_i32_e32 v[8:9], v8
.LBB22_2382:
	s_mov_b64 s[0:1], 0
.LBB22_2383:
	s_andn2_b64 vcc, exec, s[0:1]
	s_cbranch_vccnz .LBB22_2389
; %bb.2384:
	v_mov_b32_e32 v8, 0
	v_cmp_gt_i16_sdwa s[0:1], v16, v8 src0_sel:BYTE_0 src1_sel:DWORD
	s_and_b64 vcc, exec, s[0:1]
	s_cbranch_vccz .LBB22_2386
; %bb.2385:
	global_load_sbyte v8, v[6:7], off
	s_mov_b64 s[0:1], 0
	s_waitcnt vmcnt(0)
	v_cvt_f64_i32_e32 v[8:9], v8
	s_branch .LBB22_2387
.LBB22_2386:
	s_mov_b64 s[0:1], -1
                                        ; implicit-def: $vgpr8_vgpr9
.LBB22_2387:
	s_andn2_b64 vcc, exec, s[0:1]
	s_cbranch_vccnz .LBB22_2389
; %bb.2388:
	global_load_ubyte v6, v[6:7], off
	s_waitcnt vmcnt(0)
	v_cvt_f64_u32_e32 v[8:9], v6
.LBB22_2389:
	s_mov_b64 s[16:17], -1
.LBB22_2390:
	s_andn2_b64 vcc, exec, s[16:17]
	s_cbranch_vccnz .LBB22_2682
; %bb.2391:
	s_waitcnt vmcnt(0)
	v_trunc_f64_e32 v[8:9], v[8:9]
	s_movk_i32 s0, 0xffe0
	v_ldexp_f64 v[6:7], v[8:9], s0
	v_floor_f64_e32 v[10:11], v[6:7]
	v_fmac_f64_e32 v[8:9], 0xc1f00000, v[10:11]
	v_cvt_i32_f64_e32 v7, v[10:11]
	v_cvt_u32_f64_e32 v6, v[8:9]
	v_cmp_lt_i64_e32 vcc, -1, v[6:7]
	v_pk_mov_b32 v[8:9], 0, 0
	s_and_saveexec_b64 s[0:1], vcc
	s_cbranch_execz .LBB22_2403
; %bb.2392:
	v_mov_b32_e32 v8, 0
	v_cmp_lt_i64_e32 vcc, 0, v[6:7]
	v_mov_b32_e32 v9, 0x3ff00000
	s_and_saveexec_b64 s[14:15], vcc
	s_cbranch_execz .LBB22_2402
; %bb.2393:
	v_cmp_ne_u64_e32 vcc, 1, v[6:7]
                                        ; implicit-def: $vgpr8_vgpr9
	s_and_saveexec_b64 s[16:17], vcc
	s_xor_b64 s[16:17], exec, s[16:17]
	s_cbranch_execz .LBB22_2399
; %bb.2394:
	s_mov_b64 s[20:21], 0x201
	v_mov_b32_e32 v8, 0
	v_cmp_gt_u64_e32 vcc, s[20:21], v[6:7]
	v_mov_b32_e32 v9, 0x7ff80000
	s_and_saveexec_b64 s[20:21], vcc
	s_cbranch_execz .LBB22_2398
; %bb.2395:
	v_mov_b32_e32 v10, 0
	s_mov_b64 s[24:25], 1
	s_mov_b64 s[22:23], 0
	v_mov_b32_e32 v11, 0x3ff00000
	v_pk_mov_b32 v[8:9], v[2:3], v[2:3] op_sel:[0,1]
.LBB22_2396:                            ; =>This Inner Loop Header: Depth=1
	v_cvt_f64_u32_e32 v[18:19], s25
	v_cvt_f64_u32_e32 v[20:21], s24
	s_add_u32 s24, s24, 1
	v_ldexp_f64 v[18:19], v[18:19], 32
	s_addc_u32 s25, s25, 0
	v_add_f64 v[18:19], v[18:19], v[20:21]
	v_cmp_eq_u64_e32 vcc, s[24:25], v[6:7]
	v_mul_f64 v[18:19], v[10:11], v[18:19]
	s_or_b64 s[22:23], vcc, s[22:23]
	v_pk_mov_b32 v[10:11], v[8:9], v[8:9] op_sel:[0,1]
	v_fma_f64 v[8:9], v[2:3], v[8:9], -v[18:19]
	s_andn2_b64 exec, exec, s[22:23]
	s_cbranch_execnz .LBB22_2396
; %bb.2397:
	s_or_b64 exec, exec, s[22:23]
.LBB22_2398:
	s_or_b64 exec, exec, s[20:21]
                                        ; implicit-def: $vgpr2_vgpr3
.LBB22_2399:
	s_andn2_saveexec_b64 s[16:17], s[16:17]
; %bb.2400:
	v_pk_mov_b32 v[8:9], v[2:3], v[2:3] op_sel:[0,1]
; %bb.2401:
	s_or_b64 exec, exec, s[16:17]
.LBB22_2402:
	s_or_b64 exec, exec, s[14:15]
.LBB22_2403:
	s_or_b64 exec, exec, s[0:1]
	v_add_u32_e32 v2, s13, v12
	v_ashrrev_i32_e32 v3, 31, v2
	v_mov_b32_e32 v7, s11
	v_add_co_u32_e32 v6, vcc, s10, v2
	v_mov_b32_e32 v2, 11
	v_addc_co_u32_e32 v7, vcc, v7, v3, vcc
	v_cmp_lt_i16_sdwa s[0:1], v17, v2 src0_sel:BYTE_0 src1_sel:DWORD
	s_and_b64 vcc, exec, s[0:1]
	s_cbranch_vccnz .LBB22_2410
; %bb.2404:
	v_mov_b32_e32 v2, 25
	v_cmp_gt_i16_sdwa s[0:1], v17, v2 src0_sel:BYTE_0 src1_sel:DWORD
	s_mov_b64 s[10:11], 0
	s_and_b64 vcc, exec, s[0:1]
	s_cbranch_vccz .LBB22_2411
; %bb.2405:
	v_mov_b32_e32 v2, 28
	v_cmp_gt_i16_sdwa s[0:1], v17, v2 src0_sel:BYTE_0 src1_sel:DWORD
	s_and_b64 vcc, exec, s[0:1]
	s_cbranch_vccz .LBB22_2412
; %bb.2406:
	v_mov_b32_e32 v2, 43
	v_cmp_gt_i16_sdwa s[0:1], v17, v2 src0_sel:BYTE_0 src1_sel:DWORD
	;; [unrolled: 5-line block ×3, first 2 shown]
	s_and_b64 vcc, exec, s[0:1]
	s_cbranch_vccz .LBB22_2415
; %bb.2408:
	v_mov_b32_e32 v2, 46
	v_cmp_eq_u16_sdwa s[0:1], v17, v2 src0_sel:BYTE_0 src1_sel:DWORD
	s_mov_b64 s[16:17], 0
	s_and_b64 vcc, exec, s[0:1]
	s_cbranch_vccz .LBB22_2416
; %bb.2409:
	global_load_dword v2, v[6:7], off
	s_mov_b64 s[0:1], 0
	s_mov_b64 s[14:15], -1
	s_waitcnt vmcnt(0)
	v_lshlrev_b32_e32 v2, 16, v2
	v_cvt_f64_f32_e32 v[2:3], v2
	s_branch .LBB22_2417
.LBB22_2410:
	s_mov_b64 s[0:1], -1
	s_mov_b64 s[14:15], 0
                                        ; implicit-def: $vgpr2_vgpr3
	s_branch .LBB22_2483
.LBB22_2411:
	s_mov_b64 s[16:17], -1
	s_mov_b64 s[14:15], 0
	s_mov_b64 s[0:1], 0
                                        ; implicit-def: $vgpr2_vgpr3
	s_branch .LBB22_2446
.LBB22_2412:
	s_mov_b64 s[16:17], -1
	s_mov_b64 s[14:15], 0
	s_mov_b64 s[0:1], 0
                                        ; implicit-def: $vgpr2_vgpr3
	s_branch .LBB22_2427
.LBB22_2413:
	s_mov_b64 s[16:17], -1
	s_mov_b64 s[14:15], 0
	s_mov_b64 s[0:1], 0
                                        ; implicit-def: $vgpr2_vgpr3
	s_branch .LBB22_2422
.LBB22_2414:
	s_trap 2
	s_or_b64 s[18:19], s[18:19], exec
                                        ; implicit-def: $vgpr8_vgpr9
	s_cbranch_execz .LBB22_2339
	s_branch .LBB22_2340
.LBB22_2415:
	s_mov_b64 s[16:17], -1
	s_mov_b64 s[14:15], 0
	s_mov_b64 s[0:1], 0
                                        ; implicit-def: $vgpr2_vgpr3
	s_branch .LBB22_2417
.LBB22_2416:
	s_mov_b64 s[0:1], -1
                                        ; implicit-def: $vgpr2_vgpr3
	s_mov_b64 s[14:15], 0
.LBB22_2417:
	s_and_b64 vcc, exec, s[16:17]
	s_cbranch_vccz .LBB22_2421
; %bb.2418:
	v_mov_b32_e32 v2, 44
	v_cmp_eq_u16_sdwa s[0:1], v17, v2 src0_sel:BYTE_0 src1_sel:DWORD
	s_and_b64 vcc, exec, s[0:1]
	s_cbranch_vccz .LBB22_2420
; %bb.2419:
	global_load_ubyte v10, v[6:7], off
	s_movk_i32 s13, 0xff
	v_bfrev_b32_e32 v11, 4
	v_mov_b32_e32 v12, 0x7ff80000
	v_bfrev_b32_e32 v18, 28
	s_mov_b64 s[0:1], 0
	s_mov_b64 s[14:15], -1
	s_waitcnt vmcnt(0)
	v_lshlrev_b32_e32 v2, 23, v10
	v_cvt_f64_f32_e32 v[2:3], v2
	v_cmp_ne_u32_e32 vcc, s13, v10
	v_cndmask_b32_e32 v2, v11, v2, vcc
	v_cndmask_b32_e32 v3, v12, v3, vcc
	v_cmp_ne_u32_e32 vcc, 0, v10
	v_cndmask_b32_e32 v3, v18, v3, vcc
	v_cndmask_b32_e32 v2, 0, v2, vcc
	s_branch .LBB22_2421
.LBB22_2420:
	s_mov_b64 s[0:1], -1
                                        ; implicit-def: $vgpr2_vgpr3
.LBB22_2421:
	s_mov_b64 s[16:17], 0
.LBB22_2422:
	s_and_b64 vcc, exec, s[16:17]
	s_cbranch_vccz .LBB22_2426
; %bb.2423:
	v_mov_b32_e32 v2, 29
	v_cmp_eq_u16_sdwa s[0:1], v17, v2 src0_sel:BYTE_0 src1_sel:DWORD
	s_and_b64 vcc, exec, s[0:1]
	s_cbranch_vccz .LBB22_2425
; %bb.2424:
	global_load_dwordx2 v[2:3], v[6:7], off
	s_mov_b64 s[0:1], 0
	s_mov_b64 s[14:15], -1
	s_mov_b64 s[16:17], 0
	s_waitcnt vmcnt(0)
	v_cvt_f64_u32_e32 v[10:11], v3
	v_cvt_f64_u32_e32 v[2:3], v2
	v_ldexp_f64 v[10:11], v[10:11], 32
	v_add_f64 v[2:3], v[10:11], v[2:3]
	s_branch .LBB22_2427
.LBB22_2425:
	s_mov_b64 s[0:1], -1
                                        ; implicit-def: $vgpr2_vgpr3
.LBB22_2426:
	s_mov_b64 s[16:17], 0
.LBB22_2427:
	s_and_b64 vcc, exec, s[16:17]
	s_cbranch_vccz .LBB22_2445
; %bb.2428:
	v_mov_b32_e32 v2, 27
	v_cmp_lt_i16_sdwa s[14:15], v17, v2 src0_sel:BYTE_0 src1_sel:DWORD
	s_and_b64 vcc, exec, s[14:15]
	s_cbranch_vccnz .LBB22_2431
; %bb.2429:
	v_cmp_gt_i16_sdwa s[14:15], v17, v2 src0_sel:BYTE_0 src1_sel:DWORD
	s_and_b64 vcc, exec, s[14:15]
	s_cbranch_vccz .LBB22_2432
; %bb.2430:
	global_load_dword v2, v[6:7], off
	s_mov_b64 s[14:15], 0
	s_waitcnt vmcnt(0)
	v_cvt_f64_u32_e32 v[2:3], v2
	s_branch .LBB22_2433
.LBB22_2431:
	s_mov_b64 s[14:15], -1
                                        ; implicit-def: $vgpr2_vgpr3
	s_branch .LBB22_2436
.LBB22_2432:
	s_mov_b64 s[14:15], -1
                                        ; implicit-def: $vgpr2_vgpr3
.LBB22_2433:
	s_andn2_b64 vcc, exec, s[14:15]
	s_cbranch_vccnz .LBB22_2435
; %bb.2434:
	global_load_ushort v2, v[6:7], off
	s_waitcnt vmcnt(0)
	v_cvt_f64_u32_e32 v[2:3], v2
.LBB22_2435:
	s_mov_b64 s[14:15], 0
.LBB22_2436:
	s_andn2_b64 vcc, exec, s[14:15]
	s_cbranch_vccnz .LBB22_2444
; %bb.2437:
	global_load_ubyte v10, v[6:7], off
	s_movk_i32 s13, 0x7f
	s_mov_b64 s[14:15], 0
                                        ; implicit-def: $sgpr16_sgpr17
	s_waitcnt vmcnt(0)
	v_cmp_lt_i16_e32 vcc, s13, v10
	s_and_saveexec_b64 s[20:21], vcc
	s_xor_b64 s[20:21], exec, s[20:21]
	s_cbranch_execz .LBB22_2458
; %bb.2438:
	s_movk_i32 s13, 0x80
	v_cmp_eq_u16_e32 vcc, s13, v10
	s_mov_b64 s[22:23], -1
                                        ; implicit-def: $sgpr16_sgpr17
	s_and_saveexec_b64 s[14:15], vcc
; %bb.2439:
	s_mov_b32 s17, 0x7ff80000
	s_brev_b32 s16, 4
	s_xor_b64 s[22:23], exec, -1
; %bb.2440:
	s_or_b64 exec, exec, s[14:15]
	s_and_b64 s[14:15], s[22:23], exec
	s_or_saveexec_b64 s[20:21], s[20:21]
	v_pk_mov_b32 v[2:3], s[16:17], s[16:17] op_sel:[0,1]
	s_xor_b64 exec, exec, s[20:21]
	s_cbranch_execnz .LBB22_2459
.LBB22_2441:
	s_or_b64 exec, exec, s[20:21]
	s_and_saveexec_b64 s[16:17], s[14:15]
	s_cbranch_execz .LBB22_2443
.LBB22_2442:
	v_and_b32_e32 v3, 0xffff, v10
	v_lshlrev_b32_e32 v2, 24, v10
	v_and_b32_e32 v10, 7, v3
	v_ffbh_u32_e32 v12, v10
	v_min_u32_e32 v12, 32, v12
	v_subrev_u32_e32 v18, 28, v12
	v_bfe_u32 v11, v3, 3, 4
	v_lshlrev_b32_e32 v3, v18, v3
	v_sub_u32_e32 v12, 29, v12
	v_and_b32_e32 v3, 7, v3
	v_cmp_eq_u32_e32 vcc, 0, v11
	v_cndmask_b32_e32 v11, v11, v12, vcc
	v_cndmask_b32_e32 v3, v10, v3, vcc
	v_mov_b32_e32 v10, 0x3b800000
	v_lshlrev_b32_e32 v3, 20, v3
	v_and_b32_e32 v2, 0x80000000, v2
	v_lshl_add_u32 v10, v11, 23, v10
	v_or3_b32 v2, v2, v10, v3
	v_cvt_f64_f32_e32 v[2:3], v2
.LBB22_2443:
	s_or_b64 exec, exec, s[16:17]
.LBB22_2444:
	s_mov_b64 s[14:15], -1
.LBB22_2445:
	s_mov_b64 s[16:17], 0
.LBB22_2446:
	s_and_b64 vcc, exec, s[16:17]
	s_cbranch_vccz .LBB22_2479
; %bb.2447:
	v_mov_b32_e32 v2, 22
	v_cmp_gt_i16_sdwa s[10:11], v17, v2 src0_sel:BYTE_0 src1_sel:DWORD
	s_and_b64 vcc, exec, s[10:11]
	s_cbranch_vccz .LBB22_2457
; %bb.2448:
	v_mov_b32_e32 v2, 24
	v_cmp_lt_i16_sdwa s[10:11], v17, v2 src0_sel:BYTE_0 src1_sel:DWORD
	s_and_b64 vcc, exec, s[10:11]
	s_cbranch_vccnz .LBB22_2460
; %bb.2449:
	v_cmp_gt_i16_sdwa s[10:11], v17, v2 src0_sel:BYTE_0 src1_sel:DWORD
	s_and_b64 vcc, exec, s[10:11]
	s_cbranch_vccz .LBB22_2461
; %bb.2450:
	global_load_ubyte v10, v[6:7], off
	s_movk_i32 s10, 0x7f
                                        ; implicit-def: $sgpr14_sgpr15
	s_waitcnt vmcnt(0)
	v_cmp_lt_i16_e32 vcc, s10, v10
	s_mov_b64 s[10:11], 0
	s_and_saveexec_b64 s[16:17], vcc
	s_xor_b64 s[16:17], exec, s[16:17]
	s_cbranch_execz .LBB22_2473
; %bb.2451:
	s_movk_i32 s10, 0x80
	v_cmp_eq_u16_e32 vcc, s10, v10
	s_mov_b64 s[20:21], -1
                                        ; implicit-def: $sgpr14_sgpr15
	s_and_saveexec_b64 s[10:11], vcc
; %bb.2452:
	s_mov_b32 s15, 0x7ff80000
	s_brev_b32 s14, 4
	s_xor_b64 s[20:21], exec, -1
; %bb.2453:
	s_or_b64 exec, exec, s[10:11]
	s_and_b64 s[10:11], s[20:21], exec
	s_or_saveexec_b64 s[16:17], s[16:17]
	v_pk_mov_b32 v[2:3], s[14:15], s[14:15] op_sel:[0,1]
	s_xor_b64 exec, exec, s[16:17]
	s_cbranch_execnz .LBB22_2474
.LBB22_2454:
	s_or_b64 exec, exec, s[16:17]
	s_and_saveexec_b64 s[14:15], s[10:11]
	s_cbranch_execz .LBB22_2456
.LBB22_2455:
	v_and_b32_e32 v3, 0xffff, v10
	v_lshlrev_b32_e32 v2, 24, v10
	v_and_b32_e32 v10, 3, v3
	v_ffbh_u32_e32 v12, v10
	v_min_u32_e32 v12, 32, v12
	v_subrev_u32_e32 v18, 29, v12
	v_bfe_u32 v11, v3, 2, 5
	v_lshlrev_b32_e32 v3, v18, v3
	v_sub_u32_e32 v12, 30, v12
	v_and_b32_e32 v3, 3, v3
	v_cmp_eq_u32_e32 vcc, 0, v11
	v_cndmask_b32_e32 v11, v11, v12, vcc
	v_cndmask_b32_e32 v3, v10, v3, vcc
	v_mov_b32_e32 v10, 0x37800000
	v_lshlrev_b32_e32 v3, 21, v3
	v_and_b32_e32 v2, 0x80000000, v2
	v_lshl_add_u32 v10, v11, 23, v10
	v_or3_b32 v2, v2, v10, v3
	v_cvt_f64_f32_e32 v[2:3], v2
.LBB22_2456:
	s_or_b64 exec, exec, s[14:15]
	s_mov_b64 s[10:11], 0
	s_branch .LBB22_2462
.LBB22_2457:
	s_mov_b64 s[10:11], -1
                                        ; implicit-def: $vgpr2_vgpr3
	s_branch .LBB22_2468
.LBB22_2458:
	s_or_saveexec_b64 s[20:21], s[20:21]
	v_pk_mov_b32 v[2:3], s[16:17], s[16:17] op_sel:[0,1]
	s_xor_b64 exec, exec, s[20:21]
	s_cbranch_execz .LBB22_2441
.LBB22_2459:
	v_cmp_ne_u16_e32 vcc, 0, v10
	s_andn2_b64 s[14:15], s[14:15], exec
	s_and_b64 s[16:17], vcc, exec
	v_pk_mov_b32 v[2:3], 0, 0
	s_or_b64 s[14:15], s[14:15], s[16:17]
	s_or_b64 exec, exec, s[20:21]
	s_and_saveexec_b64 s[16:17], s[14:15]
	s_cbranch_execnz .LBB22_2442
	s_branch .LBB22_2443
.LBB22_2460:
	s_mov_b64 s[10:11], -1
                                        ; implicit-def: $vgpr2_vgpr3
	s_branch .LBB22_2465
.LBB22_2461:
	s_mov_b64 s[10:11], -1
                                        ; implicit-def: $vgpr2_vgpr3
.LBB22_2462:
	s_and_b64 vcc, exec, s[10:11]
	s_cbranch_vccz .LBB22_2464
; %bb.2463:
	global_load_ubyte v2, v[6:7], off
	s_mov_b32 s10, 0x7f800000
	s_waitcnt vmcnt(0)
	v_lshlrev_b32_e32 v2, 24, v2
	v_and_b32_e32 v3, 0x7f000000, v2
	v_ffbh_u32_e32 v10, v3
	v_min_u32_e32 v10, 32, v10
	v_sub_u32_e64 v10, v10, 4 clamp
	v_lshlrev_b32_e32 v12, v10, v3
	v_lshlrev_b32_e32 v10, 23, v10
	v_lshrrev_b32_e32 v12, 4, v12
	v_add_u32_e32 v11, 0x1000000, v3
	v_sub_u32_e32 v10, v12, v10
	v_ashrrev_i32_e32 v11, 8, v11
	v_add_u32_e32 v10, 0x3c000000, v10
	v_and_or_b32 v10, v11, s10, v10
	v_cmp_ne_u32_e32 vcc, 0, v3
	v_cndmask_b32_e32 v3, 0, v10, vcc
	s_brev_b32 s10, 1
	v_and_or_b32 v2, v2, s10, v3
	v_cvt_f64_f32_e32 v[2:3], v2
.LBB22_2464:
	s_mov_b64 s[10:11], 0
.LBB22_2465:
	s_andn2_b64 vcc, exec, s[10:11]
	s_cbranch_vccnz .LBB22_2467
; %bb.2466:
	global_load_ubyte v2, v[6:7], off
	s_movk_i32 s10, 0x7f00
	s_brev_b32 s11, 16
	s_waitcnt vmcnt(0)
	v_lshlrev_b16_e32 v3, 8, v2
	v_lshlrev_b32_e32 v2, 25, v2
	v_lshrrev_b32_e32 v10, 4, v2
	v_and_or_b32 v11, v3, s10, 0.5
	v_or_b32_e32 v10, 0x70000000, v10
	v_add_f32_e32 v11, -0.5, v11
	v_mul_f32_e32 v10, 0x7800000, v10
	v_cmp_gt_u32_e32 vcc, s11, v2
	v_bfe_i32 v3, v3, 0, 16
	v_cndmask_b32_e32 v2, v10, v11, vcc
	s_brev_b32 s10, 1
	v_and_or_b32 v2, v3, s10, v2
	v_cvt_f64_f32_e32 v[2:3], v2
.LBB22_2467:
	s_mov_b64 s[10:11], 0
	s_mov_b64 s[14:15], -1
.LBB22_2468:
	s_andn2_b64 vcc, exec, s[10:11]
	s_mov_b64 s[10:11], 0
	s_cbranch_vccnz .LBB22_2479
; %bb.2469:
	v_mov_b32_e32 v2, 14
	v_cmp_gt_i16_sdwa s[10:11], v17, v2 src0_sel:BYTE_0 src1_sel:DWORD
	s_and_b64 vcc, exec, s[10:11]
	s_cbranch_vccz .LBB22_2472
; %bb.2470:
	v_mov_b32_e32 v2, 15
	v_cmp_eq_u16_sdwa s[0:1], v17, v2 src0_sel:BYTE_0 src1_sel:DWORD
	s_and_b64 vcc, exec, s[0:1]
	s_cbranch_vccz .LBB22_2475
; %bb.2471:
	global_load_ushort v2, v[6:7], off
	s_mov_b64 s[0:1], 0
	s_mov_b64 s[14:15], -1
	s_waitcnt vmcnt(0)
	v_lshlrev_b32_e32 v2, 16, v2
	v_cvt_f64_f32_e32 v[2:3], v2
	s_branch .LBB22_2476
.LBB22_2472:
	s_mov_b64 s[16:17], -1
                                        ; implicit-def: $vgpr2_vgpr3
	s_branch .LBB22_2477
.LBB22_2473:
	s_or_saveexec_b64 s[16:17], s[16:17]
	v_pk_mov_b32 v[2:3], s[14:15], s[14:15] op_sel:[0,1]
	s_xor_b64 exec, exec, s[16:17]
	s_cbranch_execz .LBB22_2454
.LBB22_2474:
	v_cmp_ne_u16_e32 vcc, 0, v10
	s_andn2_b64 s[10:11], s[10:11], exec
	s_and_b64 s[14:15], vcc, exec
	v_pk_mov_b32 v[2:3], 0, 0
	s_or_b64 s[10:11], s[10:11], s[14:15]
	s_or_b64 exec, exec, s[16:17]
	s_and_saveexec_b64 s[14:15], s[10:11]
	s_cbranch_execnz .LBB22_2455
	s_branch .LBB22_2456
.LBB22_2475:
	s_mov_b64 s[0:1], -1
                                        ; implicit-def: $vgpr2_vgpr3
.LBB22_2476:
	s_mov_b64 s[16:17], 0
.LBB22_2477:
	s_mov_b64 s[10:11], 0
	s_and_b64 vcc, exec, s[16:17]
	s_cbranch_vccz .LBB22_2479
; %bb.2478:
	v_mov_b32_e32 v2, 11
	v_cmp_ne_u16_sdwa s[0:1], v17, v2 src0_sel:BYTE_0 src1_sel:DWORD
	s_mov_b64 s[10:11], -1
                                        ; implicit-def: $vgpr2_vgpr3
.LBB22_2479:
	s_and_b64 vcc, exec, s[0:1]
	s_cbranch_vccnz .LBB22_2544
; %bb.2480:
	s_andn2_b64 vcc, exec, s[10:11]
	s_cbranch_vccnz .LBB22_2482
.LBB22_2481:
	global_load_ubyte v3, v[6:7], off
	v_mov_b32_e32 v10, 0x3ff00000
	v_mov_b32_e32 v2, 0
	s_mov_b64 s[14:15], -1
	s_waitcnt vmcnt(0)
	v_cmp_ne_u16_e32 vcc, 0, v3
	v_cndmask_b32_e32 v3, 0, v10, vcc
.LBB22_2482:
	s_mov_b64 s[0:1], 0
.LBB22_2483:
	s_and_b64 vcc, exec, s[0:1]
	s_cbranch_vccz .LBB22_2532
; %bb.2484:
	v_mov_b32_e32 v2, 5
	v_cmp_lt_i16_sdwa s[0:1], v17, v2 src0_sel:BYTE_0 src1_sel:DWORD
	s_and_b64 vcc, exec, s[0:1]
	s_cbranch_vccnz .LBB22_2489
; %bb.2485:
	v_mov_b32_e32 v2, 8
	v_cmp_lt_i16_sdwa s[0:1], v17, v2 src0_sel:BYTE_0 src1_sel:DWORD
	s_and_b64 vcc, exec, s[0:1]
	s_cbranch_vccnz .LBB22_2490
	;; [unrolled: 5-line block ×3, first 2 shown]
; %bb.2487:
	v_cmp_gt_i16_sdwa s[0:1], v17, v2 src0_sel:BYTE_0 src1_sel:DWORD
	s_and_b64 vcc, exec, s[0:1]
	s_cbranch_vccz .LBB22_2492
; %bb.2488:
	global_load_dwordx2 v[2:3], v[6:7], off
	s_mov_b64 s[0:1], 0
	s_branch .LBB22_2493
.LBB22_2489:
	s_mov_b64 s[0:1], -1
                                        ; implicit-def: $vgpr2_vgpr3
	s_branch .LBB22_2511
.LBB22_2490:
	s_mov_b64 s[0:1], -1
                                        ; implicit-def: $vgpr2_vgpr3
	s_branch .LBB22_2499
.LBB22_2491:
	s_mov_b64 s[0:1], -1
                                        ; implicit-def: $vgpr2_vgpr3
	s_branch .LBB22_2496
.LBB22_2492:
	s_mov_b64 s[0:1], -1
                                        ; implicit-def: $vgpr2_vgpr3
.LBB22_2493:
	s_andn2_b64 vcc, exec, s[0:1]
	s_cbranch_vccnz .LBB22_2495
; %bb.2494:
	global_load_dword v2, v[6:7], off
	s_waitcnt vmcnt(0)
	v_cvt_f64_f32_e32 v[2:3], v2
.LBB22_2495:
	s_mov_b64 s[0:1], 0
.LBB22_2496:
	s_andn2_b64 vcc, exec, s[0:1]
	s_cbranch_vccnz .LBB22_2498
; %bb.2497:
	global_load_dword v2, v[6:7], off
	s_waitcnt vmcnt(0)
	v_cvt_f32_f16_e32 v2, v2
	v_cvt_f64_f32_e32 v[2:3], v2
.LBB22_2498:
	s_mov_b64 s[0:1], 0
.LBB22_2499:
	s_andn2_b64 vcc, exec, s[0:1]
	s_cbranch_vccnz .LBB22_2510
; %bb.2500:
	s_waitcnt vmcnt(0)
	v_mov_b32_e32 v2, 6
	v_cmp_lt_i16_sdwa s[0:1], v17, v2 src0_sel:BYTE_0 src1_sel:DWORD
	s_and_b64 vcc, exec, s[0:1]
	s_cbranch_vccnz .LBB22_2503
; %bb.2501:
	v_cmp_gt_i16_sdwa s[0:1], v17, v2 src0_sel:BYTE_0 src1_sel:DWORD
	s_and_b64 vcc, exec, s[0:1]
	s_cbranch_vccz .LBB22_2504
; %bb.2502:
	global_load_dwordx2 v[2:3], v[6:7], off
	s_mov_b64 s[0:1], 0
	s_branch .LBB22_2505
.LBB22_2503:
	s_mov_b64 s[0:1], -1
                                        ; implicit-def: $vgpr2_vgpr3
	s_branch .LBB22_2508
.LBB22_2504:
	s_mov_b64 s[0:1], -1
                                        ; implicit-def: $vgpr2_vgpr3
.LBB22_2505:
	s_andn2_b64 vcc, exec, s[0:1]
	s_cbranch_vccnz .LBB22_2507
; %bb.2506:
	global_load_dword v2, v[6:7], off
	s_waitcnt vmcnt(0)
	v_cvt_f64_f32_e32 v[2:3], v2
.LBB22_2507:
	s_mov_b64 s[0:1], 0
.LBB22_2508:
	s_andn2_b64 vcc, exec, s[0:1]
	s_cbranch_vccnz .LBB22_2510
; %bb.2509:
	global_load_ushort v2, v[6:7], off
	s_waitcnt vmcnt(0)
	v_cvt_f32_f16_e32 v2, v2
	v_cvt_f64_f32_e32 v[2:3], v2
.LBB22_2510:
	s_mov_b64 s[0:1], 0
.LBB22_2511:
	s_andn2_b64 vcc, exec, s[0:1]
	s_cbranch_vccnz .LBB22_2531
; %bb.2512:
	s_waitcnt vmcnt(0)
	v_mov_b32_e32 v2, 2
	v_cmp_lt_i16_sdwa s[0:1], v17, v2 src0_sel:BYTE_0 src1_sel:DWORD
	s_and_b64 vcc, exec, s[0:1]
	s_cbranch_vccnz .LBB22_2516
; %bb.2513:
	v_mov_b32_e32 v2, 3
	v_cmp_lt_i16_sdwa s[0:1], v17, v2 src0_sel:BYTE_0 src1_sel:DWORD
	s_and_b64 vcc, exec, s[0:1]
	s_cbranch_vccnz .LBB22_2517
; %bb.2514:
	v_cmp_gt_i16_sdwa s[0:1], v17, v2 src0_sel:BYTE_0 src1_sel:DWORD
	s_and_b64 vcc, exec, s[0:1]
	s_cbranch_vccz .LBB22_2518
; %bb.2515:
	global_load_dwordx2 v[2:3], v[6:7], off
	s_mov_b64 s[0:1], 0
	s_waitcnt vmcnt(0)
	v_cvt_f64_i32_e32 v[10:11], v3
	v_cvt_f64_u32_e32 v[2:3], v2
	v_ldexp_f64 v[10:11], v[10:11], 32
	v_add_f64 v[2:3], v[10:11], v[2:3]
	s_branch .LBB22_2519
.LBB22_2516:
	s_mov_b64 s[0:1], -1
                                        ; implicit-def: $vgpr2_vgpr3
	s_branch .LBB22_2525
.LBB22_2517:
	s_mov_b64 s[0:1], -1
                                        ; implicit-def: $vgpr2_vgpr3
	s_branch .LBB22_2522
.LBB22_2518:
	s_mov_b64 s[0:1], -1
                                        ; implicit-def: $vgpr2_vgpr3
.LBB22_2519:
	s_andn2_b64 vcc, exec, s[0:1]
	s_cbranch_vccnz .LBB22_2521
; %bb.2520:
	global_load_dword v2, v[6:7], off
	s_waitcnt vmcnt(0)
	v_cvt_f64_i32_e32 v[2:3], v2
.LBB22_2521:
	s_mov_b64 s[0:1], 0
.LBB22_2522:
	s_andn2_b64 vcc, exec, s[0:1]
	s_cbranch_vccnz .LBB22_2524
; %bb.2523:
	global_load_sshort v2, v[6:7], off
	s_waitcnt vmcnt(0)
	v_cvt_f64_i32_e32 v[2:3], v2
.LBB22_2524:
	s_mov_b64 s[0:1], 0
.LBB22_2525:
	s_andn2_b64 vcc, exec, s[0:1]
	s_cbranch_vccnz .LBB22_2531
; %bb.2526:
	v_mov_b32_e32 v2, 0
	v_cmp_gt_i16_sdwa s[0:1], v17, v2 src0_sel:BYTE_0 src1_sel:DWORD
	s_and_b64 vcc, exec, s[0:1]
	s_cbranch_vccz .LBB22_2528
; %bb.2527:
	global_load_sbyte v2, v[6:7], off
	s_mov_b64 s[0:1], 0
	s_waitcnt vmcnt(0)
	v_cvt_f64_i32_e32 v[2:3], v2
	s_branch .LBB22_2529
.LBB22_2528:
	s_mov_b64 s[0:1], -1
                                        ; implicit-def: $vgpr2_vgpr3
.LBB22_2529:
	s_andn2_b64 vcc, exec, s[0:1]
	s_cbranch_vccnz .LBB22_2531
; %bb.2530:
	global_load_ubyte v2, v[6:7], off
	s_waitcnt vmcnt(0)
	v_cvt_f64_u32_e32 v[2:3], v2
.LBB22_2531:
	s_mov_b64 s[14:15], -1
.LBB22_2532:
	s_andn2_b64 vcc, exec, s[14:15]
	s_cbranch_vccnz .LBB22_2682
; %bb.2533:
	v_add_u32_e32 v6, s26, v13
	v_ashrrev_i32_e32 v7, 31, v6
	v_mov_b32_e32 v10, s3
	v_add_co_u32_e32 v6, vcc, s2, v6
	v_addc_co_u32_e32 v7, vcc, v10, v7, vcc
	v_mov_b32_e32 v10, 11
	v_cmp_lt_i16_sdwa s[0:1], v16, v10 src0_sel:BYTE_0 src1_sel:DWORD
	s_and_b64 vcc, exec, s[0:1]
	s_cbranch_vccnz .LBB22_2540
; %bb.2534:
	v_mov_b32_e32 v10, 25
	v_cmp_gt_i16_sdwa s[0:1], v16, v10 src0_sel:BYTE_0 src1_sel:DWORD
	s_mov_b64 s[2:3], 0
	s_and_b64 vcc, exec, s[0:1]
	s_cbranch_vccz .LBB22_2541
; %bb.2535:
	v_mov_b32_e32 v10, 28
	v_cmp_gt_i16_sdwa s[0:1], v16, v10 src0_sel:BYTE_0 src1_sel:DWORD
	s_and_b64 vcc, exec, s[0:1]
	s_cbranch_vccz .LBB22_2542
; %bb.2536:
	v_mov_b32_e32 v10, 43
	v_cmp_gt_i16_sdwa s[0:1], v16, v10 src0_sel:BYTE_0 src1_sel:DWORD
	;; [unrolled: 5-line block ×3, first 2 shown]
	s_and_b64 vcc, exec, s[0:1]
	s_cbranch_vccz .LBB22_2545
; %bb.2538:
	v_mov_b32_e32 v10, 46
	v_cmp_eq_u16_sdwa s[0:1], v16, v10 src0_sel:BYTE_0 src1_sel:DWORD
	s_mov_b64 s[14:15], 0
	s_and_b64 vcc, exec, s[0:1]
	s_cbranch_vccz .LBB22_2546
; %bb.2539:
	global_load_dword v10, v[6:7], off
	s_mov_b64 s[0:1], 0
	s_mov_b64 s[10:11], -1
	s_waitcnt vmcnt(0)
	v_lshlrev_b32_e32 v10, 16, v10
	v_cvt_f64_f32_e32 v[10:11], v10
	s_branch .LBB22_2547
.LBB22_2540:
	s_mov_b64 s[0:1], -1
	s_mov_b64 s[10:11], 0
                                        ; implicit-def: $vgpr10_vgpr11
	s_branch .LBB22_2613
.LBB22_2541:
	s_mov_b64 s[14:15], -1
	s_mov_b64 s[10:11], 0
	s_mov_b64 s[0:1], 0
                                        ; implicit-def: $vgpr10_vgpr11
	s_branch .LBB22_2576
.LBB22_2542:
	s_mov_b64 s[14:15], -1
	s_mov_b64 s[10:11], 0
	s_mov_b64 s[0:1], 0
                                        ; implicit-def: $vgpr10_vgpr11
	s_branch .LBB22_2557
.LBB22_2543:
	s_mov_b64 s[14:15], -1
	s_mov_b64 s[10:11], 0
	s_mov_b64 s[0:1], 0
                                        ; implicit-def: $vgpr10_vgpr11
	s_branch .LBB22_2552
.LBB22_2544:
	s_trap 2
	s_or_b64 s[18:19], s[18:19], exec
                                        ; implicit-def: $vgpr2_vgpr3
	s_cbranch_execz .LBB22_2481
	s_branch .LBB22_2482
.LBB22_2545:
	s_mov_b64 s[14:15], -1
	s_mov_b64 s[10:11], 0
	s_mov_b64 s[0:1], 0
                                        ; implicit-def: $vgpr10_vgpr11
	s_branch .LBB22_2547
.LBB22_2546:
	s_mov_b64 s[0:1], -1
                                        ; implicit-def: $vgpr10_vgpr11
	s_mov_b64 s[10:11], 0
.LBB22_2547:
	s_and_b64 vcc, exec, s[14:15]
	s_cbranch_vccz .LBB22_2551
; %bb.2548:
	v_mov_b32_e32 v10, 44
	v_cmp_eq_u16_sdwa s[0:1], v16, v10 src0_sel:BYTE_0 src1_sel:DWORD
	s_and_b64 vcc, exec, s[0:1]
	s_cbranch_vccz .LBB22_2550
; %bb.2549:
	global_load_ubyte v12, v[6:7], off
	s_movk_i32 s10, 0xff
	v_bfrev_b32_e32 v13, 4
	v_mov_b32_e32 v17, 0x7ff80000
	v_bfrev_b32_e32 v18, 28
	s_mov_b64 s[0:1], 0
	s_waitcnt vmcnt(0)
	v_lshlrev_b32_e32 v10, 23, v12
	v_cvt_f64_f32_e32 v[10:11], v10
	v_cmp_ne_u32_e32 vcc, s10, v12
	v_cndmask_b32_e32 v10, v13, v10, vcc
	v_cndmask_b32_e32 v11, v17, v11, vcc
	v_cmp_ne_u32_e32 vcc, 0, v12
	v_cndmask_b32_e32 v11, v18, v11, vcc
	v_cndmask_b32_e32 v10, 0, v10, vcc
	s_mov_b64 s[10:11], -1
	s_branch .LBB22_2551
.LBB22_2550:
	s_mov_b64 s[0:1], -1
                                        ; implicit-def: $vgpr10_vgpr11
.LBB22_2551:
	s_mov_b64 s[14:15], 0
.LBB22_2552:
	s_and_b64 vcc, exec, s[14:15]
	s_cbranch_vccz .LBB22_2556
; %bb.2553:
	v_mov_b32_e32 v10, 29
	v_cmp_eq_u16_sdwa s[0:1], v16, v10 src0_sel:BYTE_0 src1_sel:DWORD
	s_and_b64 vcc, exec, s[0:1]
	s_cbranch_vccz .LBB22_2555
; %bb.2554:
	global_load_dwordx2 v[10:11], v[6:7], off
	s_mov_b64 s[0:1], 0
	s_mov_b64 s[10:11], -1
	s_mov_b64 s[14:15], 0
	s_waitcnt vmcnt(0)
	v_cvt_f64_u32_e32 v[12:13], v11
	v_cvt_f64_u32_e32 v[10:11], v10
	v_ldexp_f64 v[12:13], v[12:13], 32
	v_add_f64 v[10:11], v[12:13], v[10:11]
	s_branch .LBB22_2557
.LBB22_2555:
	s_mov_b64 s[0:1], -1
                                        ; implicit-def: $vgpr10_vgpr11
.LBB22_2556:
	s_mov_b64 s[14:15], 0
.LBB22_2557:
	s_and_b64 vcc, exec, s[14:15]
	s_cbranch_vccz .LBB22_2575
; %bb.2558:
	v_mov_b32_e32 v10, 27
	v_cmp_lt_i16_sdwa s[10:11], v16, v10 src0_sel:BYTE_0 src1_sel:DWORD
	s_and_b64 vcc, exec, s[10:11]
	s_cbranch_vccnz .LBB22_2561
; %bb.2559:
	v_cmp_gt_i16_sdwa s[10:11], v16, v10 src0_sel:BYTE_0 src1_sel:DWORD
	s_and_b64 vcc, exec, s[10:11]
	s_cbranch_vccz .LBB22_2562
; %bb.2560:
	global_load_dword v10, v[6:7], off
	s_mov_b64 s[10:11], 0
	s_waitcnt vmcnt(0)
	v_cvt_f64_u32_e32 v[10:11], v10
	s_branch .LBB22_2563
.LBB22_2561:
	s_mov_b64 s[10:11], -1
                                        ; implicit-def: $vgpr10_vgpr11
	s_branch .LBB22_2566
.LBB22_2562:
	s_mov_b64 s[10:11], -1
                                        ; implicit-def: $vgpr10_vgpr11
.LBB22_2563:
	s_andn2_b64 vcc, exec, s[10:11]
	s_cbranch_vccnz .LBB22_2565
; %bb.2564:
	global_load_ushort v10, v[6:7], off
	s_waitcnt vmcnt(0)
	v_cvt_f64_u32_e32 v[10:11], v10
.LBB22_2565:
	s_mov_b64 s[10:11], 0
.LBB22_2566:
	s_andn2_b64 vcc, exec, s[10:11]
	s_cbranch_vccnz .LBB22_2574
; %bb.2567:
	global_load_ubyte v12, v[6:7], off
	s_movk_i32 s10, 0x7f
                                        ; implicit-def: $sgpr14_sgpr15
	s_waitcnt vmcnt(0)
	v_cmp_lt_i16_e32 vcc, s10, v12
	s_mov_b64 s[10:11], 0
	s_and_saveexec_b64 s[16:17], vcc
	s_xor_b64 s[16:17], exec, s[16:17]
	s_cbranch_execz .LBB22_2588
; %bb.2568:
	s_movk_i32 s10, 0x80
	v_cmp_eq_u16_e32 vcc, s10, v12
	s_mov_b64 s[20:21], -1
                                        ; implicit-def: $sgpr14_sgpr15
	s_and_saveexec_b64 s[10:11], vcc
; %bb.2569:
	s_mov_b32 s15, 0x7ff80000
	s_brev_b32 s14, 4
	s_xor_b64 s[20:21], exec, -1
; %bb.2570:
	s_or_b64 exec, exec, s[10:11]
	s_and_b64 s[10:11], s[20:21], exec
	s_or_saveexec_b64 s[16:17], s[16:17]
	v_pk_mov_b32 v[10:11], s[14:15], s[14:15] op_sel:[0,1]
	s_xor_b64 exec, exec, s[16:17]
	s_cbranch_execnz .LBB22_2589
.LBB22_2571:
	s_or_b64 exec, exec, s[16:17]
	s_and_saveexec_b64 s[14:15], s[10:11]
	s_cbranch_execz .LBB22_2573
.LBB22_2572:
	v_and_b32_e32 v11, 0xffff, v12
	v_lshlrev_b32_e32 v10, 24, v12
	v_and_b32_e32 v12, 7, v11
	v_ffbh_u32_e32 v17, v12
	v_min_u32_e32 v17, 32, v17
	v_subrev_u32_e32 v18, 28, v17
	v_bfe_u32 v13, v11, 3, 4
	v_lshlrev_b32_e32 v11, v18, v11
	v_sub_u32_e32 v17, 29, v17
	v_and_b32_e32 v11, 7, v11
	v_cmp_eq_u32_e32 vcc, 0, v13
	v_cndmask_b32_e32 v13, v13, v17, vcc
	v_cndmask_b32_e32 v11, v12, v11, vcc
	v_mov_b32_e32 v12, 0x3b800000
	v_lshlrev_b32_e32 v11, 20, v11
	v_and_b32_e32 v10, 0x80000000, v10
	v_lshl_add_u32 v12, v13, 23, v12
	v_or3_b32 v10, v10, v12, v11
	v_cvt_f64_f32_e32 v[10:11], v10
.LBB22_2573:
	s_or_b64 exec, exec, s[14:15]
.LBB22_2574:
	s_mov_b64 s[10:11], -1
.LBB22_2575:
	s_mov_b64 s[14:15], 0
.LBB22_2576:
	s_and_b64 vcc, exec, s[14:15]
	s_cbranch_vccz .LBB22_2609
; %bb.2577:
	v_mov_b32_e32 v10, 22
	v_cmp_gt_i16_sdwa s[2:3], v16, v10 src0_sel:BYTE_0 src1_sel:DWORD
	s_and_b64 vcc, exec, s[2:3]
	s_cbranch_vccz .LBB22_2587
; %bb.2578:
	v_mov_b32_e32 v10, 24
	v_cmp_lt_i16_sdwa s[2:3], v16, v10 src0_sel:BYTE_0 src1_sel:DWORD
	s_and_b64 vcc, exec, s[2:3]
	s_cbranch_vccnz .LBB22_2590
; %bb.2579:
	v_cmp_gt_i16_sdwa s[2:3], v16, v10 src0_sel:BYTE_0 src1_sel:DWORD
	s_and_b64 vcc, exec, s[2:3]
	s_cbranch_vccz .LBB22_2591
; %bb.2580:
	global_load_ubyte v12, v[6:7], off
	s_movk_i32 s2, 0x7f
                                        ; implicit-def: $sgpr10_sgpr11
	s_waitcnt vmcnt(0)
	v_cmp_lt_i16_e32 vcc, s2, v12
	s_mov_b64 s[2:3], 0
	s_and_saveexec_b64 s[14:15], vcc
	s_xor_b64 s[14:15], exec, s[14:15]
	s_cbranch_execz .LBB22_2603
; %bb.2581:
	s_movk_i32 s2, 0x80
	v_cmp_eq_u16_e32 vcc, s2, v12
	s_mov_b64 s[16:17], -1
                                        ; implicit-def: $sgpr10_sgpr11
	s_and_saveexec_b64 s[2:3], vcc
; %bb.2582:
	s_mov_b32 s11, 0x7ff80000
	s_brev_b32 s10, 4
	s_xor_b64 s[16:17], exec, -1
; %bb.2583:
	s_or_b64 exec, exec, s[2:3]
	s_and_b64 s[2:3], s[16:17], exec
	s_or_saveexec_b64 s[14:15], s[14:15]
	v_pk_mov_b32 v[10:11], s[10:11], s[10:11] op_sel:[0,1]
	s_xor_b64 exec, exec, s[14:15]
	s_cbranch_execnz .LBB22_2604
.LBB22_2584:
	s_or_b64 exec, exec, s[14:15]
	s_and_saveexec_b64 s[10:11], s[2:3]
	s_cbranch_execz .LBB22_2586
.LBB22_2585:
	v_and_b32_e32 v11, 0xffff, v12
	v_lshlrev_b32_e32 v10, 24, v12
	v_and_b32_e32 v12, 3, v11
	v_ffbh_u32_e32 v17, v12
	v_min_u32_e32 v17, 32, v17
	v_subrev_u32_e32 v18, 29, v17
	v_bfe_u32 v13, v11, 2, 5
	v_lshlrev_b32_e32 v11, v18, v11
	v_sub_u32_e32 v17, 30, v17
	v_and_b32_e32 v11, 3, v11
	v_cmp_eq_u32_e32 vcc, 0, v13
	v_cndmask_b32_e32 v13, v13, v17, vcc
	v_cndmask_b32_e32 v11, v12, v11, vcc
	v_mov_b32_e32 v12, 0x37800000
	v_lshlrev_b32_e32 v11, 21, v11
	v_and_b32_e32 v10, 0x80000000, v10
	v_lshl_add_u32 v12, v13, 23, v12
	v_or3_b32 v10, v10, v12, v11
	v_cvt_f64_f32_e32 v[10:11], v10
.LBB22_2586:
	s_or_b64 exec, exec, s[10:11]
	s_mov_b64 s[2:3], 0
	s_branch .LBB22_2592
.LBB22_2587:
	s_mov_b64 s[2:3], -1
                                        ; implicit-def: $vgpr10_vgpr11
	s_branch .LBB22_2598
.LBB22_2588:
	s_or_saveexec_b64 s[16:17], s[16:17]
	v_pk_mov_b32 v[10:11], s[14:15], s[14:15] op_sel:[0,1]
	s_xor_b64 exec, exec, s[16:17]
	s_cbranch_execz .LBB22_2571
.LBB22_2589:
	v_cmp_ne_u16_e32 vcc, 0, v12
	s_andn2_b64 s[10:11], s[10:11], exec
	s_and_b64 s[14:15], vcc, exec
	v_pk_mov_b32 v[10:11], 0, 0
	s_or_b64 s[10:11], s[10:11], s[14:15]
	s_or_b64 exec, exec, s[16:17]
	s_and_saveexec_b64 s[14:15], s[10:11]
	s_cbranch_execnz .LBB22_2572
	s_branch .LBB22_2573
.LBB22_2590:
	s_mov_b64 s[2:3], -1
                                        ; implicit-def: $vgpr10_vgpr11
	s_branch .LBB22_2595
.LBB22_2591:
	s_mov_b64 s[2:3], -1
                                        ; implicit-def: $vgpr10_vgpr11
.LBB22_2592:
	s_and_b64 vcc, exec, s[2:3]
	s_cbranch_vccz .LBB22_2594
; %bb.2593:
	global_load_ubyte v10, v[6:7], off
	s_mov_b32 s2, 0x7f800000
	s_waitcnt vmcnt(0)
	v_lshlrev_b32_e32 v10, 24, v10
	v_and_b32_e32 v11, 0x7f000000, v10
	v_ffbh_u32_e32 v12, v11
	v_min_u32_e32 v12, 32, v12
	v_sub_u32_e64 v12, v12, 4 clamp
	v_lshlrev_b32_e32 v17, v12, v11
	v_lshlrev_b32_e32 v12, 23, v12
	v_lshrrev_b32_e32 v17, 4, v17
	v_add_u32_e32 v13, 0x1000000, v11
	v_sub_u32_e32 v12, v17, v12
	v_ashrrev_i32_e32 v13, 8, v13
	v_add_u32_e32 v12, 0x3c000000, v12
	v_and_or_b32 v12, v13, s2, v12
	v_cmp_ne_u32_e32 vcc, 0, v11
	v_cndmask_b32_e32 v11, 0, v12, vcc
	s_brev_b32 s2, 1
	v_and_or_b32 v10, v10, s2, v11
	v_cvt_f64_f32_e32 v[10:11], v10
.LBB22_2594:
	s_mov_b64 s[2:3], 0
.LBB22_2595:
	s_andn2_b64 vcc, exec, s[2:3]
	s_cbranch_vccnz .LBB22_2597
; %bb.2596:
	global_load_ubyte v10, v[6:7], off
	s_movk_i32 s2, 0x7f00
	s_brev_b32 s3, 16
	s_waitcnt vmcnt(0)
	v_lshlrev_b16_e32 v11, 8, v10
	v_lshlrev_b32_e32 v10, 25, v10
	v_lshrrev_b32_e32 v12, 4, v10
	v_and_or_b32 v13, v11, s2, 0.5
	v_or_b32_e32 v12, 0x70000000, v12
	v_add_f32_e32 v13, -0.5, v13
	v_mul_f32_e32 v12, 0x7800000, v12
	v_cmp_gt_u32_e32 vcc, s3, v10
	v_bfe_i32 v11, v11, 0, 16
	v_cndmask_b32_e32 v10, v12, v13, vcc
	s_brev_b32 s2, 1
	v_and_or_b32 v10, v11, s2, v10
	v_cvt_f64_f32_e32 v[10:11], v10
.LBB22_2597:
	s_mov_b64 s[2:3], 0
	s_mov_b64 s[10:11], -1
.LBB22_2598:
	s_andn2_b64 vcc, exec, s[2:3]
	s_mov_b64 s[2:3], 0
	s_cbranch_vccnz .LBB22_2609
; %bb.2599:
	v_mov_b32_e32 v10, 14
	v_cmp_gt_i16_sdwa s[2:3], v16, v10 src0_sel:BYTE_0 src1_sel:DWORD
	s_and_b64 vcc, exec, s[2:3]
	s_cbranch_vccz .LBB22_2602
; %bb.2600:
	v_mov_b32_e32 v10, 15
	v_cmp_eq_u16_sdwa s[0:1], v16, v10 src0_sel:BYTE_0 src1_sel:DWORD
	s_and_b64 vcc, exec, s[0:1]
	s_cbranch_vccz .LBB22_2605
; %bb.2601:
	global_load_ushort v10, v[6:7], off
	s_mov_b64 s[0:1], 0
	s_mov_b64 s[10:11], -1
	s_waitcnt vmcnt(0)
	v_lshlrev_b32_e32 v10, 16, v10
	v_cvt_f64_f32_e32 v[10:11], v10
	s_branch .LBB22_2606
.LBB22_2602:
	s_mov_b64 s[14:15], -1
                                        ; implicit-def: $vgpr10_vgpr11
	s_branch .LBB22_2607
.LBB22_2603:
	s_or_saveexec_b64 s[14:15], s[14:15]
	v_pk_mov_b32 v[10:11], s[10:11], s[10:11] op_sel:[0,1]
	s_xor_b64 exec, exec, s[14:15]
	s_cbranch_execz .LBB22_2584
.LBB22_2604:
	v_cmp_ne_u16_e32 vcc, 0, v12
	s_andn2_b64 s[2:3], s[2:3], exec
	s_and_b64 s[10:11], vcc, exec
	v_pk_mov_b32 v[10:11], 0, 0
	s_or_b64 s[2:3], s[2:3], s[10:11]
	s_or_b64 exec, exec, s[14:15]
	s_and_saveexec_b64 s[10:11], s[2:3]
	s_cbranch_execnz .LBB22_2585
	s_branch .LBB22_2586
.LBB22_2605:
	s_mov_b64 s[0:1], -1
                                        ; implicit-def: $vgpr10_vgpr11
.LBB22_2606:
	s_mov_b64 s[14:15], 0
.LBB22_2607:
	s_mov_b64 s[2:3], 0
	s_and_b64 vcc, exec, s[14:15]
	s_cbranch_vccz .LBB22_2609
; %bb.2608:
	v_mov_b32_e32 v10, 11
	v_cmp_ne_u16_sdwa s[0:1], v16, v10 src0_sel:BYTE_0 src1_sel:DWORD
	s_mov_b64 s[2:3], -1
                                        ; implicit-def: $vgpr10_vgpr11
.LBB22_2609:
	s_and_b64 vcc, exec, s[0:1]
	s_cbranch_vccnz .LBB22_2731
; %bb.2610:
	s_andn2_b64 vcc, exec, s[2:3]
	s_cbranch_vccnz .LBB22_2612
.LBB22_2611:
	global_load_ubyte v11, v[6:7], off
	v_mov_b32_e32 v12, 0x3ff00000
	v_mov_b32_e32 v10, 0
	s_mov_b64 s[10:11], -1
	s_waitcnt vmcnt(0)
	v_cmp_ne_u16_e32 vcc, 0, v11
	v_cndmask_b32_e32 v11, 0, v12, vcc
.LBB22_2612:
	s_mov_b64 s[0:1], 0
.LBB22_2613:
	s_and_b64 vcc, exec, s[0:1]
	s_cbranch_vccz .LBB22_2662
; %bb.2614:
	v_mov_b32_e32 v10, 5
	v_cmp_lt_i16_sdwa s[0:1], v16, v10 src0_sel:BYTE_0 src1_sel:DWORD
	s_and_b64 vcc, exec, s[0:1]
	s_cbranch_vccnz .LBB22_2619
; %bb.2615:
	v_mov_b32_e32 v10, 8
	v_cmp_lt_i16_sdwa s[0:1], v16, v10 src0_sel:BYTE_0 src1_sel:DWORD
	s_and_b64 vcc, exec, s[0:1]
	s_cbranch_vccnz .LBB22_2620
	;; [unrolled: 5-line block ×3, first 2 shown]
; %bb.2617:
	v_cmp_gt_i16_sdwa s[0:1], v16, v10 src0_sel:BYTE_0 src1_sel:DWORD
	s_and_b64 vcc, exec, s[0:1]
	s_cbranch_vccz .LBB22_2622
; %bb.2618:
	global_load_dwordx2 v[10:11], v[6:7], off
	s_mov_b64 s[0:1], 0
	s_branch .LBB22_2623
.LBB22_2619:
	s_mov_b64 s[0:1], -1
                                        ; implicit-def: $vgpr10_vgpr11
	s_branch .LBB22_2641
.LBB22_2620:
	s_mov_b64 s[0:1], -1
                                        ; implicit-def: $vgpr10_vgpr11
	s_branch .LBB22_2629
.LBB22_2621:
	s_mov_b64 s[0:1], -1
                                        ; implicit-def: $vgpr10_vgpr11
	s_branch .LBB22_2626
.LBB22_2622:
	s_mov_b64 s[0:1], -1
                                        ; implicit-def: $vgpr10_vgpr11
.LBB22_2623:
	s_andn2_b64 vcc, exec, s[0:1]
	s_cbranch_vccnz .LBB22_2625
; %bb.2624:
	global_load_dword v10, v[6:7], off
	s_waitcnt vmcnt(0)
	v_cvt_f64_f32_e32 v[10:11], v10
.LBB22_2625:
	s_mov_b64 s[0:1], 0
.LBB22_2626:
	s_andn2_b64 vcc, exec, s[0:1]
	s_cbranch_vccnz .LBB22_2628
; %bb.2627:
	global_load_dword v10, v[6:7], off
	s_waitcnt vmcnt(0)
	v_cvt_f32_f16_e32 v10, v10
	v_cvt_f64_f32_e32 v[10:11], v10
.LBB22_2628:
	s_mov_b64 s[0:1], 0
.LBB22_2629:
	s_andn2_b64 vcc, exec, s[0:1]
	s_cbranch_vccnz .LBB22_2640
; %bb.2630:
	s_waitcnt vmcnt(0)
	v_mov_b32_e32 v10, 6
	v_cmp_lt_i16_sdwa s[0:1], v16, v10 src0_sel:BYTE_0 src1_sel:DWORD
	s_and_b64 vcc, exec, s[0:1]
	s_cbranch_vccnz .LBB22_2633
; %bb.2631:
	v_cmp_gt_i16_sdwa s[0:1], v16, v10 src0_sel:BYTE_0 src1_sel:DWORD
	s_and_b64 vcc, exec, s[0:1]
	s_cbranch_vccz .LBB22_2634
; %bb.2632:
	global_load_dwordx2 v[10:11], v[6:7], off
	s_mov_b64 s[0:1], 0
	s_branch .LBB22_2635
.LBB22_2633:
	s_mov_b64 s[0:1], -1
                                        ; implicit-def: $vgpr10_vgpr11
	s_branch .LBB22_2638
.LBB22_2634:
	s_mov_b64 s[0:1], -1
                                        ; implicit-def: $vgpr10_vgpr11
.LBB22_2635:
	s_andn2_b64 vcc, exec, s[0:1]
	s_cbranch_vccnz .LBB22_2637
; %bb.2636:
	global_load_dword v10, v[6:7], off
	s_waitcnt vmcnt(0)
	v_cvt_f64_f32_e32 v[10:11], v10
.LBB22_2637:
	s_mov_b64 s[0:1], 0
.LBB22_2638:
	s_andn2_b64 vcc, exec, s[0:1]
	s_cbranch_vccnz .LBB22_2640
; %bb.2639:
	global_load_ushort v10, v[6:7], off
	s_waitcnt vmcnt(0)
	v_cvt_f32_f16_e32 v10, v10
	v_cvt_f64_f32_e32 v[10:11], v10
.LBB22_2640:
	s_mov_b64 s[0:1], 0
.LBB22_2641:
	s_andn2_b64 vcc, exec, s[0:1]
	s_cbranch_vccnz .LBB22_2661
; %bb.2642:
	s_waitcnt vmcnt(0)
	v_mov_b32_e32 v10, 2
	v_cmp_lt_i16_sdwa s[0:1], v16, v10 src0_sel:BYTE_0 src1_sel:DWORD
	s_and_b64 vcc, exec, s[0:1]
	s_cbranch_vccnz .LBB22_2646
; %bb.2643:
	v_mov_b32_e32 v10, 3
	v_cmp_lt_i16_sdwa s[0:1], v16, v10 src0_sel:BYTE_0 src1_sel:DWORD
	s_and_b64 vcc, exec, s[0:1]
	s_cbranch_vccnz .LBB22_2647
; %bb.2644:
	v_cmp_gt_i16_sdwa s[0:1], v16, v10 src0_sel:BYTE_0 src1_sel:DWORD
	s_and_b64 vcc, exec, s[0:1]
	s_cbranch_vccz .LBB22_2648
; %bb.2645:
	global_load_dwordx2 v[10:11], v[6:7], off
	s_mov_b64 s[0:1], 0
	s_waitcnt vmcnt(0)
	v_cvt_f64_i32_e32 v[12:13], v11
	v_cvt_f64_u32_e32 v[10:11], v10
	v_ldexp_f64 v[12:13], v[12:13], 32
	v_add_f64 v[10:11], v[12:13], v[10:11]
	s_branch .LBB22_2649
.LBB22_2646:
	s_mov_b64 s[0:1], -1
                                        ; implicit-def: $vgpr10_vgpr11
	s_branch .LBB22_2655
.LBB22_2647:
	s_mov_b64 s[0:1], -1
                                        ; implicit-def: $vgpr10_vgpr11
	s_branch .LBB22_2652
.LBB22_2648:
	s_mov_b64 s[0:1], -1
                                        ; implicit-def: $vgpr10_vgpr11
.LBB22_2649:
	s_andn2_b64 vcc, exec, s[0:1]
	s_cbranch_vccnz .LBB22_2651
; %bb.2650:
	global_load_dword v10, v[6:7], off
	s_waitcnt vmcnt(0)
	v_cvt_f64_i32_e32 v[10:11], v10
.LBB22_2651:
	s_mov_b64 s[0:1], 0
.LBB22_2652:
	s_andn2_b64 vcc, exec, s[0:1]
	s_cbranch_vccnz .LBB22_2654
; %bb.2653:
	global_load_sshort v10, v[6:7], off
	s_waitcnt vmcnt(0)
	v_cvt_f64_i32_e32 v[10:11], v10
.LBB22_2654:
	s_mov_b64 s[0:1], 0
.LBB22_2655:
	s_andn2_b64 vcc, exec, s[0:1]
	s_cbranch_vccnz .LBB22_2661
; %bb.2656:
	v_mov_b32_e32 v10, 0
	v_cmp_gt_i16_sdwa s[0:1], v16, v10 src0_sel:BYTE_0 src1_sel:DWORD
	s_and_b64 vcc, exec, s[0:1]
	s_cbranch_vccz .LBB22_2658
; %bb.2657:
	global_load_sbyte v10, v[6:7], off
	s_mov_b64 s[0:1], 0
	s_waitcnt vmcnt(0)
	v_cvt_f64_i32_e32 v[10:11], v10
	s_branch .LBB22_2659
.LBB22_2658:
	s_mov_b64 s[0:1], -1
                                        ; implicit-def: $vgpr10_vgpr11
.LBB22_2659:
	s_andn2_b64 vcc, exec, s[0:1]
	s_cbranch_vccnz .LBB22_2661
; %bb.2660:
	global_load_ubyte v6, v[6:7], off
	s_waitcnt vmcnt(0)
	v_cvt_f64_u32_e32 v[10:11], v6
.LBB22_2661:
	s_mov_b64 s[10:11], -1
.LBB22_2662:
	s_andn2_b64 vcc, exec, s[10:11]
	s_cbranch_vccnz .LBB22_2682
; %bb.2663:
	s_waitcnt vmcnt(0)
	v_trunc_f64_e32 v[10:11], v[10:11]
	s_movk_i32 s0, 0xffe0
	v_ldexp_f64 v[6:7], v[10:11], s0
	v_floor_f64_e32 v[12:13], v[6:7]
	v_fmac_f64_e32 v[10:11], 0xc1f00000, v[12:13]
	v_cvt_i32_f64_e32 v7, v[12:13]
	v_cvt_u32_f64_e32 v6, v[10:11]
	v_cmp_lt_i64_e32 vcc, -1, v[6:7]
	v_pk_mov_b32 v[12:13], 0, 0
	s_and_saveexec_b64 s[0:1], vcc
	s_cbranch_execz .LBB22_2675
; %bb.2664:
	v_mov_b32_e32 v12, 0
	v_cmp_lt_i64_e32 vcc, 0, v[6:7]
	v_mov_b32_e32 v13, 0x3ff00000
	s_and_saveexec_b64 s[2:3], vcc
	s_cbranch_execz .LBB22_2674
; %bb.2665:
	v_cmp_ne_u64_e32 vcc, 1, v[6:7]
                                        ; implicit-def: $vgpr12_vgpr13
	s_and_saveexec_b64 s[10:11], vcc
	s_xor_b64 s[10:11], exec, s[10:11]
	s_cbranch_execz .LBB22_2671
; %bb.2666:
	s_mov_b64 s[14:15], 0x201
	v_mov_b32_e32 v12, 0
	v_cmp_gt_u64_e32 vcc, s[14:15], v[6:7]
	v_mov_b32_e32 v13, 0x7ff80000
	s_and_saveexec_b64 s[14:15], vcc
	s_cbranch_execz .LBB22_2670
; %bb.2667:
	v_mov_b32_e32 v10, 0
	s_mov_b64 s[20:21], 1
	s_mov_b64 s[16:17], 0
	v_mov_b32_e32 v11, 0x3ff00000
	v_pk_mov_b32 v[12:13], v[2:3], v[2:3] op_sel:[0,1]
.LBB22_2668:                            ; =>This Inner Loop Header: Depth=1
	v_cvt_f64_u32_e32 v[16:17], s21
	v_cvt_f64_u32_e32 v[18:19], s20
	s_add_u32 s20, s20, 1
	v_ldexp_f64 v[16:17], v[16:17], 32
	s_addc_u32 s21, s21, 0
	v_add_f64 v[16:17], v[16:17], v[18:19]
	v_cmp_eq_u64_e32 vcc, s[20:21], v[6:7]
	v_mul_f64 v[16:17], v[10:11], v[16:17]
	s_or_b64 s[16:17], vcc, s[16:17]
	v_pk_mov_b32 v[10:11], v[12:13], v[12:13] op_sel:[0,1]
	v_fma_f64 v[12:13], v[2:3], v[12:13], -v[16:17]
	s_andn2_b64 exec, exec, s[16:17]
	s_cbranch_execnz .LBB22_2668
; %bb.2669:
	s_or_b64 exec, exec, s[16:17]
.LBB22_2670:
	s_or_b64 exec, exec, s[14:15]
                                        ; implicit-def: $vgpr2_vgpr3
.LBB22_2671:
	s_andn2_saveexec_b64 s[10:11], s[10:11]
; %bb.2672:
	v_pk_mov_b32 v[12:13], v[2:3], v[2:3] op_sel:[0,1]
; %bb.2673:
	s_or_b64 exec, exec, s[10:11]
.LBB22_2674:
	s_or_b64 exec, exec, s[2:3]
.LBB22_2675:
	s_or_b64 exec, exec, s[0:1]
	v_mul_lo_u32 v10, s12, v15
	v_ashrrev_i32_e32 v2, 31, v10
	v_mov_b32_e32 v3, s9
	v_add_co_u32_e32 v6, vcc, s8, v10
	v_addc_co_u32_e32 v7, vcc, v3, v2, vcc
	v_mov_b32_e32 v2, 11
	v_cmp_lt_i16_sdwa s[0:1], v14, v2 src0_sel:BYTE_0 src1_sel:DWORD
	s_and_b64 vcc, exec, s[0:1]
	s_cbranch_vccnz .LBB22_2728
; %bb.2676:
	v_mov_b32_e32 v2, 25
	v_cmp_gt_i16_sdwa s[0:1], v14, v2 src0_sel:BYTE_0 src1_sel:DWORD
	s_mov_b64 s[14:15], -1
	s_mov_b64 s[2:3], 0
	s_and_b64 vcc, exec, s[0:1]
	s_mov_b64 s[10:11], 0
	s_mov_b64 s[0:1], 0
	s_cbranch_vccz .LBB22_2760
; %bb.2677:
	v_mov_b32_e32 v2, 28
	v_cmp_gt_i16_sdwa s[0:1], v14, v2 src0_sel:BYTE_0 src1_sel:DWORD
	s_and_b64 vcc, exec, s[0:1]
	s_cbranch_vccz .LBB22_2729
; %bb.2678:
	v_mov_b32_e32 v2, 43
	v_cmp_gt_i16_sdwa s[0:1], v14, v2 src0_sel:BYTE_0 src1_sel:DWORD
	s_and_b64 vcc, exec, s[0:1]
	;; [unrolled: 5-line block ×3, first 2 shown]
	s_cbranch_vccz .LBB22_2732
; %bb.2680:
	v_mov_b32_e32 v2, 46
	v_cmp_eq_u16_sdwa s[10:11], v14, v2 src0_sel:BYTE_0 src1_sel:DWORD
	s_mov_b64 s[0:1], -1
	s_mov_b64 s[14:15], 0
	s_and_b64 vcc, exec, s[10:11]
	s_mov_b64 s[10:11], 0
	s_cbranch_vccz .LBB22_2733
; %bb.2681:
	v_cvt_f32_f64_e32 v2, v[0:1]
	v_bfe_u32 v3, v2, 16, 1
	s_movk_i32 s0, 0x7fff
	v_add3_u32 v3, v2, v3, s0
	v_lshrrev_b32_e32 v3, 16, v3
	v_mov_b32_e32 v11, 0x7fc0
	v_cmp_o_f32_e32 vcc, v2, v2
	v_cndmask_b32_e32 v2, v11, v3, vcc
	global_store_dword v[6:7], v2, off
	s_mov_b64 s[0:1], 0
	s_mov_b64 s[10:11], -1
	s_branch .LBB22_2733
.LBB22_2682:
	s_mov_b64 s[0:1], 0
                                        ; implicit-def: $vgpr2
                                        ; implicit-def: $vgpr0_vgpr1
                                        ; implicit-def: $vgpr12_vgpr13
.LBB22_2683:
	s_mov_b64 s[2:3], 0
.LBB22_2684:
	s_and_b64 s[16:17], s[2:3], exec
	s_andn2_b64 s[2:3], s[6:7], exec
	s_and_b64 s[6:7], s[18:19], exec
	s_and_b64 s[0:1], s[0:1], exec
	s_or_b64 s[6:7], s[2:3], s[6:7]
.LBB22_2685:
	s_or_b64 exec, exec, s[4:5]
	s_and_saveexec_b64 s[2:3], s[6:7]
	s_cbranch_execz .LBB22_2688
; %bb.2686:
	; divergent unreachable
	s_or_b64 exec, exec, s[2:3]
	s_and_saveexec_b64 s[2:3], s[16:17]
	s_xor_b64 s[2:3], exec, s[2:3]
	s_cbranch_execnz .LBB22_2689
.LBB22_2687:
	s_or_b64 exec, exec, s[2:3]
	s_and_saveexec_b64 s[2:3], s[0:1]
	s_cbranch_execnz .LBB22_2690
	s_branch .LBB22_2727
.LBB22_2688:
	s_or_b64 exec, exec, s[2:3]
	s_and_saveexec_b64 s[2:3], s[16:17]
	s_xor_b64 s[2:3], exec, s[2:3]
	s_cbranch_execz .LBB22_2687
.LBB22_2689:
	v_cmp_neq_f64_e32 vcc, 0, v[12:13]
	s_waitcnt vmcnt(0)
	v_cndmask_b32_e64 v3, 0, 1, vcc
	global_store_byte v[0:1], v3, off
	s_or_b64 exec, exec, s[2:3]
	s_and_saveexec_b64 s[2:3], s[0:1]
	s_cbranch_execz .LBB22_2727
.LBB22_2690:
	s_waitcnt vmcnt(0)
	v_cmp_gt_i16_e32 vcc, 5, v2
	s_mov_b64 s[0:1], -1
	s_cbranch_vccnz .LBB22_2711
; %bb.2691:
	v_cmp_gt_i16_e32 vcc, 8, v2
	s_cbranch_vccnz .LBB22_2701
; %bb.2692:
	v_cmp_gt_i16_e32 vcc, 9, v2
	s_cbranch_vccnz .LBB22_2698
; %bb.2693:
	v_cmp_lt_i16_e32 vcc, 9, v2
	s_cbranch_vccz .LBB22_2695
; %bb.2694:
	v_mov_b32_e32 v14, 0
	v_mov_b32_e32 v15, v14
	global_store_dwordx4 v[0:1], v[12:15], off
	s_mov_b64 s[0:1], 0
.LBB22_2695:
	s_andn2_b64 vcc, exec, s[0:1]
	s_cbranch_vccnz .LBB22_2697
; %bb.2696:
	v_cvt_f32_f64_e32 v4, v[12:13]
	v_mov_b32_e32 v5, 0
	global_store_dwordx2 v[0:1], v[4:5], off
.LBB22_2697:
	s_mov_b64 s[0:1], 0
.LBB22_2698:
	s_andn2_b64 vcc, exec, s[0:1]
	s_cbranch_vccnz .LBB22_2700
; %bb.2699:
	v_cvt_f32_f64_e32 v3, v[12:13]
	v_cvt_f16_f32_e32 v3, v3
	global_store_dword v[0:1], v3, off
.LBB22_2700:
	s_mov_b64 s[0:1], 0
.LBB22_2701:
	s_andn2_b64 vcc, exec, s[0:1]
	s_cbranch_vccnz .LBB22_2710
; %bb.2702:
	v_cmp_gt_i16_e32 vcc, 6, v2
	s_mov_b64 s[0:1], -1
	s_cbranch_vccnz .LBB22_2708
; %bb.2703:
	v_cmp_lt_i16_e32 vcc, 6, v2
	s_cbranch_vccz .LBB22_2705
; %bb.2704:
	global_store_dwordx2 v[0:1], v[12:13], off
	s_mov_b64 s[0:1], 0
.LBB22_2705:
	s_andn2_b64 vcc, exec, s[0:1]
	s_cbranch_vccnz .LBB22_2707
; %bb.2706:
	v_cvt_f32_f64_e32 v3, v[12:13]
	global_store_dword v[0:1], v3, off
.LBB22_2707:
	s_mov_b64 s[0:1], 0
.LBB22_2708:
	s_andn2_b64 vcc, exec, s[0:1]
	s_cbranch_vccnz .LBB22_2710
; %bb.2709:
	v_cvt_f32_f64_e32 v3, v[12:13]
	v_cvt_f16_f32_e32 v3, v3
	global_store_short v[0:1], v3, off
.LBB22_2710:
	s_mov_b64 s[0:1], 0
.LBB22_2711:
	s_andn2_b64 vcc, exec, s[0:1]
	s_cbranch_vccnz .LBB22_2727
; %bb.2712:
	v_cmp_gt_i16_e32 vcc, 2, v2
	s_mov_b64 s[0:1], -1
	s_cbranch_vccnz .LBB22_2722
; %bb.2713:
	v_cmp_gt_i16_e32 vcc, 3, v2
	s_cbranch_vccnz .LBB22_2719
; %bb.2714:
	v_cmp_lt_i16_e32 vcc, 3, v2
	s_cbranch_vccz .LBB22_2716
; %bb.2715:
	v_trunc_f64_e32 v[4:5], v[12:13]
	s_movk_i32 s0, 0xffe0
	v_ldexp_f64 v[6:7], v[4:5], s0
	v_floor_f64_e32 v[6:7], v[6:7]
	v_fmac_f64_e32 v[4:5], 0xc1f00000, v[6:7]
	v_cvt_i32_f64_e32 v9, v[6:7]
	v_cvt_u32_f64_e32 v8, v[4:5]
	global_store_dwordx2 v[0:1], v[8:9], off
	s_mov_b64 s[0:1], 0
.LBB22_2716:
	s_andn2_b64 vcc, exec, s[0:1]
	s_cbranch_vccnz .LBB22_2718
; %bb.2717:
	v_cvt_i32_f64_e32 v3, v[12:13]
	global_store_dword v[0:1], v3, off
.LBB22_2718:
	s_mov_b64 s[0:1], 0
.LBB22_2719:
	s_andn2_b64 vcc, exec, s[0:1]
	s_cbranch_vccnz .LBB22_2721
; %bb.2720:
	v_cvt_i32_f64_e32 v3, v[12:13]
	global_store_short v[0:1], v3, off
.LBB22_2721:
	s_mov_b64 s[0:1], 0
.LBB22_2722:
	s_andn2_b64 vcc, exec, s[0:1]
	s_cbranch_vccnz .LBB22_2727
; %bb.2723:
	v_cmp_lt_i16_e32 vcc, 0, v2
	s_mov_b64 s[0:1], -1
	s_cbranch_vccz .LBB22_2725
; %bb.2724:
	v_cvt_i32_f64_e32 v2, v[12:13]
	global_store_byte v[0:1], v2, off
	s_mov_b64 s[0:1], 0
.LBB22_2725:
	s_andn2_b64 vcc, exec, s[0:1]
	s_cbranch_vccnz .LBB22_2727
; %bb.2726:
	v_trunc_f64_e32 v[2:3], v[12:13]
	s_movk_i32 s0, 0xffe0
	v_ldexp_f64 v[4:5], v[2:3], s0
	v_floor_f64_e32 v[4:5], v[4:5]
	v_fmac_f64_e32 v[2:3], 0xc1f00000, v[4:5]
	v_cvt_u32_f64_e32 v2, v[2:3]
	global_store_byte v[0:1], v2, off
	s_endpgm
.LBB22_2727:
	s_endpgm
.LBB22_2728:
	s_mov_b64 s[0:1], -1
	s_mov_b64 s[10:11], 0
	s_branch .LBB22_2804
.LBB22_2729:
	s_mov_b64 s[0:1], 0
	s_branch .LBB22_2743
.LBB22_2730:
	s_mov_b64 s[0:1], 0
	s_branch .LBB22_2739
.LBB22_2731:
	s_trap 2
	s_or_b64 s[18:19], s[18:19], exec
                                        ; implicit-def: $vgpr10_vgpr11
	s_cbranch_execz .LBB22_2611
	s_branch .LBB22_2612
.LBB22_2732:
	s_mov_b64 s[0:1], 0
.LBB22_2733:
	s_and_b64 vcc, exec, s[14:15]
	s_cbranch_vccz .LBB22_2738
; %bb.2734:
	v_mov_b32_e32 v2, 44
	v_cmp_eq_u16_sdwa s[14:15], v14, v2 src0_sel:BYTE_0 src1_sel:DWORD
	s_mov_b64 s[0:1], -1
	s_and_b64 vcc, exec, s[14:15]
	s_cbranch_vccz .LBB22_2738
; %bb.2735:
	v_cvt_f32_f64_e32 v2, v[0:1]
	v_bfe_u32 v3, v2, 23, 8
	s_movk_i32 s0, 0xff
	v_cmp_ne_u32_e32 vcc, s0, v3
	v_mov_b32_e32 v11, 0xff
	s_and_saveexec_b64 s[10:11], vcc
; %bb.2736:
	s_mov_b32 s0, 0x3fffff
	v_lshrrev_b32_e32 v11, 23, v2
	v_and_b32_e32 v15, 0x400000, v2
	v_and_or_b32 v2, v2, s0, v3
	v_cmp_ne_u32_e32 vcc, 0, v15
	v_cmp_ne_u32_e64 s[0:1], 0, v2
	s_and_b64 s[0:1], vcc, s[0:1]
	v_cndmask_b32_e64 v2, 0, 1, s[0:1]
	v_add_u32_e32 v11, v11, v2
; %bb.2737:
	s_or_b64 exec, exec, s[10:11]
	s_mov_b64 s[0:1], 0
	s_mov_b64 s[10:11], -1
	global_store_byte v[6:7], v11, off
.LBB22_2738:
	s_mov_b64 s[14:15], 0
.LBB22_2739:
	s_and_b64 vcc, exec, s[14:15]
	s_cbranch_vccz .LBB22_2742
; %bb.2740:
	v_mov_b32_e32 v2, 29
	v_cmp_eq_u16_sdwa s[14:15], v14, v2 src0_sel:BYTE_0 src1_sel:DWORD
	s_mov_b64 s[0:1], -1
	s_and_b64 vcc, exec, s[14:15]
	s_cbranch_vccz .LBB22_2742
; %bb.2741:
	v_trunc_f64_e32 v[2:3], v[0:1]
	s_movk_i32 s0, 0xffe0
	v_ldexp_f64 v[16:17], v[2:3], s0
	v_floor_f64_e32 v[16:17], v[16:17]
	v_fmac_f64_e32 v[2:3], 0xc1f00000, v[16:17]
	v_cvt_u32_f64_e32 v19, v[16:17]
	v_cvt_u32_f64_e32 v18, v[2:3]
	global_store_dwordx2 v[6:7], v[18:19], off
	s_mov_b64 s[0:1], 0
	s_mov_b64 s[10:11], -1
.LBB22_2742:
	s_mov_b64 s[14:15], 0
.LBB22_2743:
	s_and_b64 vcc, exec, s[14:15]
	s_cbranch_vccz .LBB22_2759
; %bb.2744:
	v_mov_b32_e32 v2, 27
	v_cmp_lt_i16_sdwa s[14:15], v14, v2 src0_sel:BYTE_0 src1_sel:DWORD
	s_mov_b64 s[10:11], -1
	s_and_b64 vcc, exec, s[14:15]
	s_cbranch_vccnz .LBB22_2750
; %bb.2745:
	v_cmp_gt_i16_sdwa s[14:15], v14, v2 src0_sel:BYTE_0 src1_sel:DWORD
	s_and_b64 vcc, exec, s[14:15]
	v_cvt_u32_f64_e32 v2, v[0:1]
	s_cbranch_vccz .LBB22_2747
; %bb.2746:
	s_mov_b64 s[10:11], 0
	global_store_dword v[6:7], v2, off
.LBB22_2747:
	s_andn2_b64 vcc, exec, s[10:11]
	s_cbranch_vccnz .LBB22_2749
; %bb.2748:
	global_store_short v[6:7], v2, off
.LBB22_2749:
	s_mov_b64 s[10:11], 0
.LBB22_2750:
	s_andn2_b64 vcc, exec, s[10:11]
	s_cbranch_vccnz .LBB22_2758
; %bb.2751:
	v_cvt_f32_f64_e32 v2, v[0:1]
	v_and_b32_e32 v3, 0x7fffffff, v2
	s_mov_b32 s10, 0x43800000
	v_cmp_gt_u32_e32 vcc, s10, v3
	v_mov_b32_e32 v11, 0x80
	s_and_saveexec_b64 s[10:11], vcc
	s_cbranch_execz .LBB22_2757
; %bb.2752:
	s_mov_b32 s13, 0x3bffffff
	v_cmp_lt_u32_e32 vcc, s13, v3
	s_mov_b64 s[14:15], 0
                                        ; implicit-def: $vgpr3
	s_and_saveexec_b64 s[16:17], vcc
	s_xor_b64 s[16:17], exec, s[16:17]
	s_cbranch_execz .LBB22_2853
; %bb.2753:
	v_bfe_u32 v3, v2, 20, 1
	s_mov_b32 s13, 0x487ffff
	v_add3_u32 v3, v2, v3, s13
	s_mov_b64 s[14:15], exec
	v_lshrrev_b32_e32 v3, 20, v3
	s_or_saveexec_b64 s[16:17], s[16:17]
                                        ; implicit-def: $sgpr13
	s_xor_b64 exec, exec, s[16:17]
	s_cbranch_execnz .LBB22_2854
.LBB22_2754:
	s_or_b64 exec, exec, s[16:17]
	v_mov_b32_e32 v11, s13
	s_and_saveexec_b64 s[16:17], s[14:15]
.LBB22_2755:
	v_lshrrev_b32_e32 v2, 24, v2
	s_movk_i32 s13, 0x80
	v_and_or_b32 v11, v2, s13, v3
.LBB22_2756:
	s_or_b64 exec, exec, s[16:17]
.LBB22_2757:
	s_or_b64 exec, exec, s[10:11]
	global_store_byte v[6:7], v11, off
.LBB22_2758:
	s_mov_b64 s[10:11], -1
.LBB22_2759:
	s_mov_b64 s[14:15], 0
.LBB22_2760:
	s_and_b64 vcc, exec, s[14:15]
	s_cbranch_vccz .LBB22_2800
; %bb.2761:
	v_mov_b32_e32 v2, 22
	v_cmp_gt_i16_sdwa s[14:15], v14, v2 src0_sel:BYTE_0 src1_sel:DWORD
	s_mov_b64 s[2:3], -1
	s_and_b64 vcc, exec, s[14:15]
	s_cbranch_vccz .LBB22_2793
; %bb.2762:
	v_mov_b32_e32 v2, 24
	v_cmp_lt_i16_sdwa s[10:11], v14, v2 src0_sel:BYTE_0 src1_sel:DWORD
	s_and_b64 vcc, exec, s[10:11]
	s_cbranch_vccnz .LBB22_2782
; %bb.2763:
	v_cmp_gt_i16_sdwa s[10:11], v14, v2 src0_sel:BYTE_0 src1_sel:DWORD
	s_and_b64 vcc, exec, s[10:11]
	s_cbranch_vccz .LBB22_2771
; %bb.2764:
	v_cvt_f32_f64_e32 v2, v[0:1]
	v_and_b32_e32 v3, 0x7fffffff, v2
	s_mov_b32 s2, 0x47800000
	v_cmp_gt_u32_e32 vcc, s2, v3
	v_mov_b32_e32 v11, 0x80
	s_and_saveexec_b64 s[2:3], vcc
	s_cbranch_execz .LBB22_2770
; %bb.2765:
	s_mov_b32 s10, 0x37ffffff
	v_cmp_lt_u32_e32 vcc, s10, v3
	s_mov_b64 s[10:11], 0
                                        ; implicit-def: $vgpr3
	s_and_saveexec_b64 s[14:15], vcc
	s_xor_b64 s[14:15], exec, s[14:15]
	s_cbranch_execz .LBB22_2857
; %bb.2766:
	v_bfe_u32 v3, v2, 21, 1
	s_mov_b32 s13, 0x88fffff
	v_add3_u32 v3, v2, v3, s13
	s_mov_b64 s[10:11], exec
	v_lshrrev_b32_e32 v3, 21, v3
	s_or_saveexec_b64 s[14:15], s[14:15]
                                        ; implicit-def: $sgpr13
	s_xor_b64 exec, exec, s[14:15]
	s_cbranch_execnz .LBB22_2858
.LBB22_2767:
	s_or_b64 exec, exec, s[14:15]
	v_mov_b32_e32 v11, s13
	s_and_saveexec_b64 s[14:15], s[10:11]
.LBB22_2768:
	v_lshrrev_b32_e32 v2, 24, v2
	s_movk_i32 s10, 0x80
	v_and_or_b32 v11, v2, s10, v3
.LBB22_2769:
	s_or_b64 exec, exec, s[14:15]
.LBB22_2770:
	s_or_b64 exec, exec, s[2:3]
	s_mov_b64 s[2:3], 0
	global_store_byte v[6:7], v11, off
.LBB22_2771:
	s_and_b64 vcc, exec, s[2:3]
	s_cbranch_vccz .LBB22_2781
; %bb.2772:
	v_cvt_f32_f64_e32 v2, v[0:1]
	v_and_b32_e32 v11, 0x7fffffff, v2
	s_mov_b32 s2, 0x43f00000
	v_cmp_gt_u32_e32 vcc, s2, v11
                                        ; implicit-def: $vgpr3
	s_and_saveexec_b64 s[2:3], vcc
	s_xor_b64 s[2:3], exec, s[2:3]
	s_cbranch_execz .LBB22_2778
; %bb.2773:
	s_mov_b32 s10, 0x3c7fffff
	v_cmp_lt_u32_e32 vcc, s10, v11
                                        ; implicit-def: $vgpr3
	s_and_saveexec_b64 s[10:11], vcc
	s_xor_b64 s[10:11], exec, s[10:11]
; %bb.2774:
	v_bfe_u32 v3, v2, 20, 1
	s_mov_b32 s13, 0x407ffff
	v_add3_u32 v3, v2, v3, s13
	v_lshrrev_b32_e32 v11, 20, v3
	v_and_b32_e32 v3, 0xff00000, v3
	s_mov_b32 s13, 0x7f00000
	v_mov_b32_e32 v15, 0x7e
	v_cmp_ne_u32_e32 vcc, s13, v3
	v_cndmask_b32_e32 v3, v15, v11, vcc
; %bb.2775:
	s_andn2_saveexec_b64 s[10:11], s[10:11]
; %bb.2776:
	s_mov_b32 s13, 0x46800000
	v_add_f32_e64 v3, |v2|, s13
; %bb.2777:
	s_or_b64 exec, exec, s[10:11]
                                        ; implicit-def: $vgpr11
.LBB22_2778:
	s_andn2_saveexec_b64 s[2:3], s[2:3]
; %bb.2779:
	s_mov_b32 s10, 0x7f800000
	v_mov_b32_e32 v3, 0x7e
	v_mov_b32_e32 v15, 0x7f
	v_cmp_lt_u32_e32 vcc, s10, v11
	v_cndmask_b32_e32 v3, v3, v15, vcc
; %bb.2780:
	s_or_b64 exec, exec, s[2:3]
	v_lshrrev_b32_e32 v2, 24, v2
	s_movk_i32 s2, 0x80
	v_and_or_b32 v2, v2, s2, v3
	global_store_byte v[6:7], v2, off
.LBB22_2781:
	s_mov_b64 s[2:3], 0
.LBB22_2782:
	s_andn2_b64 vcc, exec, s[2:3]
	s_cbranch_vccnz .LBB22_2792
; %bb.2783:
	v_cvt_f32_f64_e32 v2, v[0:1]
	v_and_b32_e32 v11, 0x7fffffff, v2
	s_mov_b32 s2, 0x47800000
	v_cmp_gt_u32_e32 vcc, s2, v11
                                        ; implicit-def: $vgpr3
	s_and_saveexec_b64 s[2:3], vcc
	s_xor_b64 s[2:3], exec, s[2:3]
	s_cbranch_execz .LBB22_2789
; %bb.2784:
	s_mov_b32 s10, 0x387fffff
	v_cmp_lt_u32_e32 vcc, s10, v11
                                        ; implicit-def: $vgpr3
	s_and_saveexec_b64 s[10:11], vcc
	s_xor_b64 s[10:11], exec, s[10:11]
; %bb.2785:
	v_bfe_u32 v3, v2, 21, 1
	s_mov_b32 s13, 0x80fffff
	v_add3_u32 v3, v2, v3, s13
	v_lshrrev_b32_e32 v3, 21, v3
; %bb.2786:
	s_andn2_saveexec_b64 s[10:11], s[10:11]
; %bb.2787:
	s_mov_b32 s13, 0x43000000
	v_add_f32_e64 v3, |v2|, s13
; %bb.2788:
	s_or_b64 exec, exec, s[10:11]
                                        ; implicit-def: $vgpr11
.LBB22_2789:
	s_andn2_saveexec_b64 s[2:3], s[2:3]
; %bb.2790:
	s_mov_b32 s10, 0x7f800000
	v_mov_b32_e32 v3, 0x7c
	v_mov_b32_e32 v15, 0x7f
	v_cmp_lt_u32_e32 vcc, s10, v11
	v_cndmask_b32_e32 v3, v3, v15, vcc
; %bb.2791:
	s_or_b64 exec, exec, s[2:3]
	v_lshrrev_b32_e32 v2, 24, v2
	s_movk_i32 s2, 0x80
	v_and_or_b32 v2, v2, s2, v3
	global_store_byte v[6:7], v2, off
.LBB22_2792:
	s_mov_b64 s[2:3], 0
	s_mov_b64 s[10:11], -1
.LBB22_2793:
	s_andn2_b64 vcc, exec, s[2:3]
	s_mov_b64 s[2:3], 0
	s_cbranch_vccnz .LBB22_2800
; %bb.2794:
	v_mov_b32_e32 v2, 14
	v_cmp_gt_i16_sdwa s[2:3], v14, v2 src0_sel:BYTE_0 src1_sel:DWORD
	s_mov_b64 s[14:15], -1
	s_and_b64 vcc, exec, s[2:3]
	s_cbranch_vccz .LBB22_2798
; %bb.2795:
	v_mov_b32_e32 v2, 15
	v_cmp_eq_u16_sdwa s[2:3], v14, v2 src0_sel:BYTE_0 src1_sel:DWORD
	s_mov_b64 s[0:1], -1
	s_and_b64 vcc, exec, s[2:3]
	s_cbranch_vccz .LBB22_2797
; %bb.2796:
	v_cvt_f32_f64_e32 v2, v[0:1]
	v_bfe_u32 v3, v2, 16, 1
	s_movk_i32 s0, 0x7fff
	v_add3_u32 v3, v2, v3, s0
	v_lshrrev_b32_e32 v3, 16, v3
	v_mov_b32_e32 v11, 0x7fc0
	v_cmp_o_f32_e32 vcc, v2, v2
	v_cndmask_b32_e32 v2, v11, v3, vcc
	global_store_short v[6:7], v2, off
	s_mov_b64 s[0:1], 0
	s_mov_b64 s[10:11], -1
.LBB22_2797:
	s_mov_b64 s[14:15], 0
.LBB22_2798:
	s_mov_b64 s[2:3], 0
	s_and_b64 vcc, exec, s[14:15]
	s_cbranch_vccz .LBB22_2800
; %bb.2799:
	v_mov_b32_e32 v2, 11
	v_cmp_ne_u16_sdwa s[0:1], v14, v2 src0_sel:BYTE_0 src1_sel:DWORD
	s_mov_b64 s[2:3], -1
.LBB22_2800:
	s_and_b64 vcc, exec, s[0:1]
	s_cbranch_vccnz .LBB22_2856
; %bb.2801:
	s_andn2_b64 vcc, exec, s[2:3]
	s_cbranch_vccnz .LBB22_2803
.LBB22_2802:
	v_cmp_neq_f64_e32 vcc, 0, v[0:1]
	v_cndmask_b32_e64 v2, 0, 1, vcc
	s_mov_b64 s[10:11], -1
	global_store_byte v[6:7], v2, off
.LBB22_2803:
	s_mov_b64 s[0:1], 0
.LBB22_2804:
	s_and_b64 vcc, exec, s[0:1]
	s_cbranch_vccz .LBB22_2843
; %bb.2805:
	v_mov_b32_e32 v2, 5
	v_cmp_lt_i16_sdwa s[2:3], v14, v2 src0_sel:BYTE_0 src1_sel:DWORD
	s_mov_b64 s[0:1], -1
	s_and_b64 vcc, exec, s[2:3]
	s_cbranch_vccnz .LBB22_2826
; %bb.2806:
	v_mov_b32_e32 v2, 8
	v_cmp_lt_i16_sdwa s[2:3], v14, v2 src0_sel:BYTE_0 src1_sel:DWORD
	s_and_b64 vcc, exec, s[2:3]
	s_cbranch_vccnz .LBB22_2816
; %bb.2807:
	v_mov_b32_e32 v2, 9
	v_cmp_lt_i16_sdwa s[2:3], v14, v2 src0_sel:BYTE_0 src1_sel:DWORD
	s_and_b64 vcc, exec, s[2:3]
	s_cbranch_vccnz .LBB22_2813
; %bb.2808:
	v_cmp_gt_i16_sdwa s[2:3], v14, v2 src0_sel:BYTE_0 src1_sel:DWORD
	s_and_b64 vcc, exec, s[2:3]
	s_cbranch_vccz .LBB22_2810
; %bb.2809:
	v_mov_b32_e32 v2, 0
	v_mov_b32_e32 v3, v2
	global_store_dwordx4 v[6:7], v[0:3], off
	s_mov_b64 s[0:1], 0
.LBB22_2810:
	s_andn2_b64 vcc, exec, s[0:1]
	s_cbranch_vccnz .LBB22_2812
; %bb.2811:
	v_cvt_f32_f64_e32 v2, v[0:1]
	v_mov_b32_e32 v3, 0
	global_store_dwordx2 v[6:7], v[2:3], off
.LBB22_2812:
	s_mov_b64 s[0:1], 0
.LBB22_2813:
	s_andn2_b64 vcc, exec, s[0:1]
	s_cbranch_vccnz .LBB22_2815
; %bb.2814:
	v_cvt_f32_f64_e32 v2, v[0:1]
	v_cvt_f16_f32_e32 v2, v2
	global_store_dword v[6:7], v2, off
.LBB22_2815:
	s_mov_b64 s[0:1], 0
.LBB22_2816:
	s_andn2_b64 vcc, exec, s[0:1]
	s_cbranch_vccnz .LBB22_2825
; %bb.2817:
	v_mov_b32_e32 v2, 6
	v_cmp_lt_i16_sdwa s[2:3], v14, v2 src0_sel:BYTE_0 src1_sel:DWORD
	s_mov_b64 s[0:1], -1
	s_and_b64 vcc, exec, s[2:3]
	s_cbranch_vccnz .LBB22_2823
; %bb.2818:
	v_cmp_gt_i16_sdwa s[2:3], v14, v2 src0_sel:BYTE_0 src1_sel:DWORD
	s_and_b64 vcc, exec, s[2:3]
	s_cbranch_vccz .LBB22_2820
; %bb.2819:
	global_store_dwordx2 v[6:7], v[0:1], off
	s_mov_b64 s[0:1], 0
.LBB22_2820:
	s_andn2_b64 vcc, exec, s[0:1]
	s_cbranch_vccnz .LBB22_2822
; %bb.2821:
	v_cvt_f32_f64_e32 v2, v[0:1]
	global_store_dword v[6:7], v2, off
.LBB22_2822:
	s_mov_b64 s[0:1], 0
.LBB22_2823:
	s_andn2_b64 vcc, exec, s[0:1]
	s_cbranch_vccnz .LBB22_2825
; %bb.2824:
	v_cvt_f32_f64_e32 v2, v[0:1]
	v_cvt_f16_f32_e32 v2, v2
	global_store_short v[6:7], v2, off
.LBB22_2825:
	s_mov_b64 s[0:1], 0
.LBB22_2826:
	s_andn2_b64 vcc, exec, s[0:1]
	s_cbranch_vccnz .LBB22_2842
; %bb.2827:
	v_mov_b32_e32 v2, 2
	v_cmp_lt_i16_sdwa s[2:3], v14, v2 src0_sel:BYTE_0 src1_sel:DWORD
	s_mov_b64 s[0:1], -1
	s_and_b64 vcc, exec, s[2:3]
	s_cbranch_vccnz .LBB22_2837
; %bb.2828:
	v_mov_b32_e32 v2, 3
	v_cmp_lt_i16_sdwa s[2:3], v14, v2 src0_sel:BYTE_0 src1_sel:DWORD
	s_and_b64 vcc, exec, s[2:3]
	s_cbranch_vccnz .LBB22_2834
; %bb.2829:
	v_cmp_gt_i16_sdwa s[2:3], v14, v2 src0_sel:BYTE_0 src1_sel:DWORD
	s_and_b64 vcc, exec, s[2:3]
	s_cbranch_vccz .LBB22_2831
; %bb.2830:
	v_trunc_f64_e32 v[2:3], v[0:1]
	s_movk_i32 s0, 0xffe0
	v_ldexp_f64 v[16:17], v[2:3], s0
	v_floor_f64_e32 v[16:17], v[16:17]
	v_fmac_f64_e32 v[2:3], 0xc1f00000, v[16:17]
	v_cvt_i32_f64_e32 v19, v[16:17]
	v_cvt_u32_f64_e32 v18, v[2:3]
	global_store_dwordx2 v[6:7], v[18:19], off
	s_mov_b64 s[0:1], 0
.LBB22_2831:
	s_andn2_b64 vcc, exec, s[0:1]
	s_cbranch_vccnz .LBB22_2833
; %bb.2832:
	v_cvt_i32_f64_e32 v2, v[0:1]
	global_store_dword v[6:7], v2, off
.LBB22_2833:
	s_mov_b64 s[0:1], 0
.LBB22_2834:
	s_andn2_b64 vcc, exec, s[0:1]
	s_cbranch_vccnz .LBB22_2836
; %bb.2835:
	v_cvt_i32_f64_e32 v2, v[0:1]
	global_store_short v[6:7], v2, off
.LBB22_2836:
	s_mov_b64 s[0:1], 0
.LBB22_2837:
	s_andn2_b64 vcc, exec, s[0:1]
	s_cbranch_vccnz .LBB22_2842
; %bb.2838:
	v_mov_b32_e32 v2, 0
	v_cmp_gt_i16_sdwa s[2:3], v14, v2 src0_sel:BYTE_0 src1_sel:DWORD
	s_mov_b64 s[0:1], -1
	s_and_b64 vcc, exec, s[2:3]
	s_cbranch_vccz .LBB22_2840
; %bb.2839:
	v_cvt_i32_f64_e32 v2, v[0:1]
	global_store_byte v[6:7], v2, off
	s_mov_b64 s[0:1], 0
.LBB22_2840:
	s_andn2_b64 vcc, exec, s[0:1]
	s_cbranch_vccnz .LBB22_2842
; %bb.2841:
	v_trunc_f64_e32 v[0:1], v[0:1]
	s_movk_i32 s0, 0xffe0
	v_ldexp_f64 v[2:3], v[0:1], s0
	v_floor_f64_e32 v[2:3], v[2:3]
	v_fmac_f64_e32 v[0:1], 0xc1f00000, v[2:3]
	v_cvt_u32_f64_e32 v0, v[0:1]
	global_store_byte v[6:7], v0, off
.LBB22_2842:
	s_mov_b64 s[10:11], -1
.LBB22_2843:
	s_andn2_b64 vcc, exec, s[10:11]
	s_cbranch_vccnz .LBB22_3174
; %bb.2844:
	s_lshl_b32 s16, s12, 7
	v_add_u32_e32 v2, s16, v10
	v_ashrrev_i32_e32 v1, 31, v2
	v_mov_b32_e32 v3, s9
	v_add_co_u32_e32 v0, vcc, s8, v2
	v_addc_co_u32_e32 v1, vcc, v3, v1, vcc
	v_mov_b32_e32 v3, 11
	v_cmp_lt_i16_sdwa s[0:1], v14, v3 src0_sel:BYTE_0 src1_sel:DWORD
	s_and_b64 vcc, exec, s[0:1]
	s_cbranch_vccnz .LBB22_2851
; %bb.2845:
	v_mov_b32_e32 v3, 25
	v_cmp_gt_i16_sdwa s[0:1], v14, v3 src0_sel:BYTE_0 src1_sel:DWORD
	s_mov_b64 s[12:13], -1
	s_mov_b64 s[2:3], 0
	s_and_b64 vcc, exec, s[0:1]
	s_mov_b64 s[10:11], 0
	s_mov_b64 s[0:1], 0
	s_cbranch_vccz .LBB22_2887
; %bb.2846:
	v_mov_b32_e32 v3, 28
	v_cmp_gt_i16_sdwa s[0:1], v14, v3 src0_sel:BYTE_0 src1_sel:DWORD
	s_and_b64 vcc, exec, s[0:1]
	s_cbranch_vccz .LBB22_2852
; %bb.2847:
	v_mov_b32_e32 v3, 43
	v_cmp_gt_i16_sdwa s[0:1], v14, v3 src0_sel:BYTE_0 src1_sel:DWORD
	s_and_b64 vcc, exec, s[0:1]
	;; [unrolled: 5-line block ×3, first 2 shown]
	s_cbranch_vccz .LBB22_2859
; %bb.2849:
	v_mov_b32_e32 v3, 46
	v_cmp_eq_u16_sdwa s[10:11], v14, v3 src0_sel:BYTE_0 src1_sel:DWORD
	s_mov_b64 s[0:1], -1
	s_mov_b64 s[12:13], 0
	s_and_b64 vcc, exec, s[10:11]
	s_mov_b64 s[10:11], 0
	s_cbranch_vccz .LBB22_2860
; %bb.2850:
	v_cvt_f32_f64_e32 v3, v[4:5]
	v_bfe_u32 v6, v3, 16, 1
	s_movk_i32 s0, 0x7fff
	v_add3_u32 v6, v3, v6, s0
	v_lshrrev_b32_e32 v6, 16, v6
	v_mov_b32_e32 v7, 0x7fc0
	v_cmp_o_f32_e32 vcc, v3, v3
	v_cndmask_b32_e32 v3, v7, v6, vcc
	global_store_dword v[0:1], v3, off
	s_mov_b64 s[0:1], 0
	s_mov_b64 s[10:11], -1
	s_branch .LBB22_2860
.LBB22_2851:
	s_mov_b64 s[0:1], -1
	s_mov_b64 s[10:11], 0
	s_branch .LBB22_2931
.LBB22_2852:
	s_mov_b64 s[0:1], 0
	s_branch .LBB22_2870
.LBB22_2853:
	s_or_saveexec_b64 s[16:17], s[16:17]
                                        ; implicit-def: $sgpr13
	s_xor_b64 exec, exec, s[16:17]
	s_cbranch_execz .LBB22_2754
.LBB22_2854:
	s_mov_b32 s13, 0x46000000
	v_add_f32_e64 v3, |v2|, s13
	v_and_b32_e32 v3, 0xff, v3
	v_cmp_ne_u32_e32 vcc, 0, v3
	s_andn2_b64 s[14:15], s[14:15], exec
	s_and_b64 s[20:21], vcc, exec
	s_mov_b32 s13, 0
	s_or_b64 s[14:15], s[14:15], s[20:21]
	s_or_b64 exec, exec, s[16:17]
	v_mov_b32_e32 v11, s13
	s_and_saveexec_b64 s[16:17], s[14:15]
	s_cbranch_execnz .LBB22_2755
	s_branch .LBB22_2756
.LBB22_2855:
	s_mov_b64 s[0:1], 0
	s_branch .LBB22_2866
.LBB22_2856:
	s_trap 2
	s_or_b64 s[18:19], s[18:19], exec
	s_cbranch_execz .LBB22_2802
	s_branch .LBB22_2803
.LBB22_2857:
	s_or_saveexec_b64 s[14:15], s[14:15]
                                        ; implicit-def: $sgpr13
	s_xor_b64 exec, exec, s[14:15]
	s_cbranch_execz .LBB22_2767
.LBB22_2858:
	s_mov_b32 s13, 0x42800000
	v_add_f32_e64 v3, |v2|, s13
	v_and_b32_e32 v3, 0xff, v3
	v_cmp_ne_u32_e32 vcc, 0, v3
	s_andn2_b64 s[10:11], s[10:11], exec
	s_and_b64 s[16:17], vcc, exec
	s_mov_b32 s13, 0
	s_or_b64 s[10:11], s[10:11], s[16:17]
	s_or_b64 exec, exec, s[14:15]
	v_mov_b32_e32 v11, s13
	s_and_saveexec_b64 s[14:15], s[10:11]
	s_cbranch_execnz .LBB22_2768
	s_branch .LBB22_2769
.LBB22_2859:
	s_mov_b64 s[0:1], 0
.LBB22_2860:
	s_and_b64 vcc, exec, s[12:13]
	s_cbranch_vccz .LBB22_2865
; %bb.2861:
	v_mov_b32_e32 v3, 44
	v_cmp_eq_u16_sdwa s[12:13], v14, v3 src0_sel:BYTE_0 src1_sel:DWORD
	s_mov_b64 s[0:1], -1
	s_and_b64 vcc, exec, s[12:13]
	s_cbranch_vccz .LBB22_2865
; %bb.2862:
	v_cvt_f32_f64_e32 v3, v[4:5]
	v_bfe_u32 v6, v3, 23, 8
	s_movk_i32 s0, 0xff
	v_cmp_ne_u32_e32 vcc, s0, v6
	v_mov_b32_e32 v7, 0xff
	s_and_saveexec_b64 s[10:11], vcc
; %bb.2863:
	s_mov_b32 s0, 0x3fffff
	v_lshrrev_b32_e32 v7, 23, v3
	v_and_b32_e32 v10, 0x400000, v3
	v_and_or_b32 v3, v3, s0, v6
	v_cmp_ne_u32_e32 vcc, 0, v10
	v_cmp_ne_u32_e64 s[0:1], 0, v3
	s_and_b64 s[0:1], vcc, s[0:1]
	v_cndmask_b32_e64 v3, 0, 1, s[0:1]
	v_add_u32_e32 v7, v7, v3
; %bb.2864:
	s_or_b64 exec, exec, s[10:11]
	s_mov_b64 s[0:1], 0
	s_mov_b64 s[10:11], -1
	global_store_byte v[0:1], v7, off
.LBB22_2865:
	s_mov_b64 s[12:13], 0
.LBB22_2866:
	s_and_b64 vcc, exec, s[12:13]
	s_cbranch_vccz .LBB22_2869
; %bb.2867:
	v_mov_b32_e32 v3, 29
	v_cmp_eq_u16_sdwa s[12:13], v14, v3 src0_sel:BYTE_0 src1_sel:DWORD
	s_mov_b64 s[0:1], -1
	s_and_b64 vcc, exec, s[12:13]
	s_cbranch_vccz .LBB22_2869
; %bb.2868:
	v_trunc_f64_e32 v[6:7], v[4:5]
	s_movk_i32 s0, 0xffe0
	v_ldexp_f64 v[10:11], v[6:7], s0
	v_floor_f64_e32 v[10:11], v[10:11]
	v_fmac_f64_e32 v[6:7], 0xc1f00000, v[10:11]
	v_cvt_u32_f64_e32 v17, v[10:11]
	v_cvt_u32_f64_e32 v16, v[6:7]
	global_store_dwordx2 v[0:1], v[16:17], off
	s_mov_b64 s[0:1], 0
	s_mov_b64 s[10:11], -1
.LBB22_2869:
	s_mov_b64 s[12:13], 0
.LBB22_2870:
	s_and_b64 vcc, exec, s[12:13]
	s_cbranch_vccz .LBB22_2886
; %bb.2871:
	v_mov_b32_e32 v3, 27
	v_cmp_lt_i16_sdwa s[12:13], v14, v3 src0_sel:BYTE_0 src1_sel:DWORD
	s_mov_b64 s[10:11], -1
	s_and_b64 vcc, exec, s[12:13]
	s_cbranch_vccnz .LBB22_2877
; %bb.2872:
	v_cmp_gt_i16_sdwa s[12:13], v14, v3 src0_sel:BYTE_0 src1_sel:DWORD
	s_and_b64 vcc, exec, s[12:13]
	v_cvt_u32_f64_e32 v3, v[4:5]
	s_cbranch_vccz .LBB22_2874
; %bb.2873:
	s_mov_b64 s[10:11], 0
	global_store_dword v[0:1], v3, off
.LBB22_2874:
	s_andn2_b64 vcc, exec, s[10:11]
	s_cbranch_vccnz .LBB22_2876
; %bb.2875:
	global_store_short v[0:1], v3, off
.LBB22_2876:
	s_mov_b64 s[10:11], 0
.LBB22_2877:
	s_andn2_b64 vcc, exec, s[10:11]
	s_cbranch_vccnz .LBB22_2885
; %bb.2878:
	v_cvt_f32_f64_e32 v3, v[4:5]
	v_and_b32_e32 v6, 0x7fffffff, v3
	s_mov_b32 s10, 0x43800000
	v_cmp_gt_u32_e32 vcc, s10, v6
	v_mov_b32_e32 v7, 0x80
	s_and_saveexec_b64 s[10:11], vcc
	s_cbranch_execz .LBB22_2884
; %bb.2879:
	s_mov_b32 s12, 0x3bffffff
	v_cmp_lt_u32_e32 vcc, s12, v6
	s_mov_b64 s[12:13], 0
                                        ; implicit-def: $vgpr6
	s_and_saveexec_b64 s[14:15], vcc
	s_xor_b64 s[14:15], exec, s[14:15]
	s_cbranch_execz .LBB22_2980
; %bb.2880:
	v_bfe_u32 v6, v3, 20, 1
	s_mov_b32 s17, 0x487ffff
	v_add3_u32 v6, v3, v6, s17
	s_mov_b64 s[12:13], exec
	v_lshrrev_b32_e32 v6, 20, v6
	s_or_saveexec_b64 s[14:15], s[14:15]
                                        ; implicit-def: $sgpr17
	s_xor_b64 exec, exec, s[14:15]
	s_cbranch_execnz .LBB22_2981
.LBB22_2881:
	s_or_b64 exec, exec, s[14:15]
	v_mov_b32_e32 v7, s17
	s_and_saveexec_b64 s[14:15], s[12:13]
.LBB22_2882:
	v_lshrrev_b32_e32 v3, 24, v3
	s_movk_i32 s12, 0x80
	v_and_or_b32 v7, v3, s12, v6
.LBB22_2883:
	s_or_b64 exec, exec, s[14:15]
.LBB22_2884:
	s_or_b64 exec, exec, s[10:11]
	global_store_byte v[0:1], v7, off
.LBB22_2885:
	s_mov_b64 s[10:11], -1
.LBB22_2886:
	s_mov_b64 s[12:13], 0
.LBB22_2887:
	s_and_b64 vcc, exec, s[12:13]
	s_cbranch_vccz .LBB22_2927
; %bb.2888:
	v_mov_b32_e32 v3, 22
	v_cmp_gt_i16_sdwa s[12:13], v14, v3 src0_sel:BYTE_0 src1_sel:DWORD
	s_mov_b64 s[2:3], -1
	s_and_b64 vcc, exec, s[12:13]
	s_cbranch_vccz .LBB22_2920
; %bb.2889:
	v_mov_b32_e32 v3, 24
	v_cmp_lt_i16_sdwa s[10:11], v14, v3 src0_sel:BYTE_0 src1_sel:DWORD
	s_and_b64 vcc, exec, s[10:11]
	s_cbranch_vccnz .LBB22_2909
; %bb.2890:
	v_cmp_gt_i16_sdwa s[10:11], v14, v3 src0_sel:BYTE_0 src1_sel:DWORD
	s_and_b64 vcc, exec, s[10:11]
	s_cbranch_vccz .LBB22_2898
; %bb.2891:
	v_cvt_f32_f64_e32 v3, v[4:5]
	v_and_b32_e32 v6, 0x7fffffff, v3
	s_mov_b32 s2, 0x47800000
	v_cmp_gt_u32_e32 vcc, s2, v6
	v_mov_b32_e32 v7, 0x80
	s_and_saveexec_b64 s[2:3], vcc
	s_cbranch_execz .LBB22_2897
; %bb.2892:
	s_mov_b32 s10, 0x37ffffff
	v_cmp_lt_u32_e32 vcc, s10, v6
	s_mov_b64 s[10:11], 0
                                        ; implicit-def: $vgpr6
	s_and_saveexec_b64 s[12:13], vcc
	s_xor_b64 s[12:13], exec, s[12:13]
	s_cbranch_execz .LBB22_2984
; %bb.2893:
	v_bfe_u32 v6, v3, 21, 1
	s_mov_b32 s14, 0x88fffff
	v_add3_u32 v6, v3, v6, s14
	s_mov_b64 s[10:11], exec
	v_lshrrev_b32_e32 v6, 21, v6
	s_or_saveexec_b64 s[12:13], s[12:13]
                                        ; implicit-def: $sgpr14
	s_xor_b64 exec, exec, s[12:13]
	s_cbranch_execnz .LBB22_2985
.LBB22_2894:
	s_or_b64 exec, exec, s[12:13]
	v_mov_b32_e32 v7, s14
	s_and_saveexec_b64 s[12:13], s[10:11]
.LBB22_2895:
	v_lshrrev_b32_e32 v3, 24, v3
	s_movk_i32 s10, 0x80
	v_and_or_b32 v7, v3, s10, v6
.LBB22_2896:
	s_or_b64 exec, exec, s[12:13]
.LBB22_2897:
	s_or_b64 exec, exec, s[2:3]
	s_mov_b64 s[2:3], 0
	global_store_byte v[0:1], v7, off
.LBB22_2898:
	s_and_b64 vcc, exec, s[2:3]
	s_cbranch_vccz .LBB22_2908
; %bb.2899:
	v_cvt_f32_f64_e32 v3, v[4:5]
	v_and_b32_e32 v7, 0x7fffffff, v3
	s_mov_b32 s2, 0x43f00000
	v_cmp_gt_u32_e32 vcc, s2, v7
                                        ; implicit-def: $vgpr6
	s_and_saveexec_b64 s[2:3], vcc
	s_xor_b64 s[2:3], exec, s[2:3]
	s_cbranch_execz .LBB22_2905
; %bb.2900:
	s_mov_b32 s10, 0x3c7fffff
	v_cmp_lt_u32_e32 vcc, s10, v7
                                        ; implicit-def: $vgpr6
	s_and_saveexec_b64 s[10:11], vcc
	s_xor_b64 s[10:11], exec, s[10:11]
; %bb.2901:
	v_bfe_u32 v6, v3, 20, 1
	s_mov_b32 s12, 0x407ffff
	v_add3_u32 v6, v3, v6, s12
	v_lshrrev_b32_e32 v7, 20, v6
	v_and_b32_e32 v6, 0xff00000, v6
	s_mov_b32 s12, 0x7f00000
	v_mov_b32_e32 v10, 0x7e
	v_cmp_ne_u32_e32 vcc, s12, v6
	v_cndmask_b32_e32 v6, v10, v7, vcc
; %bb.2902:
	s_andn2_saveexec_b64 s[10:11], s[10:11]
; %bb.2903:
	s_mov_b32 s12, 0x46800000
	v_add_f32_e64 v6, |v3|, s12
; %bb.2904:
	s_or_b64 exec, exec, s[10:11]
                                        ; implicit-def: $vgpr7
.LBB22_2905:
	s_andn2_saveexec_b64 s[2:3], s[2:3]
; %bb.2906:
	s_mov_b32 s10, 0x7f800000
	v_mov_b32_e32 v6, 0x7e
	v_mov_b32_e32 v10, 0x7f
	v_cmp_lt_u32_e32 vcc, s10, v7
	v_cndmask_b32_e32 v6, v6, v10, vcc
; %bb.2907:
	s_or_b64 exec, exec, s[2:3]
	v_lshrrev_b32_e32 v3, 24, v3
	s_movk_i32 s2, 0x80
	v_and_or_b32 v3, v3, s2, v6
	global_store_byte v[0:1], v3, off
.LBB22_2908:
	s_mov_b64 s[2:3], 0
.LBB22_2909:
	s_andn2_b64 vcc, exec, s[2:3]
	s_cbranch_vccnz .LBB22_2919
; %bb.2910:
	v_cvt_f32_f64_e32 v3, v[4:5]
	v_and_b32_e32 v7, 0x7fffffff, v3
	s_mov_b32 s2, 0x47800000
	v_cmp_gt_u32_e32 vcc, s2, v7
                                        ; implicit-def: $vgpr6
	s_and_saveexec_b64 s[2:3], vcc
	s_xor_b64 s[2:3], exec, s[2:3]
	s_cbranch_execz .LBB22_2916
; %bb.2911:
	s_mov_b32 s10, 0x387fffff
	v_cmp_lt_u32_e32 vcc, s10, v7
                                        ; implicit-def: $vgpr6
	s_and_saveexec_b64 s[10:11], vcc
	s_xor_b64 s[10:11], exec, s[10:11]
; %bb.2912:
	v_bfe_u32 v6, v3, 21, 1
	s_mov_b32 s12, 0x80fffff
	v_add3_u32 v6, v3, v6, s12
	v_lshrrev_b32_e32 v6, 21, v6
; %bb.2913:
	s_andn2_saveexec_b64 s[10:11], s[10:11]
; %bb.2914:
	s_mov_b32 s12, 0x43000000
	v_add_f32_e64 v6, |v3|, s12
; %bb.2915:
	s_or_b64 exec, exec, s[10:11]
                                        ; implicit-def: $vgpr7
.LBB22_2916:
	s_andn2_saveexec_b64 s[2:3], s[2:3]
; %bb.2917:
	s_mov_b32 s10, 0x7f800000
	v_mov_b32_e32 v6, 0x7c
	v_mov_b32_e32 v10, 0x7f
	v_cmp_lt_u32_e32 vcc, s10, v7
	v_cndmask_b32_e32 v6, v6, v10, vcc
; %bb.2918:
	s_or_b64 exec, exec, s[2:3]
	v_lshrrev_b32_e32 v3, 24, v3
	s_movk_i32 s2, 0x80
	v_and_or_b32 v3, v3, s2, v6
	global_store_byte v[0:1], v3, off
.LBB22_2919:
	s_mov_b64 s[2:3], 0
	s_mov_b64 s[10:11], -1
.LBB22_2920:
	s_andn2_b64 vcc, exec, s[2:3]
	s_mov_b64 s[2:3], 0
	s_cbranch_vccnz .LBB22_2927
; %bb.2921:
	v_mov_b32_e32 v3, 14
	v_cmp_gt_i16_sdwa s[2:3], v14, v3 src0_sel:BYTE_0 src1_sel:DWORD
	s_mov_b64 s[12:13], -1
	s_and_b64 vcc, exec, s[2:3]
	s_cbranch_vccz .LBB22_2925
; %bb.2922:
	v_mov_b32_e32 v3, 15
	v_cmp_eq_u16_sdwa s[2:3], v14, v3 src0_sel:BYTE_0 src1_sel:DWORD
	s_mov_b64 s[0:1], -1
	s_and_b64 vcc, exec, s[2:3]
	s_cbranch_vccz .LBB22_2924
; %bb.2923:
	v_cvt_f32_f64_e32 v3, v[4:5]
	v_bfe_u32 v6, v3, 16, 1
	s_movk_i32 s0, 0x7fff
	v_add3_u32 v6, v3, v6, s0
	v_lshrrev_b32_e32 v6, 16, v6
	v_mov_b32_e32 v7, 0x7fc0
	v_cmp_o_f32_e32 vcc, v3, v3
	v_cndmask_b32_e32 v3, v7, v6, vcc
	global_store_short v[0:1], v3, off
	s_mov_b64 s[0:1], 0
	s_mov_b64 s[10:11], -1
.LBB22_2924:
	s_mov_b64 s[12:13], 0
.LBB22_2925:
	s_mov_b64 s[2:3], 0
	s_and_b64 vcc, exec, s[12:13]
	s_cbranch_vccz .LBB22_2927
; %bb.2926:
	v_mov_b32_e32 v3, 11
	v_cmp_ne_u16_sdwa s[0:1], v14, v3 src0_sel:BYTE_0 src1_sel:DWORD
	s_mov_b64 s[2:3], -1
.LBB22_2927:
	s_and_b64 vcc, exec, s[0:1]
	s_cbranch_vccnz .LBB22_2983
; %bb.2928:
	s_andn2_b64 vcc, exec, s[2:3]
	s_cbranch_vccnz .LBB22_2930
.LBB22_2929:
	v_cmp_neq_f64_e32 vcc, 0, v[4:5]
	v_cndmask_b32_e64 v3, 0, 1, vcc
	s_mov_b64 s[10:11], -1
	global_store_byte v[0:1], v3, off
.LBB22_2930:
	s_mov_b64 s[0:1], 0
.LBB22_2931:
	s_and_b64 vcc, exec, s[0:1]
	s_cbranch_vccz .LBB22_2970
; %bb.2932:
	v_mov_b32_e32 v3, 5
	v_cmp_lt_i16_sdwa s[2:3], v14, v3 src0_sel:BYTE_0 src1_sel:DWORD
	s_mov_b64 s[0:1], -1
	s_and_b64 vcc, exec, s[2:3]
	s_cbranch_vccnz .LBB22_2953
; %bb.2933:
	v_mov_b32_e32 v3, 8
	v_cmp_lt_i16_sdwa s[2:3], v14, v3 src0_sel:BYTE_0 src1_sel:DWORD
	s_and_b64 vcc, exec, s[2:3]
	s_cbranch_vccnz .LBB22_2943
; %bb.2934:
	v_mov_b32_e32 v3, 9
	v_cmp_lt_i16_sdwa s[2:3], v14, v3 src0_sel:BYTE_0 src1_sel:DWORD
	s_and_b64 vcc, exec, s[2:3]
	s_cbranch_vccnz .LBB22_2940
; %bb.2935:
	v_cmp_gt_i16_sdwa s[2:3], v14, v3 src0_sel:BYTE_0 src1_sel:DWORD
	s_and_b64 vcc, exec, s[2:3]
	s_cbranch_vccz .LBB22_2937
; %bb.2936:
	v_mov_b32_e32 v6, 0
	v_mov_b32_e32 v7, v6
	global_store_dwordx4 v[0:1], v[4:7], off
	s_mov_b64 s[0:1], 0
.LBB22_2937:
	s_andn2_b64 vcc, exec, s[0:1]
	s_cbranch_vccnz .LBB22_2939
; %bb.2938:
	v_cvt_f32_f64_e32 v6, v[4:5]
	v_mov_b32_e32 v7, 0
	global_store_dwordx2 v[0:1], v[6:7], off
.LBB22_2939:
	s_mov_b64 s[0:1], 0
.LBB22_2940:
	s_andn2_b64 vcc, exec, s[0:1]
	s_cbranch_vccnz .LBB22_2942
; %bb.2941:
	v_cvt_f32_f64_e32 v3, v[4:5]
	v_cvt_f16_f32_e32 v3, v3
	global_store_dword v[0:1], v3, off
.LBB22_2942:
	s_mov_b64 s[0:1], 0
.LBB22_2943:
	s_andn2_b64 vcc, exec, s[0:1]
	s_cbranch_vccnz .LBB22_2952
; %bb.2944:
	v_mov_b32_e32 v3, 6
	v_cmp_lt_i16_sdwa s[2:3], v14, v3 src0_sel:BYTE_0 src1_sel:DWORD
	s_mov_b64 s[0:1], -1
	s_and_b64 vcc, exec, s[2:3]
	s_cbranch_vccnz .LBB22_2950
; %bb.2945:
	v_cmp_gt_i16_sdwa s[2:3], v14, v3 src0_sel:BYTE_0 src1_sel:DWORD
	s_and_b64 vcc, exec, s[2:3]
	s_cbranch_vccz .LBB22_2947
; %bb.2946:
	global_store_dwordx2 v[0:1], v[4:5], off
	s_mov_b64 s[0:1], 0
.LBB22_2947:
	s_andn2_b64 vcc, exec, s[0:1]
	s_cbranch_vccnz .LBB22_2949
; %bb.2948:
	v_cvt_f32_f64_e32 v3, v[4:5]
	global_store_dword v[0:1], v3, off
.LBB22_2949:
	s_mov_b64 s[0:1], 0
.LBB22_2950:
	s_andn2_b64 vcc, exec, s[0:1]
	s_cbranch_vccnz .LBB22_2952
; %bb.2951:
	v_cvt_f32_f64_e32 v3, v[4:5]
	v_cvt_f16_f32_e32 v3, v3
	global_store_short v[0:1], v3, off
.LBB22_2952:
	s_mov_b64 s[0:1], 0
.LBB22_2953:
	s_andn2_b64 vcc, exec, s[0:1]
	s_cbranch_vccnz .LBB22_2969
; %bb.2954:
	v_mov_b32_e32 v3, 2
	v_cmp_lt_i16_sdwa s[2:3], v14, v3 src0_sel:BYTE_0 src1_sel:DWORD
	s_mov_b64 s[0:1], -1
	s_and_b64 vcc, exec, s[2:3]
	s_cbranch_vccnz .LBB22_2964
; %bb.2955:
	v_mov_b32_e32 v3, 3
	v_cmp_lt_i16_sdwa s[2:3], v14, v3 src0_sel:BYTE_0 src1_sel:DWORD
	s_and_b64 vcc, exec, s[2:3]
	s_cbranch_vccnz .LBB22_2961
; %bb.2956:
	v_cmp_gt_i16_sdwa s[2:3], v14, v3 src0_sel:BYTE_0 src1_sel:DWORD
	s_and_b64 vcc, exec, s[2:3]
	s_cbranch_vccz .LBB22_2958
; %bb.2957:
	v_trunc_f64_e32 v[6:7], v[4:5]
	s_movk_i32 s0, 0xffe0
	v_ldexp_f64 v[10:11], v[6:7], s0
	v_floor_f64_e32 v[10:11], v[10:11]
	v_fmac_f64_e32 v[6:7], 0xc1f00000, v[10:11]
	v_cvt_i32_f64_e32 v17, v[10:11]
	v_cvt_u32_f64_e32 v16, v[6:7]
	global_store_dwordx2 v[0:1], v[16:17], off
	s_mov_b64 s[0:1], 0
.LBB22_2958:
	s_andn2_b64 vcc, exec, s[0:1]
	s_cbranch_vccnz .LBB22_2960
; %bb.2959:
	v_cvt_i32_f64_e32 v3, v[4:5]
	global_store_dword v[0:1], v3, off
.LBB22_2960:
	s_mov_b64 s[0:1], 0
.LBB22_2961:
	s_andn2_b64 vcc, exec, s[0:1]
	s_cbranch_vccnz .LBB22_2963
; %bb.2962:
	v_cvt_i32_f64_e32 v3, v[4:5]
	global_store_short v[0:1], v3, off
.LBB22_2963:
	s_mov_b64 s[0:1], 0
.LBB22_2964:
	s_andn2_b64 vcc, exec, s[0:1]
	s_cbranch_vccnz .LBB22_2969
; %bb.2965:
	v_mov_b32_e32 v3, 0
	v_cmp_gt_i16_sdwa s[2:3], v14, v3 src0_sel:BYTE_0 src1_sel:DWORD
	s_mov_b64 s[0:1], -1
	s_and_b64 vcc, exec, s[2:3]
	s_cbranch_vccz .LBB22_2967
; %bb.2966:
	v_cvt_i32_f64_e32 v3, v[4:5]
	global_store_byte v[0:1], v3, off
	s_mov_b64 s[0:1], 0
.LBB22_2967:
	s_andn2_b64 vcc, exec, s[0:1]
	s_cbranch_vccnz .LBB22_2969
; %bb.2968:
	v_trunc_f64_e32 v[4:5], v[4:5]
	s_movk_i32 s0, 0xffe0
	v_ldexp_f64 v[6:7], v[4:5], s0
	v_floor_f64_e32 v[6:7], v[6:7]
	v_fmac_f64_e32 v[4:5], 0xc1f00000, v[6:7]
	v_cvt_u32_f64_e32 v3, v[4:5]
	global_store_byte v[0:1], v3, off
.LBB22_2969:
	s_mov_b64 s[10:11], -1
.LBB22_2970:
	s_andn2_b64 vcc, exec, s[10:11]
	s_cbranch_vccnz .LBB22_3174
; %bb.2971:
	v_add_u32_e32 v2, s16, v2
	v_ashrrev_i32_e32 v1, 31, v2
	v_mov_b32_e32 v3, s9
	v_add_co_u32_e32 v0, vcc, s8, v2
	v_addc_co_u32_e32 v1, vcc, v3, v1, vcc
	v_mov_b32_e32 v3, 11
	v_cmp_lt_i16_sdwa s[0:1], v14, v3 src0_sel:BYTE_0 src1_sel:DWORD
	s_and_b64 vcc, exec, s[0:1]
	s_cbranch_vccnz .LBB22_2978
; %bb.2972:
	v_mov_b32_e32 v3, 25
	v_cmp_gt_i16_sdwa s[0:1], v14, v3 src0_sel:BYTE_0 src1_sel:DWORD
	s_mov_b64 s[12:13], -1
	s_mov_b64 s[2:3], 0
	s_and_b64 vcc, exec, s[0:1]
	s_mov_b64 s[10:11], 0
	s_mov_b64 s[0:1], 0
	s_cbranch_vccz .LBB22_3014
; %bb.2973:
	v_mov_b32_e32 v3, 28
	v_cmp_gt_i16_sdwa s[0:1], v14, v3 src0_sel:BYTE_0 src1_sel:DWORD
	s_and_b64 vcc, exec, s[0:1]
	s_cbranch_vccz .LBB22_2979
; %bb.2974:
	v_mov_b32_e32 v3, 43
	v_cmp_gt_i16_sdwa s[0:1], v14, v3 src0_sel:BYTE_0 src1_sel:DWORD
	s_and_b64 vcc, exec, s[0:1]
	;; [unrolled: 5-line block ×3, first 2 shown]
	s_cbranch_vccz .LBB22_2986
; %bb.2976:
	v_mov_b32_e32 v3, 46
	v_cmp_eq_u16_sdwa s[10:11], v14, v3 src0_sel:BYTE_0 src1_sel:DWORD
	s_mov_b64 s[0:1], -1
	s_mov_b64 s[12:13], 0
	s_and_b64 vcc, exec, s[10:11]
	s_mov_b64 s[10:11], 0
	s_cbranch_vccz .LBB22_2987
; %bb.2977:
	v_cvt_f32_f64_e32 v3, v[8:9]
	v_bfe_u32 v4, v3, 16, 1
	s_movk_i32 s0, 0x7fff
	v_add3_u32 v4, v3, v4, s0
	v_lshrrev_b32_e32 v4, 16, v4
	v_mov_b32_e32 v5, 0x7fc0
	v_cmp_o_f32_e32 vcc, v3, v3
	v_cndmask_b32_e32 v3, v5, v4, vcc
	global_store_dword v[0:1], v3, off
	s_mov_b64 s[0:1], 0
	s_mov_b64 s[10:11], -1
	s_branch .LBB22_2987
.LBB22_2978:
	s_mov_b64 s[0:1], -1
	s_mov_b64 s[10:11], 0
	s_branch .LBB22_3058
.LBB22_2979:
	s_mov_b64 s[0:1], 0
	s_branch .LBB22_2997
.LBB22_2980:
	s_or_saveexec_b64 s[14:15], s[14:15]
                                        ; implicit-def: $sgpr17
	s_xor_b64 exec, exec, s[14:15]
	s_cbranch_execz .LBB22_2881
.LBB22_2981:
	s_mov_b32 s17, 0x46000000
	v_add_f32_e64 v6, |v3|, s17
	v_and_b32_e32 v6, 0xff, v6
	v_cmp_ne_u32_e32 vcc, 0, v6
	s_andn2_b64 s[12:13], s[12:13], exec
	s_and_b64 s[20:21], vcc, exec
	s_mov_b32 s17, 0
	s_or_b64 s[12:13], s[12:13], s[20:21]
	s_or_b64 exec, exec, s[14:15]
	v_mov_b32_e32 v7, s17
	s_and_saveexec_b64 s[14:15], s[12:13]
	s_cbranch_execnz .LBB22_2882
	s_branch .LBB22_2883
.LBB22_2982:
	s_mov_b64 s[0:1], 0
	s_branch .LBB22_2993
.LBB22_2983:
	s_trap 2
	s_or_b64 s[18:19], s[18:19], exec
	s_cbranch_execz .LBB22_2929
	s_branch .LBB22_2930
.LBB22_2984:
	s_or_saveexec_b64 s[12:13], s[12:13]
                                        ; implicit-def: $sgpr14
	s_xor_b64 exec, exec, s[12:13]
	s_cbranch_execz .LBB22_2894
.LBB22_2985:
	s_mov_b32 s14, 0x42800000
	v_add_f32_e64 v6, |v3|, s14
	v_and_b32_e32 v6, 0xff, v6
	v_cmp_ne_u32_e32 vcc, 0, v6
	s_andn2_b64 s[10:11], s[10:11], exec
	s_and_b64 s[20:21], vcc, exec
	s_mov_b32 s14, 0
	s_or_b64 s[10:11], s[10:11], s[20:21]
	s_or_b64 exec, exec, s[12:13]
	v_mov_b32_e32 v7, s14
	s_and_saveexec_b64 s[12:13], s[10:11]
	s_cbranch_execnz .LBB22_2895
	s_branch .LBB22_2896
.LBB22_2986:
	s_mov_b64 s[0:1], 0
.LBB22_2987:
	s_and_b64 vcc, exec, s[12:13]
	s_cbranch_vccz .LBB22_2992
; %bb.2988:
	v_mov_b32_e32 v3, 44
	v_cmp_eq_u16_sdwa s[12:13], v14, v3 src0_sel:BYTE_0 src1_sel:DWORD
	s_mov_b64 s[0:1], -1
	s_and_b64 vcc, exec, s[12:13]
	s_cbranch_vccz .LBB22_2992
; %bb.2989:
	v_cvt_f32_f64_e32 v3, v[8:9]
	v_bfe_u32 v4, v3, 23, 8
	s_movk_i32 s0, 0xff
	v_cmp_ne_u32_e32 vcc, s0, v4
	v_mov_b32_e32 v5, 0xff
	s_and_saveexec_b64 s[10:11], vcc
; %bb.2990:
	s_mov_b32 s0, 0x3fffff
	v_lshrrev_b32_e32 v5, 23, v3
	v_and_b32_e32 v6, 0x400000, v3
	v_and_or_b32 v3, v3, s0, v4
	v_cmp_ne_u32_e32 vcc, 0, v6
	v_cmp_ne_u32_e64 s[0:1], 0, v3
	s_and_b64 s[0:1], vcc, s[0:1]
	v_cndmask_b32_e64 v3, 0, 1, s[0:1]
	v_add_u32_e32 v5, v5, v3
; %bb.2991:
	s_or_b64 exec, exec, s[10:11]
	s_mov_b64 s[0:1], 0
	s_mov_b64 s[10:11], -1
	global_store_byte v[0:1], v5, off
.LBB22_2992:
	s_mov_b64 s[12:13], 0
.LBB22_2993:
	s_and_b64 vcc, exec, s[12:13]
	s_cbranch_vccz .LBB22_2996
; %bb.2994:
	v_mov_b32_e32 v3, 29
	v_cmp_eq_u16_sdwa s[12:13], v14, v3 src0_sel:BYTE_0 src1_sel:DWORD
	s_mov_b64 s[0:1], -1
	s_and_b64 vcc, exec, s[12:13]
	s_cbranch_vccz .LBB22_2996
; %bb.2995:
	v_trunc_f64_e32 v[4:5], v[8:9]
	s_movk_i32 s0, 0xffe0
	v_ldexp_f64 v[6:7], v[4:5], s0
	v_floor_f64_e32 v[6:7], v[6:7]
	v_fmac_f64_e32 v[4:5], 0xc1f00000, v[6:7]
	v_cvt_u32_f64_e32 v11, v[6:7]
	v_cvt_u32_f64_e32 v10, v[4:5]
	global_store_dwordx2 v[0:1], v[10:11], off
	s_mov_b64 s[0:1], 0
	s_mov_b64 s[10:11], -1
.LBB22_2996:
	s_mov_b64 s[12:13], 0
.LBB22_2997:
	s_and_b64 vcc, exec, s[12:13]
	s_cbranch_vccz .LBB22_3013
; %bb.2998:
	v_mov_b32_e32 v3, 27
	v_cmp_lt_i16_sdwa s[12:13], v14, v3 src0_sel:BYTE_0 src1_sel:DWORD
	s_mov_b64 s[10:11], -1
	s_and_b64 vcc, exec, s[12:13]
	s_cbranch_vccnz .LBB22_3004
; %bb.2999:
	v_cmp_gt_i16_sdwa s[12:13], v14, v3 src0_sel:BYTE_0 src1_sel:DWORD
	s_and_b64 vcc, exec, s[12:13]
	v_cvt_u32_f64_e32 v3, v[8:9]
	s_cbranch_vccz .LBB22_3001
; %bb.3000:
	s_mov_b64 s[10:11], 0
	global_store_dword v[0:1], v3, off
.LBB22_3001:
	s_andn2_b64 vcc, exec, s[10:11]
	s_cbranch_vccnz .LBB22_3003
; %bb.3002:
	global_store_short v[0:1], v3, off
.LBB22_3003:
	s_mov_b64 s[10:11], 0
.LBB22_3004:
	s_andn2_b64 vcc, exec, s[10:11]
	s_cbranch_vccnz .LBB22_3012
; %bb.3005:
	v_cvt_f32_f64_e32 v3, v[8:9]
	v_and_b32_e32 v4, 0x7fffffff, v3
	s_mov_b32 s10, 0x43800000
	v_cmp_gt_u32_e32 vcc, s10, v4
	v_mov_b32_e32 v5, 0x80
	s_and_saveexec_b64 s[10:11], vcc
	s_cbranch_execz .LBB22_3011
; %bb.3006:
	s_mov_b32 s12, 0x3bffffff
	v_cmp_lt_u32_e32 vcc, s12, v4
	s_mov_b64 s[12:13], 0
                                        ; implicit-def: $vgpr4
	s_and_saveexec_b64 s[14:15], vcc
	s_xor_b64 s[14:15], exec, s[14:15]
	s_cbranch_execz .LBB22_3176
; %bb.3007:
	v_bfe_u32 v4, v3, 20, 1
	s_mov_b32 s17, 0x487ffff
	v_add3_u32 v4, v3, v4, s17
	s_mov_b64 s[12:13], exec
	v_lshrrev_b32_e32 v4, 20, v4
	s_or_saveexec_b64 s[14:15], s[14:15]
                                        ; implicit-def: $sgpr17
	s_xor_b64 exec, exec, s[14:15]
	s_cbranch_execnz .LBB22_3177
.LBB22_3008:
	s_or_b64 exec, exec, s[14:15]
	v_mov_b32_e32 v5, s17
	s_and_saveexec_b64 s[14:15], s[12:13]
.LBB22_3009:
	v_lshrrev_b32_e32 v3, 24, v3
	s_movk_i32 s12, 0x80
	v_and_or_b32 v5, v3, s12, v4
.LBB22_3010:
	s_or_b64 exec, exec, s[14:15]
.LBB22_3011:
	s_or_b64 exec, exec, s[10:11]
	global_store_byte v[0:1], v5, off
.LBB22_3012:
	s_mov_b64 s[10:11], -1
.LBB22_3013:
	s_mov_b64 s[12:13], 0
.LBB22_3014:
	s_and_b64 vcc, exec, s[12:13]
	s_cbranch_vccz .LBB22_3054
; %bb.3015:
	v_mov_b32_e32 v3, 22
	v_cmp_gt_i16_sdwa s[12:13], v14, v3 src0_sel:BYTE_0 src1_sel:DWORD
	s_mov_b64 s[2:3], -1
	s_and_b64 vcc, exec, s[12:13]
	s_cbranch_vccz .LBB22_3047
; %bb.3016:
	v_mov_b32_e32 v3, 24
	v_cmp_lt_i16_sdwa s[10:11], v14, v3 src0_sel:BYTE_0 src1_sel:DWORD
	s_and_b64 vcc, exec, s[10:11]
	s_cbranch_vccnz .LBB22_3036
; %bb.3017:
	v_cmp_gt_i16_sdwa s[10:11], v14, v3 src0_sel:BYTE_0 src1_sel:DWORD
	s_and_b64 vcc, exec, s[10:11]
	s_cbranch_vccz .LBB22_3025
; %bb.3018:
	v_cvt_f32_f64_e32 v3, v[8:9]
	v_and_b32_e32 v4, 0x7fffffff, v3
	s_mov_b32 s2, 0x47800000
	v_cmp_gt_u32_e32 vcc, s2, v4
	v_mov_b32_e32 v5, 0x80
	s_and_saveexec_b64 s[2:3], vcc
	s_cbranch_execz .LBB22_3024
; %bb.3019:
	s_mov_b32 s10, 0x37ffffff
	v_cmp_lt_u32_e32 vcc, s10, v4
	s_mov_b64 s[10:11], 0
                                        ; implicit-def: $vgpr4
	s_and_saveexec_b64 s[12:13], vcc
	s_xor_b64 s[12:13], exec, s[12:13]
	s_cbranch_execz .LBB22_3179
; %bb.3020:
	v_bfe_u32 v4, v3, 21, 1
	s_mov_b32 s14, 0x88fffff
	v_add3_u32 v4, v3, v4, s14
	s_mov_b64 s[10:11], exec
	v_lshrrev_b32_e32 v4, 21, v4
	s_or_saveexec_b64 s[12:13], s[12:13]
                                        ; implicit-def: $sgpr14
	s_xor_b64 exec, exec, s[12:13]
	s_cbranch_execnz .LBB22_3180
.LBB22_3021:
	s_or_b64 exec, exec, s[12:13]
	v_mov_b32_e32 v5, s14
	s_and_saveexec_b64 s[12:13], s[10:11]
.LBB22_3022:
	v_lshrrev_b32_e32 v3, 24, v3
	s_movk_i32 s10, 0x80
	v_and_or_b32 v5, v3, s10, v4
.LBB22_3023:
	s_or_b64 exec, exec, s[12:13]
.LBB22_3024:
	s_or_b64 exec, exec, s[2:3]
	s_mov_b64 s[2:3], 0
	global_store_byte v[0:1], v5, off
.LBB22_3025:
	s_and_b64 vcc, exec, s[2:3]
	s_cbranch_vccz .LBB22_3035
; %bb.3026:
	v_cvt_f32_f64_e32 v3, v[8:9]
	v_and_b32_e32 v5, 0x7fffffff, v3
	s_mov_b32 s2, 0x43f00000
	v_cmp_gt_u32_e32 vcc, s2, v5
                                        ; implicit-def: $vgpr4
	s_and_saveexec_b64 s[2:3], vcc
	s_xor_b64 s[2:3], exec, s[2:3]
	s_cbranch_execz .LBB22_3032
; %bb.3027:
	s_mov_b32 s10, 0x3c7fffff
	v_cmp_lt_u32_e32 vcc, s10, v5
                                        ; implicit-def: $vgpr4
	s_and_saveexec_b64 s[10:11], vcc
	s_xor_b64 s[10:11], exec, s[10:11]
; %bb.3028:
	v_bfe_u32 v4, v3, 20, 1
	s_mov_b32 s12, 0x407ffff
	v_add3_u32 v4, v3, v4, s12
	v_lshrrev_b32_e32 v5, 20, v4
	v_and_b32_e32 v4, 0xff00000, v4
	s_mov_b32 s12, 0x7f00000
	v_mov_b32_e32 v6, 0x7e
	v_cmp_ne_u32_e32 vcc, s12, v4
	v_cndmask_b32_e32 v4, v6, v5, vcc
; %bb.3029:
	s_andn2_saveexec_b64 s[10:11], s[10:11]
; %bb.3030:
	s_mov_b32 s12, 0x46800000
	v_add_f32_e64 v4, |v3|, s12
; %bb.3031:
	s_or_b64 exec, exec, s[10:11]
                                        ; implicit-def: $vgpr5
.LBB22_3032:
	s_andn2_saveexec_b64 s[2:3], s[2:3]
; %bb.3033:
	s_mov_b32 s10, 0x7f800000
	v_mov_b32_e32 v4, 0x7e
	v_mov_b32_e32 v6, 0x7f
	v_cmp_lt_u32_e32 vcc, s10, v5
	v_cndmask_b32_e32 v4, v4, v6, vcc
; %bb.3034:
	s_or_b64 exec, exec, s[2:3]
	v_lshrrev_b32_e32 v3, 24, v3
	s_movk_i32 s2, 0x80
	v_and_or_b32 v3, v3, s2, v4
	global_store_byte v[0:1], v3, off
.LBB22_3035:
	s_mov_b64 s[2:3], 0
.LBB22_3036:
	s_andn2_b64 vcc, exec, s[2:3]
	s_cbranch_vccnz .LBB22_3046
; %bb.3037:
	v_cvt_f32_f64_e32 v3, v[8:9]
	v_and_b32_e32 v5, 0x7fffffff, v3
	s_mov_b32 s2, 0x47800000
	v_cmp_gt_u32_e32 vcc, s2, v5
                                        ; implicit-def: $vgpr4
	s_and_saveexec_b64 s[2:3], vcc
	s_xor_b64 s[2:3], exec, s[2:3]
	s_cbranch_execz .LBB22_3043
; %bb.3038:
	s_mov_b32 s10, 0x387fffff
	v_cmp_lt_u32_e32 vcc, s10, v5
                                        ; implicit-def: $vgpr4
	s_and_saveexec_b64 s[10:11], vcc
	s_xor_b64 s[10:11], exec, s[10:11]
; %bb.3039:
	v_bfe_u32 v4, v3, 21, 1
	s_mov_b32 s12, 0x80fffff
	v_add3_u32 v4, v3, v4, s12
	v_lshrrev_b32_e32 v4, 21, v4
; %bb.3040:
	s_andn2_saveexec_b64 s[10:11], s[10:11]
; %bb.3041:
	s_mov_b32 s12, 0x43000000
	v_add_f32_e64 v4, |v3|, s12
; %bb.3042:
	s_or_b64 exec, exec, s[10:11]
                                        ; implicit-def: $vgpr5
.LBB22_3043:
	s_andn2_saveexec_b64 s[2:3], s[2:3]
; %bb.3044:
	s_mov_b32 s10, 0x7f800000
	v_mov_b32_e32 v4, 0x7c
	v_mov_b32_e32 v6, 0x7f
	v_cmp_lt_u32_e32 vcc, s10, v5
	v_cndmask_b32_e32 v4, v4, v6, vcc
; %bb.3045:
	s_or_b64 exec, exec, s[2:3]
	v_lshrrev_b32_e32 v3, 24, v3
	s_movk_i32 s2, 0x80
	v_and_or_b32 v3, v3, s2, v4
	global_store_byte v[0:1], v3, off
.LBB22_3046:
	s_mov_b64 s[2:3], 0
	s_mov_b64 s[10:11], -1
.LBB22_3047:
	s_andn2_b64 vcc, exec, s[2:3]
	s_mov_b64 s[2:3], 0
	s_cbranch_vccnz .LBB22_3054
; %bb.3048:
	v_mov_b32_e32 v3, 14
	v_cmp_gt_i16_sdwa s[2:3], v14, v3 src0_sel:BYTE_0 src1_sel:DWORD
	s_mov_b64 s[12:13], -1
	s_and_b64 vcc, exec, s[2:3]
	s_cbranch_vccz .LBB22_3052
; %bb.3049:
	v_mov_b32_e32 v3, 15
	v_cmp_eq_u16_sdwa s[2:3], v14, v3 src0_sel:BYTE_0 src1_sel:DWORD
	s_mov_b64 s[0:1], -1
	s_and_b64 vcc, exec, s[2:3]
	s_cbranch_vccz .LBB22_3051
; %bb.3050:
	v_cvt_f32_f64_e32 v3, v[8:9]
	v_bfe_u32 v4, v3, 16, 1
	s_movk_i32 s0, 0x7fff
	v_add3_u32 v4, v3, v4, s0
	v_lshrrev_b32_e32 v4, 16, v4
	v_mov_b32_e32 v5, 0x7fc0
	v_cmp_o_f32_e32 vcc, v3, v3
	v_cndmask_b32_e32 v3, v5, v4, vcc
	global_store_short v[0:1], v3, off
	s_mov_b64 s[0:1], 0
	s_mov_b64 s[10:11], -1
.LBB22_3051:
	s_mov_b64 s[12:13], 0
.LBB22_3052:
	s_mov_b64 s[2:3], 0
	s_and_b64 vcc, exec, s[12:13]
	s_cbranch_vccz .LBB22_3054
; %bb.3053:
	v_mov_b32_e32 v3, 11
	v_cmp_ne_u16_sdwa s[0:1], v14, v3 src0_sel:BYTE_0 src1_sel:DWORD
	s_mov_b64 s[2:3], -1
.LBB22_3054:
	s_and_b64 vcc, exec, s[0:1]
	s_cbranch_vccnz .LBB22_3178
; %bb.3055:
	s_andn2_b64 vcc, exec, s[2:3]
	s_cbranch_vccnz .LBB22_3057
.LBB22_3056:
	v_cmp_neq_f64_e32 vcc, 0, v[8:9]
	v_cndmask_b32_e64 v3, 0, 1, vcc
	s_mov_b64 s[10:11], -1
	global_store_byte v[0:1], v3, off
.LBB22_3057:
	s_mov_b64 s[0:1], 0
.LBB22_3058:
	s_and_b64 vcc, exec, s[0:1]
	s_cbranch_vccz .LBB22_3097
; %bb.3059:
	v_mov_b32_e32 v3, 5
	v_cmp_lt_i16_sdwa s[2:3], v14, v3 src0_sel:BYTE_0 src1_sel:DWORD
	s_mov_b64 s[0:1], -1
	s_and_b64 vcc, exec, s[2:3]
	s_cbranch_vccnz .LBB22_3080
; %bb.3060:
	v_mov_b32_e32 v3, 8
	v_cmp_lt_i16_sdwa s[2:3], v14, v3 src0_sel:BYTE_0 src1_sel:DWORD
	s_and_b64 vcc, exec, s[2:3]
	s_cbranch_vccnz .LBB22_3070
; %bb.3061:
	v_mov_b32_e32 v3, 9
	v_cmp_lt_i16_sdwa s[2:3], v14, v3 src0_sel:BYTE_0 src1_sel:DWORD
	s_and_b64 vcc, exec, s[2:3]
	s_cbranch_vccnz .LBB22_3067
; %bb.3062:
	v_cmp_gt_i16_sdwa s[2:3], v14, v3 src0_sel:BYTE_0 src1_sel:DWORD
	s_and_b64 vcc, exec, s[2:3]
	s_cbranch_vccz .LBB22_3064
; %bb.3063:
	v_mov_b32_e32 v10, 0
	v_mov_b32_e32 v11, v10
	global_store_dwordx4 v[0:1], v[8:11], off
	s_mov_b64 s[0:1], 0
.LBB22_3064:
	s_andn2_b64 vcc, exec, s[0:1]
	s_cbranch_vccnz .LBB22_3066
; %bb.3065:
	v_cvt_f32_f64_e32 v4, v[8:9]
	v_mov_b32_e32 v5, 0
	global_store_dwordx2 v[0:1], v[4:5], off
.LBB22_3066:
	s_mov_b64 s[0:1], 0
.LBB22_3067:
	s_andn2_b64 vcc, exec, s[0:1]
	s_cbranch_vccnz .LBB22_3069
; %bb.3068:
	v_cvt_f32_f64_e32 v3, v[8:9]
	v_cvt_f16_f32_e32 v3, v3
	global_store_dword v[0:1], v3, off
.LBB22_3069:
	s_mov_b64 s[0:1], 0
.LBB22_3070:
	s_andn2_b64 vcc, exec, s[0:1]
	s_cbranch_vccnz .LBB22_3079
; %bb.3071:
	v_mov_b32_e32 v3, 6
	v_cmp_lt_i16_sdwa s[2:3], v14, v3 src0_sel:BYTE_0 src1_sel:DWORD
	s_mov_b64 s[0:1], -1
	s_and_b64 vcc, exec, s[2:3]
	s_cbranch_vccnz .LBB22_3077
; %bb.3072:
	v_cmp_gt_i16_sdwa s[2:3], v14, v3 src0_sel:BYTE_0 src1_sel:DWORD
	s_and_b64 vcc, exec, s[2:3]
	s_cbranch_vccz .LBB22_3074
; %bb.3073:
	global_store_dwordx2 v[0:1], v[8:9], off
	s_mov_b64 s[0:1], 0
.LBB22_3074:
	s_andn2_b64 vcc, exec, s[0:1]
	s_cbranch_vccnz .LBB22_3076
; %bb.3075:
	v_cvt_f32_f64_e32 v3, v[8:9]
	global_store_dword v[0:1], v3, off
.LBB22_3076:
	s_mov_b64 s[0:1], 0
.LBB22_3077:
	s_andn2_b64 vcc, exec, s[0:1]
	s_cbranch_vccnz .LBB22_3079
; %bb.3078:
	v_cvt_f32_f64_e32 v3, v[8:9]
	v_cvt_f16_f32_e32 v3, v3
	global_store_short v[0:1], v3, off
.LBB22_3079:
	s_mov_b64 s[0:1], 0
.LBB22_3080:
	s_andn2_b64 vcc, exec, s[0:1]
	s_cbranch_vccnz .LBB22_3096
; %bb.3081:
	v_mov_b32_e32 v3, 2
	v_cmp_lt_i16_sdwa s[2:3], v14, v3 src0_sel:BYTE_0 src1_sel:DWORD
	s_mov_b64 s[0:1], -1
	s_and_b64 vcc, exec, s[2:3]
	s_cbranch_vccnz .LBB22_3091
; %bb.3082:
	v_mov_b32_e32 v3, 3
	v_cmp_lt_i16_sdwa s[2:3], v14, v3 src0_sel:BYTE_0 src1_sel:DWORD
	s_and_b64 vcc, exec, s[2:3]
	s_cbranch_vccnz .LBB22_3088
; %bb.3083:
	v_cmp_gt_i16_sdwa s[2:3], v14, v3 src0_sel:BYTE_0 src1_sel:DWORD
	s_and_b64 vcc, exec, s[2:3]
	s_cbranch_vccz .LBB22_3085
; %bb.3084:
	v_trunc_f64_e32 v[4:5], v[8:9]
	s_movk_i32 s0, 0xffe0
	v_ldexp_f64 v[6:7], v[4:5], s0
	v_floor_f64_e32 v[6:7], v[6:7]
	v_fmac_f64_e32 v[4:5], 0xc1f00000, v[6:7]
	v_cvt_i32_f64_e32 v11, v[6:7]
	v_cvt_u32_f64_e32 v10, v[4:5]
	global_store_dwordx2 v[0:1], v[10:11], off
	s_mov_b64 s[0:1], 0
.LBB22_3085:
	s_andn2_b64 vcc, exec, s[0:1]
	s_cbranch_vccnz .LBB22_3087
; %bb.3086:
	v_cvt_i32_f64_e32 v3, v[8:9]
	global_store_dword v[0:1], v3, off
.LBB22_3087:
	s_mov_b64 s[0:1], 0
.LBB22_3088:
	s_andn2_b64 vcc, exec, s[0:1]
	s_cbranch_vccnz .LBB22_3090
; %bb.3089:
	v_cvt_i32_f64_e32 v3, v[8:9]
	global_store_short v[0:1], v3, off
.LBB22_3090:
	s_mov_b64 s[0:1], 0
.LBB22_3091:
	s_andn2_b64 vcc, exec, s[0:1]
	s_cbranch_vccnz .LBB22_3096
; %bb.3092:
	v_mov_b32_e32 v3, 0
	v_cmp_gt_i16_sdwa s[2:3], v14, v3 src0_sel:BYTE_0 src1_sel:DWORD
	s_mov_b64 s[0:1], -1
	s_and_b64 vcc, exec, s[2:3]
	s_cbranch_vccz .LBB22_3094
; %bb.3093:
	v_cvt_i32_f64_e32 v3, v[8:9]
	global_store_byte v[0:1], v3, off
	s_mov_b64 s[0:1], 0
.LBB22_3094:
	s_andn2_b64 vcc, exec, s[0:1]
	s_cbranch_vccnz .LBB22_3096
; %bb.3095:
	v_trunc_f64_e32 v[4:5], v[8:9]
	s_movk_i32 s0, 0xffe0
	v_ldexp_f64 v[6:7], v[4:5], s0
	v_floor_f64_e32 v[6:7], v[6:7]
	v_fmac_f64_e32 v[4:5], 0xc1f00000, v[6:7]
	v_cvt_u32_f64_e32 v3, v[4:5]
	global_store_byte v[0:1], v3, off
.LBB22_3096:
	s_mov_b64 s[10:11], -1
.LBB22_3097:
	s_andn2_b64 vcc, exec, s[10:11]
	s_cbranch_vccnz .LBB22_3174
; %bb.3098:
	v_add_u32_e32 v0, s16, v2
	v_ashrrev_i32_e32 v1, 31, v0
	v_mov_b32_e32 v2, s9
	v_add_co_u32_e32 v0, vcc, s8, v0
	v_addc_co_u32_e32 v1, vcc, v2, v1, vcc
	v_and_b32_e32 v2, 0xff, v14
	v_cmp_gt_i16_e32 vcc, 11, v2
	s_cbranch_vccnz .LBB22_3175
; %bb.3099:
	v_cmp_lt_i16_e32 vcc, 25, v2
	s_mov_b64 s[8:9], -1
	s_mov_b64 s[2:3], 0
	s_mov_b64 s[0:1], 0
	s_cbranch_vccz .LBB22_3132
; %bb.3100:
	v_cmp_lt_i16_e32 vcc, 28, v2
	s_cbranch_vccz .LBB22_3116
; %bb.3101:
	v_cmp_lt_i16_e32 vcc, 43, v2
	s_cbranch_vccz .LBB22_3112
; %bb.3102:
	v_cmp_lt_i16_e32 vcc, 45, v2
	s_cbranch_vccz .LBB22_3106
; %bb.3103:
	v_cmp_eq_u16_e32 vcc, 46, v2
	s_mov_b64 s[0:1], -1
	s_cbranch_vccz .LBB22_3105
; %bb.3104:
	v_cvt_f32_f64_e32 v3, v[12:13]
	v_bfe_u32 v4, v3, 16, 1
	s_movk_i32 s0, 0x7fff
	v_add3_u32 v4, v3, v4, s0
	v_lshrrev_b32_e32 v4, 16, v4
	v_mov_b32_e32 v5, 0x7fc0
	v_cmp_o_f32_e32 vcc, v3, v3
	v_cndmask_b32_e32 v3, v5, v4, vcc
	global_store_dword v[0:1], v3, off
	s_mov_b64 s[0:1], 0
.LBB22_3105:
	s_mov_b64 s[8:9], 0
.LBB22_3106:
	s_and_b64 vcc, exec, s[8:9]
	s_cbranch_vccz .LBB22_3111
; %bb.3107:
	v_cmp_eq_u16_e32 vcc, 44, v2
	s_mov_b64 s[0:1], -1
	s_cbranch_vccz .LBB22_3111
; %bb.3108:
	v_cvt_f32_f64_e32 v3, v[12:13]
	v_bfe_u32 v4, v3, 23, 8
	s_movk_i32 s0, 0xff
	v_cmp_ne_u32_e32 vcc, s0, v4
	v_mov_b32_e32 v5, 0xff
	s_and_saveexec_b64 s[8:9], vcc
; %bb.3109:
	s_mov_b32 s0, 0x3fffff
	v_lshrrev_b32_e32 v5, 23, v3
	v_and_b32_e32 v6, 0x400000, v3
	v_and_or_b32 v3, v3, s0, v4
	v_cmp_ne_u32_e32 vcc, 0, v6
	v_cmp_ne_u32_e64 s[0:1], 0, v3
	s_and_b64 s[0:1], vcc, s[0:1]
	v_cndmask_b32_e64 v3, 0, 1, s[0:1]
	v_add_u32_e32 v5, v5, v3
; %bb.3110:
	s_or_b64 exec, exec, s[8:9]
	s_mov_b64 s[0:1], 0
	global_store_byte v[0:1], v5, off
.LBB22_3111:
	s_mov_b64 s[8:9], 0
.LBB22_3112:
	s_and_b64 vcc, exec, s[8:9]
	s_cbranch_vccz .LBB22_3115
; %bb.3113:
	v_cmp_eq_u16_e32 vcc, 29, v2
	s_mov_b64 s[0:1], -1
	s_cbranch_vccz .LBB22_3115
; %bb.3114:
	v_trunc_f64_e32 v[4:5], v[12:13]
	s_movk_i32 s0, 0xffe0
	v_ldexp_f64 v[6:7], v[4:5], s0
	v_floor_f64_e32 v[6:7], v[6:7]
	v_fmac_f64_e32 v[4:5], 0xc1f00000, v[6:7]
	v_cvt_u32_f64_e32 v9, v[6:7]
	v_cvt_u32_f64_e32 v8, v[4:5]
	global_store_dwordx2 v[0:1], v[8:9], off
	s_mov_b64 s[0:1], 0
.LBB22_3115:
	s_mov_b64 s[8:9], 0
.LBB22_3116:
	s_and_b64 vcc, exec, s[8:9]
	s_cbranch_vccz .LBB22_3131
; %bb.3117:
	v_cmp_gt_i16_e32 vcc, 27, v2
	s_mov_b64 s[8:9], -1
	s_cbranch_vccnz .LBB22_3123
; %bb.3118:
	v_cmp_lt_i16_e32 vcc, 27, v2
	v_cvt_u32_f64_e32 v3, v[12:13]
	s_cbranch_vccz .LBB22_3120
; %bb.3119:
	global_store_dword v[0:1], v3, off
	s_mov_b64 s[8:9], 0
.LBB22_3120:
	s_andn2_b64 vcc, exec, s[8:9]
	s_cbranch_vccnz .LBB22_3122
; %bb.3121:
	global_store_short v[0:1], v3, off
.LBB22_3122:
	s_mov_b64 s[8:9], 0
.LBB22_3123:
	s_andn2_b64 vcc, exec, s[8:9]
	s_cbranch_vccnz .LBB22_3131
; %bb.3124:
	v_cvt_f32_f64_e32 v3, v[12:13]
	v_and_b32_e32 v4, 0x7fffffff, v3
	s_mov_b32 s8, 0x43800000
	v_cmp_gt_u32_e32 vcc, s8, v4
	v_mov_b32_e32 v5, 0x80
	s_and_saveexec_b64 s[8:9], vcc
	s_cbranch_execz .LBB22_3130
; %bb.3125:
	s_mov_b32 s10, 0x3bffffff
	v_cmp_lt_u32_e32 vcc, s10, v4
	s_mov_b64 s[10:11], 0
                                        ; implicit-def: $vgpr4
	s_and_saveexec_b64 s[12:13], vcc
	s_xor_b64 s[12:13], exec, s[12:13]
	s_cbranch_execz .LBB22_3181
; %bb.3126:
	v_bfe_u32 v4, v3, 20, 1
	s_mov_b32 s14, 0x487ffff
	v_add3_u32 v4, v3, v4, s14
	s_mov_b64 s[10:11], exec
	v_lshrrev_b32_e32 v4, 20, v4
	s_or_saveexec_b64 s[12:13], s[12:13]
                                        ; implicit-def: $sgpr14
	s_xor_b64 exec, exec, s[12:13]
	s_cbranch_execnz .LBB22_3182
.LBB22_3127:
	s_or_b64 exec, exec, s[12:13]
	v_mov_b32_e32 v5, s14
	s_and_saveexec_b64 s[12:13], s[10:11]
.LBB22_3128:
	v_lshrrev_b32_e32 v3, 24, v3
	s_movk_i32 s10, 0x80
	v_and_or_b32 v5, v3, s10, v4
.LBB22_3129:
	s_or_b64 exec, exec, s[12:13]
.LBB22_3130:
	s_or_b64 exec, exec, s[8:9]
	global_store_byte v[0:1], v5, off
.LBB22_3131:
	s_mov_b64 s[8:9], 0
.LBB22_3132:
	s_and_b64 vcc, exec, s[8:9]
	s_cbranch_vccz .LBB22_3172
; %bb.3133:
	v_cmp_lt_i16_e32 vcc, 22, v2
	s_mov_b64 s[2:3], -1
	s_cbranch_vccz .LBB22_3165
; %bb.3134:
	v_cmp_gt_i16_e32 vcc, 24, v2
	s_cbranch_vccnz .LBB22_3154
; %bb.3135:
	v_cmp_lt_i16_e32 vcc, 24, v2
	s_cbranch_vccz .LBB22_3143
; %bb.3136:
	v_cvt_f32_f64_e32 v3, v[12:13]
	v_and_b32_e32 v4, 0x7fffffff, v3
	s_mov_b32 s2, 0x47800000
	v_cmp_gt_u32_e32 vcc, s2, v4
	v_mov_b32_e32 v5, 0x80
	s_and_saveexec_b64 s[2:3], vcc
	s_cbranch_execz .LBB22_3142
; %bb.3137:
	s_mov_b32 s8, 0x37ffffff
	v_cmp_lt_u32_e32 vcc, s8, v4
	s_mov_b64 s[8:9], 0
                                        ; implicit-def: $vgpr4
	s_and_saveexec_b64 s[10:11], vcc
	s_xor_b64 s[10:11], exec, s[10:11]
	s_cbranch_execz .LBB22_3184
; %bb.3138:
	v_bfe_u32 v4, v3, 21, 1
	s_mov_b32 s12, 0x88fffff
	v_add3_u32 v4, v3, v4, s12
	s_mov_b64 s[8:9], exec
	v_lshrrev_b32_e32 v4, 21, v4
	s_or_saveexec_b64 s[10:11], s[10:11]
                                        ; implicit-def: $sgpr12
	s_xor_b64 exec, exec, s[10:11]
	s_cbranch_execnz .LBB22_3185
.LBB22_3139:
	s_or_b64 exec, exec, s[10:11]
	v_mov_b32_e32 v5, s12
	s_and_saveexec_b64 s[10:11], s[8:9]
.LBB22_3140:
	v_lshrrev_b32_e32 v3, 24, v3
	s_movk_i32 s8, 0x80
	v_and_or_b32 v5, v3, s8, v4
.LBB22_3141:
	s_or_b64 exec, exec, s[10:11]
.LBB22_3142:
	s_or_b64 exec, exec, s[2:3]
	s_mov_b64 s[2:3], 0
	global_store_byte v[0:1], v5, off
.LBB22_3143:
	s_and_b64 vcc, exec, s[2:3]
	s_cbranch_vccz .LBB22_3153
; %bb.3144:
	v_cvt_f32_f64_e32 v3, v[12:13]
	v_and_b32_e32 v5, 0x7fffffff, v3
	s_mov_b32 s2, 0x43f00000
	v_cmp_gt_u32_e32 vcc, s2, v5
                                        ; implicit-def: $vgpr4
	s_and_saveexec_b64 s[2:3], vcc
	s_xor_b64 s[2:3], exec, s[2:3]
	s_cbranch_execz .LBB22_3150
; %bb.3145:
	s_mov_b32 s8, 0x3c7fffff
	v_cmp_lt_u32_e32 vcc, s8, v5
                                        ; implicit-def: $vgpr4
	s_and_saveexec_b64 s[8:9], vcc
	s_xor_b64 s[8:9], exec, s[8:9]
; %bb.3146:
	v_bfe_u32 v4, v3, 20, 1
	s_mov_b32 s10, 0x407ffff
	v_add3_u32 v4, v3, v4, s10
	v_lshrrev_b32_e32 v5, 20, v4
	v_and_b32_e32 v4, 0xff00000, v4
	s_mov_b32 s10, 0x7f00000
	v_mov_b32_e32 v6, 0x7e
	v_cmp_ne_u32_e32 vcc, s10, v4
	v_cndmask_b32_e32 v4, v6, v5, vcc
; %bb.3147:
	s_andn2_saveexec_b64 s[8:9], s[8:9]
; %bb.3148:
	s_mov_b32 s10, 0x46800000
	v_add_f32_e64 v4, |v3|, s10
; %bb.3149:
	s_or_b64 exec, exec, s[8:9]
                                        ; implicit-def: $vgpr5
.LBB22_3150:
	s_andn2_saveexec_b64 s[2:3], s[2:3]
; %bb.3151:
	s_mov_b32 s8, 0x7f800000
	v_mov_b32_e32 v4, 0x7e
	v_mov_b32_e32 v6, 0x7f
	v_cmp_lt_u32_e32 vcc, s8, v5
	v_cndmask_b32_e32 v4, v4, v6, vcc
; %bb.3152:
	s_or_b64 exec, exec, s[2:3]
	v_lshrrev_b32_e32 v3, 24, v3
	s_movk_i32 s2, 0x80
	v_and_or_b32 v3, v3, s2, v4
	global_store_byte v[0:1], v3, off
.LBB22_3153:
	s_mov_b64 s[2:3], 0
.LBB22_3154:
	s_andn2_b64 vcc, exec, s[2:3]
	s_cbranch_vccnz .LBB22_3164
; %bb.3155:
	v_cvt_f32_f64_e32 v3, v[12:13]
	v_and_b32_e32 v5, 0x7fffffff, v3
	s_mov_b32 s2, 0x47800000
	v_cmp_gt_u32_e32 vcc, s2, v5
                                        ; implicit-def: $vgpr4
	s_and_saveexec_b64 s[2:3], vcc
	s_xor_b64 s[2:3], exec, s[2:3]
	s_cbranch_execz .LBB22_3161
; %bb.3156:
	s_mov_b32 s8, 0x387fffff
	v_cmp_lt_u32_e32 vcc, s8, v5
                                        ; implicit-def: $vgpr4
	s_and_saveexec_b64 s[8:9], vcc
	s_xor_b64 s[8:9], exec, s[8:9]
; %bb.3157:
	v_bfe_u32 v4, v3, 21, 1
	s_mov_b32 s10, 0x80fffff
	v_add3_u32 v4, v3, v4, s10
	v_lshrrev_b32_e32 v4, 21, v4
; %bb.3158:
	s_andn2_saveexec_b64 s[8:9], s[8:9]
; %bb.3159:
	s_mov_b32 s10, 0x43000000
	v_add_f32_e64 v4, |v3|, s10
; %bb.3160:
	s_or_b64 exec, exec, s[8:9]
                                        ; implicit-def: $vgpr5
.LBB22_3161:
	s_andn2_saveexec_b64 s[2:3], s[2:3]
; %bb.3162:
	s_mov_b32 s8, 0x7f800000
	v_mov_b32_e32 v4, 0x7c
	v_mov_b32_e32 v6, 0x7f
	v_cmp_lt_u32_e32 vcc, s8, v5
	v_cndmask_b32_e32 v4, v4, v6, vcc
; %bb.3163:
	s_or_b64 exec, exec, s[2:3]
	v_lshrrev_b32_e32 v3, 24, v3
	s_movk_i32 s2, 0x80
	v_and_or_b32 v3, v3, s2, v4
	global_store_byte v[0:1], v3, off
.LBB22_3164:
	s_mov_b64 s[2:3], 0
.LBB22_3165:
	s_andn2_b64 vcc, exec, s[2:3]
	s_mov_b64 s[2:3], 0
	s_cbranch_vccnz .LBB22_3172
; %bb.3166:
	v_cmp_lt_i16_e32 vcc, 14, v2
	s_mov_b64 s[8:9], -1
	s_cbranch_vccz .LBB22_3170
; %bb.3167:
	v_cmp_eq_u16_e32 vcc, 15, v2
	s_mov_b64 s[0:1], -1
	s_cbranch_vccz .LBB22_3169
; %bb.3168:
	v_cvt_f32_f64_e32 v3, v[12:13]
	v_bfe_u32 v4, v3, 16, 1
	s_movk_i32 s0, 0x7fff
	v_add3_u32 v4, v3, v4, s0
	v_lshrrev_b32_e32 v4, 16, v4
	v_mov_b32_e32 v5, 0x7fc0
	v_cmp_o_f32_e32 vcc, v3, v3
	v_cndmask_b32_e32 v3, v5, v4, vcc
	global_store_short v[0:1], v3, off
	s_mov_b64 s[0:1], 0
.LBB22_3169:
	s_mov_b64 s[8:9], 0
.LBB22_3170:
	s_and_b64 vcc, exec, s[8:9]
	s_cbranch_vccz .LBB22_3172
; %bb.3171:
	v_cmp_ne_u16_e64 s[0:1], 11, v2
	s_mov_b64 s[2:3], -1
.LBB22_3172:
	s_and_b64 vcc, exec, s[0:1]
	s_cbranch_vccnz .LBB22_3183
.LBB22_3173:
	s_mov_b64 s[0:1], 0
	s_branch .LBB22_2684
.LBB22_3174:
	s_mov_b64 s[0:1], 0
                                        ; implicit-def: $vgpr2
                                        ; implicit-def: $vgpr0_vgpr1
	s_branch .LBB22_2683
.LBB22_3175:
	s_mov_b64 s[2:3], 0
	s_mov_b64 s[0:1], -1
	s_branch .LBB22_2684
.LBB22_3176:
	s_or_saveexec_b64 s[14:15], s[14:15]
                                        ; implicit-def: $sgpr17
	s_xor_b64 exec, exec, s[14:15]
	s_cbranch_execz .LBB22_3008
.LBB22_3177:
	s_mov_b32 s17, 0x46000000
	v_add_f32_e64 v4, |v3|, s17
	v_and_b32_e32 v4, 0xff, v4
	v_cmp_ne_u32_e32 vcc, 0, v4
	s_andn2_b64 s[12:13], s[12:13], exec
	s_and_b64 s[20:21], vcc, exec
	s_mov_b32 s17, 0
	s_or_b64 s[12:13], s[12:13], s[20:21]
	s_or_b64 exec, exec, s[14:15]
	v_mov_b32_e32 v5, s17
	s_and_saveexec_b64 s[14:15], s[12:13]
	s_cbranch_execnz .LBB22_3009
	s_branch .LBB22_3010
.LBB22_3178:
	s_trap 2
	s_or_b64 s[18:19], s[18:19], exec
	s_cbranch_execz .LBB22_3056
	s_branch .LBB22_3057
.LBB22_3179:
	s_or_saveexec_b64 s[12:13], s[12:13]
                                        ; implicit-def: $sgpr14
	s_xor_b64 exec, exec, s[12:13]
	s_cbranch_execz .LBB22_3021
.LBB22_3180:
	s_mov_b32 s14, 0x42800000
	v_add_f32_e64 v4, |v3|, s14
	v_and_b32_e32 v4, 0xff, v4
	v_cmp_ne_u32_e32 vcc, 0, v4
	s_andn2_b64 s[10:11], s[10:11], exec
	s_and_b64 s[20:21], vcc, exec
	s_mov_b32 s14, 0
	s_or_b64 s[10:11], s[10:11], s[20:21]
	s_or_b64 exec, exec, s[12:13]
	v_mov_b32_e32 v5, s14
	s_and_saveexec_b64 s[12:13], s[10:11]
	s_cbranch_execnz .LBB22_3022
	s_branch .LBB22_3023
.LBB22_3181:
	s_or_saveexec_b64 s[12:13], s[12:13]
                                        ; implicit-def: $sgpr14
	s_xor_b64 exec, exec, s[12:13]
	s_cbranch_execz .LBB22_3127
.LBB22_3182:
	s_mov_b32 s14, 0x46000000
	v_add_f32_e64 v4, |v3|, s14
	v_and_b32_e32 v4, 0xff, v4
	v_cmp_ne_u32_e32 vcc, 0, v4
	s_andn2_b64 s[10:11], s[10:11], exec
	s_and_b64 s[16:17], vcc, exec
	s_mov_b32 s14, 0
	s_or_b64 s[10:11], s[10:11], s[16:17]
	s_or_b64 exec, exec, s[12:13]
	v_mov_b32_e32 v5, s14
	s_and_saveexec_b64 s[12:13], s[10:11]
	s_cbranch_execnz .LBB22_3128
	s_branch .LBB22_3129
.LBB22_3183:
	s_mov_b64 s[2:3], 0
	s_or_b64 s[18:19], s[18:19], exec
	s_trap 2
	s_branch .LBB22_3173
.LBB22_3184:
	s_or_saveexec_b64 s[10:11], s[10:11]
                                        ; implicit-def: $sgpr12
	s_xor_b64 exec, exec, s[10:11]
	s_cbranch_execz .LBB22_3139
.LBB22_3185:
	s_mov_b32 s12, 0x42800000
	v_add_f32_e64 v4, |v3|, s12
	v_and_b32_e32 v4, 0xff, v4
	v_cmp_ne_u32_e32 vcc, 0, v4
	s_andn2_b64 s[8:9], s[8:9], exec
	s_and_b64 s[14:15], vcc, exec
	s_mov_b32 s12, 0
	s_or_b64 s[8:9], s[8:9], s[14:15]
	s_or_b64 exec, exec, s[10:11]
	v_mov_b32_e32 v5, s12
	s_and_saveexec_b64 s[10:11], s[8:9]
	s_cbranch_execnz .LBB22_3140
	s_branch .LBB22_3141
	.section	.rodata,"a",@progbits
	.p2align	6, 0x0
	.amdhsa_kernel _ZN2at6native32elementwise_kernel_manual_unrollILi128ELi4EZNS0_15gpu_kernel_implINS0_13BinaryFunctorIdddZZZNS0_12_GLOBAL__N_133hermite_polynomial_he_kernel_cudaERNS_18TensorIteratorBaseEENKUlvE_clEvENKUlvE_clEvEUlddE_EEEEvS6_RKT_EUlibE_EEviT1_
		.amdhsa_group_segment_fixed_size 0
		.amdhsa_private_segment_fixed_size 0
		.amdhsa_kernarg_size 48
		.amdhsa_user_sgpr_count 6
		.amdhsa_user_sgpr_private_segment_buffer 1
		.amdhsa_user_sgpr_dispatch_ptr 0
		.amdhsa_user_sgpr_queue_ptr 0
		.amdhsa_user_sgpr_kernarg_segment_ptr 1
		.amdhsa_user_sgpr_dispatch_id 0
		.amdhsa_user_sgpr_flat_scratch_init 0
		.amdhsa_user_sgpr_kernarg_preload_length 0
		.amdhsa_user_sgpr_kernarg_preload_offset 0
		.amdhsa_user_sgpr_private_segment_size 0
		.amdhsa_uses_dynamic_stack 0
		.amdhsa_system_sgpr_private_segment_wavefront_offset 0
		.amdhsa_system_sgpr_workgroup_id_x 1
		.amdhsa_system_sgpr_workgroup_id_y 0
		.amdhsa_system_sgpr_workgroup_id_z 0
		.amdhsa_system_sgpr_workgroup_info 0
		.amdhsa_system_vgpr_workitem_id 0
		.amdhsa_next_free_vgpr 22
		.amdhsa_next_free_sgpr 54
		.amdhsa_accum_offset 24
		.amdhsa_reserve_vcc 1
		.amdhsa_reserve_flat_scratch 0
		.amdhsa_float_round_mode_32 0
		.amdhsa_float_round_mode_16_64 0
		.amdhsa_float_denorm_mode_32 3
		.amdhsa_float_denorm_mode_16_64 3
		.amdhsa_dx10_clamp 1
		.amdhsa_ieee_mode 1
		.amdhsa_fp16_overflow 0
		.amdhsa_tg_split 0
		.amdhsa_exception_fp_ieee_invalid_op 0
		.amdhsa_exception_fp_denorm_src 0
		.amdhsa_exception_fp_ieee_div_zero 0
		.amdhsa_exception_fp_ieee_overflow 0
		.amdhsa_exception_fp_ieee_underflow 0
		.amdhsa_exception_fp_ieee_inexact 0
		.amdhsa_exception_int_div_zero 0
	.end_amdhsa_kernel
	.section	.text._ZN2at6native32elementwise_kernel_manual_unrollILi128ELi4EZNS0_15gpu_kernel_implINS0_13BinaryFunctorIdddZZZNS0_12_GLOBAL__N_133hermite_polynomial_he_kernel_cudaERNS_18TensorIteratorBaseEENKUlvE_clEvENKUlvE_clEvEUlddE_EEEEvS6_RKT_EUlibE_EEviT1_,"axG",@progbits,_ZN2at6native32elementwise_kernel_manual_unrollILi128ELi4EZNS0_15gpu_kernel_implINS0_13BinaryFunctorIdddZZZNS0_12_GLOBAL__N_133hermite_polynomial_he_kernel_cudaERNS_18TensorIteratorBaseEENKUlvE_clEvENKUlvE_clEvEUlddE_EEEEvS6_RKT_EUlibE_EEviT1_,comdat
.Lfunc_end22:
	.size	_ZN2at6native32elementwise_kernel_manual_unrollILi128ELi4EZNS0_15gpu_kernel_implINS0_13BinaryFunctorIdddZZZNS0_12_GLOBAL__N_133hermite_polynomial_he_kernel_cudaERNS_18TensorIteratorBaseEENKUlvE_clEvENKUlvE_clEvEUlddE_EEEEvS6_RKT_EUlibE_EEviT1_, .Lfunc_end22-_ZN2at6native32elementwise_kernel_manual_unrollILi128ELi4EZNS0_15gpu_kernel_implINS0_13BinaryFunctorIdddZZZNS0_12_GLOBAL__N_133hermite_polynomial_he_kernel_cudaERNS_18TensorIteratorBaseEENKUlvE_clEvENKUlvE_clEvEUlddE_EEEEvS6_RKT_EUlibE_EEviT1_
                                        ; -- End function
	.section	.AMDGPU.csdata,"",@progbits
; Kernel info:
; codeLenInByte = 56220
; NumSgprs: 58
; NumVgprs: 22
; NumAgprs: 0
; TotalNumVgprs: 22
; ScratchSize: 0
; MemoryBound: 1
; FloatMode: 240
; IeeeMode: 1
; LDSByteSize: 0 bytes/workgroup (compile time only)
; SGPRBlocks: 7
; VGPRBlocks: 2
; NumSGPRsForWavesPerEU: 58
; NumVGPRsForWavesPerEU: 22
; AccumOffset: 24
; Occupancy: 8
; WaveLimiterHint : 0
; COMPUTE_PGM_RSRC2:SCRATCH_EN: 0
; COMPUTE_PGM_RSRC2:USER_SGPR: 6
; COMPUTE_PGM_RSRC2:TRAP_HANDLER: 0
; COMPUTE_PGM_RSRC2:TGID_X_EN: 1
; COMPUTE_PGM_RSRC2:TGID_Y_EN: 0
; COMPUTE_PGM_RSRC2:TGID_Z_EN: 0
; COMPUTE_PGM_RSRC2:TIDIG_COMP_CNT: 0
; COMPUTE_PGM_RSRC3_GFX90A:ACCUM_OFFSET: 5
; COMPUTE_PGM_RSRC3_GFX90A:TG_SPLIT: 0
	.section	.text._ZN2at6native32elementwise_kernel_manual_unrollILi128ELi4EZNS0_15gpu_kernel_implINS0_13BinaryFunctorIdddZZZNS0_12_GLOBAL__N_133hermite_polynomial_he_kernel_cudaERNS_18TensorIteratorBaseEENKUlvE_clEvENKUlvE_clEvEUlddE_EEEEvS6_RKT_EUlibE0_EEviT1_,"axG",@progbits,_ZN2at6native32elementwise_kernel_manual_unrollILi128ELi4EZNS0_15gpu_kernel_implINS0_13BinaryFunctorIdddZZZNS0_12_GLOBAL__N_133hermite_polynomial_he_kernel_cudaERNS_18TensorIteratorBaseEENKUlvE_clEvENKUlvE_clEvEUlddE_EEEEvS6_RKT_EUlibE0_EEviT1_,comdat
	.globl	_ZN2at6native32elementwise_kernel_manual_unrollILi128ELi4EZNS0_15gpu_kernel_implINS0_13BinaryFunctorIdddZZZNS0_12_GLOBAL__N_133hermite_polynomial_he_kernel_cudaERNS_18TensorIteratorBaseEENKUlvE_clEvENKUlvE_clEvEUlddE_EEEEvS6_RKT_EUlibE0_EEviT1_ ; -- Begin function _ZN2at6native32elementwise_kernel_manual_unrollILi128ELi4EZNS0_15gpu_kernel_implINS0_13BinaryFunctorIdddZZZNS0_12_GLOBAL__N_133hermite_polynomial_he_kernel_cudaERNS_18TensorIteratorBaseEENKUlvE_clEvENKUlvE_clEvEUlddE_EEEEvS6_RKT_EUlibE0_EEviT1_
	.p2align	8
	.type	_ZN2at6native32elementwise_kernel_manual_unrollILi128ELi4EZNS0_15gpu_kernel_implINS0_13BinaryFunctorIdddZZZNS0_12_GLOBAL__N_133hermite_polynomial_he_kernel_cudaERNS_18TensorIteratorBaseEENKUlvE_clEvENKUlvE_clEvEUlddE_EEEEvS6_RKT_EUlibE0_EEviT1_,@function
_ZN2at6native32elementwise_kernel_manual_unrollILi128ELi4EZNS0_15gpu_kernel_implINS0_13BinaryFunctorIdddZZZNS0_12_GLOBAL__N_133hermite_polynomial_he_kernel_cudaERNS_18TensorIteratorBaseEENKUlvE_clEvENKUlvE_clEvEUlddE_EEEEvS6_RKT_EUlibE0_EEviT1_: ; @_ZN2at6native32elementwise_kernel_manual_unrollILi128ELi4EZNS0_15gpu_kernel_implINS0_13BinaryFunctorIdddZZZNS0_12_GLOBAL__N_133hermite_polynomial_he_kernel_cudaERNS_18TensorIteratorBaseEENKUlvE_clEvENKUlvE_clEvEUlddE_EEEEvS6_RKT_EUlibE0_EEviT1_
; %bb.0:
	s_load_dword s70, s[4:5], 0x0
	s_load_dword s33, s[4:5], 0x8
	s_or_b32 s2, s4, 8
	v_lshl_or_b32 v14, s6, 9, v0
	v_or_b32_e32 v24, 0x180, v14
	s_mov_b32 s3, s5
	s_waitcnt lgkmcnt(0)
	s_add_i32 s68, s33, -1
	s_cmp_gt_u32 s68, 1
	v_cmp_le_i32_e32 vcc, s70, v24
	s_cselect_b64 s[20:21], -1, 0
	s_mov_b64 s[6:7], 0
	s_mov_b64 s[12:13], 0
	s_and_saveexec_b64 s[0:1], vcc
	s_xor_b64 s[22:23], exec, s[0:1]
	s_cbranch_execz .LBB23_1633
; %bb.1:
	v_mov_b32_e32 v0, 0
	global_load_ushort v10, v0, s[2:3] offset:417
	global_load_sbyte v11, v0, s[2:3] offset:419
	s_load_dwordx4 s[16:19], s[2:3], 0x4
	s_load_dwordx2 s[28:29], s[2:3], 0x14
	s_load_dwordx4 s[12:15], s[2:3], 0xc4
	s_load_dwordx2 s[26:27], s[2:3], 0xd4
	s_load_dwordx2 s[24:25], s[2:3], 0x198
	s_load_dwordx4 s[8:11], s[2:3], 0x188
	s_cmp_lg_u32 s33, 0
	s_cselect_b64 s[34:35], -1, 0
	s_min_u32 s69, s68, 15
	s_cmp_gt_u32 s33, 1
	v_cmp_gt_i32_e32 vcc, s70, v14
	s_mov_b64 s[0:1], -1
	s_mov_b64 s[46:47], 0
	s_mov_b64 s[40:41], 0
	;; [unrolled: 1-line block ×3, first 2 shown]
	s_cselect_b64 s[30:31], -1, 0
	s_mov_b64 s[36:37], 0
	s_waitcnt vmcnt(1)
	v_lshrrev_b32_e32 v12, 8, v10
	s_and_saveexec_b64 s[42:43], vcc
	s_cbranch_execz .LBB23_405
; %bb.2:
	s_andn2_b64 vcc, exec, s[20:21]
	s_cbranch_vccnz .LBB23_9
; %bb.3:
	s_andn2_b64 vcc, exec, s[34:35]
	v_mov_b32_e32 v0, 0
	v_mov_b32_e32 v4, 0
	;; [unrolled: 1-line block ×3, first 2 shown]
	s_cbranch_vccnz .LBB23_8
; %bb.4:
	s_add_i32 s0, s69, 1
	s_and_b32 s36, s0, 30
	s_add_u32 s0, s2, 0xffffffec
	s_addc_u32 s1, s3, -1
	v_mov_b32_e32 v2, 0
	v_mov_b32_e32 v1, v14
	;; [unrolled: 1-line block ×4, first 2 shown]
.LBB23_5:                               ; =>This Inner Loop Header: Depth=1
	s_mov_b64 s[38:39], s[0:1]
	s_load_dwordx4 s[48:51], s[38:39], 0x18
	s_load_dwordx2 s[40:41], s[38:39], 0x28
	s_load_dwordx2 s[44:45], s[38:39], 0xe8
	s_load_dwordx4 s[52:55], s[38:39], 0xd8
	s_add_u32 s0, s38, 24
	s_waitcnt lgkmcnt(0)
	v_mul_hi_u32 v3, s49, v1
	v_add_u32_e32 v3, v1, v3
	v_lshrrev_b32_e32 v3, s50, v3
	v_mul_lo_u32 v5, v3, s48
	v_mul_hi_u32 v6, s40, v3
	v_sub_u32_e32 v1, v1, v5
	v_add_u32_e32 v5, v3, v6
	v_mul_lo_u32 v6, v1, s52
	v_mul_lo_u32 v7, v1, s53
	;; [unrolled: 1-line block ×3, first 2 shown]
	v_lshrrev_b32_e32 v1, s41, v5
	v_mul_lo_u32 v5, v1, s51
	v_sub_u32_e32 v3, v3, v5
	s_addc_u32 s1, s39, 0
	s_add_i32 s36, s36, -2
	v_mul_lo_u32 v5, v3, s55
	v_mul_lo_u32 v9, v3, s44
	;; [unrolled: 1-line block ×3, first 2 shown]
	s_cmp_lg_u32 s36, 0
	v_add3_u32 v2, v6, v2, v5
	v_add3_u32 v0, v8, v0, v3
	;; [unrolled: 1-line block ×3, first 2 shown]
	s_cbranch_scc1 .LBB23_5
; %bb.6:
	s_bitcmp1_b32 s69, 0
	s_cselect_b64 s[36:37], -1, 0
	s_and_b64 vcc, exec, s[36:37]
	s_cbranch_vccnz .LBB23_8
; %bb.7:
	s_load_dwordx2 s[36:37], s[0:1], 0x18
	s_load_dword s38, s[0:1], 0x20
	s_load_dword s39, s[0:1], 0xe0
	s_nop 0
	s_load_dwordx2 s[0:1], s[0:1], 0xd8
	s_waitcnt lgkmcnt(0)
	v_mul_hi_u32 v3, s37, v1
	v_add_u32_e32 v3, v1, v3
	v_lshrrev_b32_e32 v3, s38, v3
	v_mul_lo_u32 v3, v3, s36
	v_sub_u32_e32 v1, v1, v3
	v_mad_u64_u32 v[2:3], s[36:37], v1, s0, v[2:3]
	v_mad_u64_u32 v[4:5], s[0:1], v1, s1, v[4:5]
	;; [unrolled: 1-line block ×3, first 2 shown]
.LBB23_8:
	s_cbranch_execz .LBB23_10
	s_branch .LBB23_12
.LBB23_9:
                                        ; implicit-def: $vgpr0
                                        ; implicit-def: $vgpr4
                                        ; implicit-def: $vgpr2
	s_andn2_b64 vcc, exec, s[0:1]
	s_cbranch_vccnz .LBB23_12
.LBB23_10:
	s_waitcnt lgkmcnt(0)
	v_mul_hi_u32 v0, s17, v14
	v_add_u32_e32 v0, v14, v0
	v_lshrrev_b32_e32 v1, s18, v0
	v_mul_lo_u32 v0, v1, s16
	v_sub_u32_e32 v3, v14, v0
	v_mul_lo_u32 v2, v3, s12
	v_mul_lo_u32 v0, v3, s14
	s_andn2_b64 vcc, exec, s[30:31]
	v_mul_lo_u32 v4, v3, s13
	s_cbranch_vccnz .LBB23_12
; %bb.11:
	v_mul_hi_u32 v3, s28, v1
	v_add_u32_e32 v3, v1, v3
	v_lshrrev_b32_e32 v3, s29, v3
	v_mul_lo_u32 v3, v3, s19
	v_sub_u32_e32 v1, v1, v3
	v_mad_u64_u32 v[2:3], s[0:1], v1, s15, v[2:3]
	v_mad_u64_u32 v[4:5], s[0:1], v1, s26, v[4:5]
	;; [unrolled: 1-line block ×3, first 2 shown]
.LBB23_12:
	s_waitcnt lgkmcnt(0)
	v_mov_b32_e32 v1, s11
	v_add_co_u32_e32 v6, vcc, s10, v4
	v_addc_co_u32_e32 v7, vcc, 0, v1, vcc
	v_mov_b32_e32 v1, 11
	v_cmp_lt_i16_sdwa s[0:1], v12, v1 src0_sel:BYTE_0 src1_sel:DWORD
	s_and_b64 vcc, exec, s[0:1]
	s_cbranch_vccnz .LBB23_19
; %bb.13:
	v_mov_b32_e32 v1, 25
	v_cmp_gt_i16_sdwa s[0:1], v12, v1 src0_sel:BYTE_0 src1_sel:DWORD
	s_and_b64 vcc, exec, s[0:1]
	s_cbranch_vccz .LBB23_28
; %bb.14:
	v_mov_b32_e32 v1, 28
	v_cmp_gt_i16_sdwa s[0:1], v12, v1 src0_sel:BYTE_0 src1_sel:DWORD
	s_and_b64 vcc, exec, s[0:1]
	s_cbranch_vccz .LBB23_50
	;; [unrolled: 5-line block ×4, first 2 shown]
; %bb.17:
	v_mov_b32_e32 v1, 46
	v_cmp_eq_u16_sdwa s[0:1], v12, v1 src0_sel:BYTE_0 src1_sel:DWORD
	s_mov_b64 s[36:37], 0
	s_and_b64 vcc, exec, s[0:1]
	s_cbranch_vccz .LBB23_59
; %bb.18:
	global_load_dword v1, v[6:7], off
	s_mov_b64 s[0:1], -1
	s_mov_b64 s[40:41], 0
	s_waitcnt vmcnt(0)
	v_lshlrev_b32_e32 v1, 16, v1
	v_cvt_f64_f32_e32 v[4:5], v1
	s_branch .LBB23_61
.LBB23_19:
	s_mov_b64 s[40:41], 0
                                        ; implicit-def: $vgpr4_vgpr5
	s_mov_b64 s[0:1], 0
	s_cbranch_execnz .LBB23_127
.LBB23_20:
	s_andn2_b64 vcc, exec, s[0:1]
	s_cbranch_vccnz .LBB23_174
.LBB23_21:
	v_mov_b32_e32 v1, s25
	v_add_co_u32_e32 v0, vcc, s24, v0
	v_mov_b32_e32 v3, 11
	v_addc_co_u32_e32 v1, vcc, 0, v1, vcc
	s_waitcnt vmcnt(0)
	v_cmp_lt_i16_sdwa s[0:1], v11, v3 src0_sel:BYTE_0 src1_sel:DWORD
	s_and_b64 vcc, exec, s[0:1]
	s_cbranch_vccnz .LBB23_29
; %bb.22:
	v_mov_b32_e32 v3, 25
	v_cmp_gt_i16_sdwa s[0:1], v11, v3 src0_sel:BYTE_0 src1_sel:DWORD
	s_and_b64 vcc, exec, s[0:1]
	s_cbranch_vccz .LBB23_51
; %bb.23:
	v_mov_b32_e32 v3, 28
	v_cmp_gt_i16_sdwa s[0:1], v11, v3 src0_sel:BYTE_0 src1_sel:DWORD
	s_and_b64 vcc, exec, s[0:1]
	s_cbranch_vccz .LBB23_54
	;; [unrolled: 5-line block ×4, first 2 shown]
; %bb.26:
	v_mov_b32_e32 v3, 46
	v_cmp_eq_u16_sdwa s[0:1], v11, v3 src0_sel:BYTE_0 src1_sel:DWORD
	s_mov_b64 s[36:37], 0
	s_and_b64 vcc, exec, s[0:1]
	s_cbranch_vccz .LBB23_175
; %bb.27:
	global_load_dword v3, v[0:1], off
	s_mov_b64 s[0:1], -1
	s_mov_b64 s[38:39], 0
	s_waitcnt vmcnt(0)
	v_lshlrev_b32_e32 v3, 16, v3
	v_cvt_f64_f32_e32 v[6:7], v3
	s_branch .LBB23_177
.LBB23_28:
	s_mov_b64 s[40:41], 0
	s_mov_b64 s[0:1], 0
                                        ; implicit-def: $vgpr4_vgpr5
	s_cbranch_execnz .LBB23_92
	s_branch .LBB23_126
.LBB23_29:
	s_mov_b64 s[38:39], 0
                                        ; implicit-def: $vgpr6_vgpr7
	s_mov_b64 s[0:1], 0
	s_cbranch_execnz .LBB23_354
.LBB23_30:
	s_andn2_b64 vcc, exec, s[0:1]
	s_cbranch_vccnz .LBB23_402
.LBB23_31:
	s_waitcnt vmcnt(0)
	v_trunc_f64_e32 v[0:1], v[6:7]
	s_movk_i32 s0, 0xffe0
	v_ldexp_f64 v[6:7], v[0:1], s0
	v_floor_f64_e32 v[8:9], v[6:7]
	v_fmac_f64_e32 v[0:1], 0xc1f00000, v[8:9]
	v_cvt_i32_f64_e32 v7, v[8:9]
	v_cvt_u32_f64_e32 v6, v[0:1]
	v_cmp_lt_i64_e32 vcc, -1, v[6:7]
	v_pk_mov_b32 v[0:1], 0, 0
	s_and_saveexec_b64 s[0:1], vcc
	s_cbranch_execz .LBB23_43
; %bb.32:
	v_mov_b32_e32 v0, 0
	v_cmp_lt_i64_e32 vcc, 0, v[6:7]
	v_mov_b32_e32 v1, 0x3ff00000
	s_and_saveexec_b64 s[36:37], vcc
	s_cbranch_execz .LBB23_42
; %bb.33:
	v_cmp_ne_u64_e32 vcc, 1, v[6:7]
                                        ; implicit-def: $vgpr0_vgpr1
	s_and_saveexec_b64 s[44:45], vcc
	s_xor_b64 s[44:45], exec, s[44:45]
	s_cbranch_execz .LBB23_39
; %bb.34:
	s_mov_b64 s[48:49], 0x201
	v_mov_b32_e32 v0, 0
	v_cmp_gt_u64_e32 vcc, s[48:49], v[6:7]
	v_mov_b32_e32 v1, 0x7ff80000
	s_and_saveexec_b64 s[48:49], vcc
	s_cbranch_execz .LBB23_38
; %bb.35:
	v_mov_b32_e32 v8, 0
	s_mov_b64 s[52:53], 1
	s_mov_b64 s[50:51], 0
	v_mov_b32_e32 v9, 0x3ff00000
	v_pk_mov_b32 v[0:1], v[4:5], v[4:5] op_sel:[0,1]
.LBB23_36:                              ; =>This Inner Loop Header: Depth=1
	v_cvt_f64_u32_e32 v[16:17], s53
	v_cvt_f64_u32_e32 v[18:19], s52
	s_add_u32 s52, s52, 1
	v_ldexp_f64 v[16:17], v[16:17], 32
	s_addc_u32 s53, s53, 0
	v_add_f64 v[16:17], v[16:17], v[18:19]
	v_cmp_eq_u64_e32 vcc, s[52:53], v[6:7]
	v_mul_f64 v[16:17], v[8:9], v[16:17]
	s_or_b64 s[50:51], vcc, s[50:51]
	v_pk_mov_b32 v[8:9], v[0:1], v[0:1] op_sel:[0,1]
	v_fma_f64 v[0:1], v[4:5], v[0:1], -v[16:17]
	s_andn2_b64 exec, exec, s[50:51]
	s_cbranch_execnz .LBB23_36
; %bb.37:
	s_or_b64 exec, exec, s[50:51]
.LBB23_38:
	s_or_b64 exec, exec, s[48:49]
                                        ; implicit-def: $vgpr4_vgpr5
.LBB23_39:
	s_andn2_saveexec_b64 s[44:45], s[44:45]
; %bb.40:
	v_pk_mov_b32 v[0:1], v[4:5], v[4:5] op_sel:[0,1]
; %bb.41:
	s_or_b64 exec, exec, s[44:45]
.LBB23_42:
	s_or_b64 exec, exec, s[36:37]
.LBB23_43:
	s_or_b64 exec, exec, s[0:1]
	v_mov_b32_e32 v3, s9
	v_add_co_u32_e32 v4, vcc, s8, v2
	v_mov_b32_e32 v2, 11
	v_addc_co_u32_e32 v5, vcc, 0, v3, vcc
	v_cmp_lt_i16_sdwa s[0:1], v10, v2 src0_sel:BYTE_0 src1_sel:DWORD
	s_and_b64 vcc, exec, s[0:1]
	s_cbranch_vccnz .LBB23_52
; %bb.44:
	v_mov_b32_e32 v2, 25
	v_cmp_gt_i16_sdwa s[0:1], v10, v2 src0_sel:BYTE_0 src1_sel:DWORD
	s_and_b64 vcc, exec, s[0:1]
	s_cbranch_vccz .LBB23_55
; %bb.45:
	v_mov_b32_e32 v2, 28
	v_cmp_gt_i16_sdwa s[0:1], v10, v2 src0_sel:BYTE_0 src1_sel:DWORD
	s_and_b64 vcc, exec, s[0:1]
	s_cbranch_vccz .LBB23_58
	;; [unrolled: 5-line block ×4, first 2 shown]
; %bb.48:
	v_mov_b32_e32 v2, 46
	v_cmp_eq_u16_sdwa s[36:37], v10, v2 src0_sel:BYTE_0 src1_sel:DWORD
	s_mov_b64 s[44:45], 0
	s_mov_b64 s[0:1], -1
	s_and_b64 vcc, exec, s[36:37]
	s_mov_b64 s[36:37], 0
	s_cbranch_vccz .LBB23_181
; %bb.49:
	v_cvt_f32_f64_e32 v2, v[0:1]
	v_bfe_u32 v3, v2, 16, 1
	s_movk_i32 s0, 0x7fff
	v_add3_u32 v3, v2, v3, s0
	v_lshrrev_b32_e32 v3, 16, v3
	v_mov_b32_e32 v6, 0x7fc0
	v_cmp_o_f32_e32 vcc, v2, v2
	v_cndmask_b32_e32 v2, v6, v3, vcc
	global_store_dword v[4:5], v2, off
	s_mov_b64 s[36:37], -1
	s_mov_b64 s[0:1], 0
	s_branch .LBB23_181
.LBB23_50:
	s_mov_b64 s[36:37], -1
	s_mov_b64 s[40:41], 0
	s_mov_b64 s[0:1], 0
                                        ; implicit-def: $vgpr4_vgpr5
	s_branch .LBB23_73
.LBB23_51:
	s_mov_b64 s[36:37], -1
	s_mov_b64 s[38:39], 0
	s_mov_b64 s[0:1], 0
                                        ; implicit-def: $vgpr6_vgpr7
	s_branch .LBB23_318
.LBB23_52:
	s_mov_b64 s[44:45], -1
	s_mov_b64 s[0:1], 0
	s_mov_b64 s[36:37], 0
	s_branch .LBB23_250
.LBB23_53:
	s_mov_b64 s[36:37], -1
	s_mov_b64 s[40:41], 0
	s_mov_b64 s[0:1], 0
                                        ; implicit-def: $vgpr4_vgpr5
	s_branch .LBB23_68
.LBB23_54:
	s_mov_b64 s[36:37], -1
	s_mov_b64 s[38:39], 0
	s_mov_b64 s[0:1], 0
                                        ; implicit-def: $vgpr6_vgpr7
	s_branch .LBB23_299
.LBB23_55:
	s_mov_b64 s[44:45], -1
	s_mov_b64 s[0:1], 0
	s_mov_b64 s[36:37], 0
	s_branch .LBB23_208
.LBB23_56:
	s_mov_b64 s[36:37], -1
	s_mov_b64 s[40:41], 0
	s_branch .LBB23_60
.LBB23_57:
	s_mov_b64 s[36:37], -1
	s_mov_b64 s[38:39], 0
	s_mov_b64 s[0:1], 0
                                        ; implicit-def: $vgpr6_vgpr7
	s_branch .LBB23_294
.LBB23_58:
	s_mov_b64 s[44:45], -1
	s_mov_b64 s[0:1], 0
	s_mov_b64 s[36:37], 0
	s_branch .LBB23_191
.LBB23_59:
	s_mov_b64 s[40:41], -1
.LBB23_60:
	s_mov_b64 s[0:1], 0
                                        ; implicit-def: $vgpr4_vgpr5
.LBB23_61:
	s_and_b64 vcc, exec, s[36:37]
	s_cbranch_vccz .LBB23_67
; %bb.62:
	v_mov_b32_e32 v1, 44
	v_cmp_eq_u16_sdwa s[36:37], v12, v1 src0_sel:BYTE_0 src1_sel:DWORD
	s_and_b64 vcc, exec, s[36:37]
	s_cbranch_vccz .LBB23_66
; %bb.63:
	global_load_ubyte v1, v[6:7], off
	s_movk_i32 s36, 0xff
	v_bfrev_b32_e32 v3, 4
	v_mov_b32_e32 v8, 0x7ff80000
	v_bfrev_b32_e32 v9, 28
	s_mov_b64 s[0:1], -1
	s_mov_b64 s[40:41], 0
	s_waitcnt vmcnt(0)
	v_lshlrev_b32_e32 v4, 23, v1
	v_cvt_f64_f32_e32 v[4:5], v4
	v_cmp_ne_u32_e32 vcc, s36, v1
	v_cndmask_b32_e32 v3, v3, v4, vcc
	v_cndmask_b32_e32 v4, v8, v5, vcc
	v_cmp_ne_u32_e32 vcc, 0, v1
	v_cndmask_b32_e32 v5, v9, v4, vcc
	v_cndmask_b32_e32 v4, 0, v3, vcc
	s_branch .LBB23_67
.LBB23_64:
	s_mov_b64 s[36:37], -1
	s_mov_b64 s[38:39], 0
	s_branch .LBB23_176
.LBB23_65:
	s_mov_b64 s[44:45], -1
	s_mov_b64 s[0:1], 0
	s_mov_b64 s[36:37], 0
	s_branch .LBB23_187
.LBB23_66:
	s_mov_b64 s[40:41], -1
                                        ; implicit-def: $vgpr4_vgpr5
.LBB23_67:
	s_mov_b64 s[36:37], 0
.LBB23_68:
	s_and_b64 vcc, exec, s[36:37]
	s_cbranch_vccz .LBB23_72
; %bb.69:
	v_mov_b32_e32 v1, 29
	v_cmp_eq_u16_sdwa s[36:37], v12, v1 src0_sel:BYTE_0 src1_sel:DWORD
	s_and_b64 vcc, exec, s[36:37]
	s_cbranch_vccz .LBB23_71
; %bb.70:
	global_load_dwordx2 v[4:5], v[6:7], off
	s_mov_b64 s[0:1], -1
	s_mov_b64 s[40:41], 0
	s_mov_b64 s[36:37], 0
	s_waitcnt vmcnt(0)
	v_cvt_f64_u32_e32 v[8:9], v5
	v_cvt_f64_u32_e32 v[4:5], v4
	v_ldexp_f64 v[8:9], v[8:9], 32
	v_add_f64 v[4:5], v[8:9], v[4:5]
	s_branch .LBB23_73
.LBB23_71:
	s_mov_b64 s[40:41], -1
                                        ; implicit-def: $vgpr4_vgpr5
.LBB23_72:
	s_mov_b64 s[36:37], 0
.LBB23_73:
	s_and_b64 vcc, exec, s[36:37]
	s_cbranch_vccz .LBB23_91
; %bb.74:
	v_mov_b32_e32 v1, 27
	v_cmp_lt_i16_sdwa s[0:1], v12, v1 src0_sel:BYTE_0 src1_sel:DWORD
	s_and_b64 vcc, exec, s[0:1]
	s_cbranch_vccnz .LBB23_77
; %bb.75:
	v_cmp_gt_i16_sdwa s[0:1], v12, v1 src0_sel:BYTE_0 src1_sel:DWORD
	s_and_b64 vcc, exec, s[0:1]
	s_cbranch_vccz .LBB23_78
; %bb.76:
	global_load_dword v1, v[6:7], off
	s_mov_b64 s[0:1], 0
	s_waitcnt vmcnt(0)
	v_cvt_f64_u32_e32 v[4:5], v1
	s_branch .LBB23_79
.LBB23_77:
	s_mov_b64 s[0:1], -1
                                        ; implicit-def: $vgpr4_vgpr5
	s_branch .LBB23_82
.LBB23_78:
	s_mov_b64 s[0:1], -1
                                        ; implicit-def: $vgpr4_vgpr5
.LBB23_79:
	s_andn2_b64 vcc, exec, s[0:1]
	s_cbranch_vccnz .LBB23_81
; %bb.80:
	global_load_ushort v1, v[6:7], off
	s_waitcnt vmcnt(0)
	v_cvt_f64_u32_e32 v[4:5], v1
.LBB23_81:
	s_mov_b64 s[0:1], 0
.LBB23_82:
	s_andn2_b64 vcc, exec, s[0:1]
	s_cbranch_vccnz .LBB23_90
; %bb.83:
	global_load_ubyte v1, v[6:7], off
	s_movk_i32 s0, 0x7f
                                        ; implicit-def: $sgpr36_sgpr37
	s_waitcnt vmcnt(0)
	v_cmp_lt_i16_e32 vcc, s0, v1
	s_mov_b64 s[0:1], 0
	s_and_saveexec_b64 s[38:39], vcc
	s_xor_b64 s[38:39], exec, s[38:39]
	s_cbranch_execz .LBB23_103
; %bb.84:
	s_movk_i32 s0, 0x80
	v_cmp_eq_u16_e32 vcc, s0, v1
	s_mov_b64 s[44:45], -1
                                        ; implicit-def: $sgpr36_sgpr37
	s_and_saveexec_b64 s[0:1], vcc
; %bb.85:
	s_mov_b32 s37, 0x7ff80000
	s_brev_b32 s36, 4
	s_xor_b64 s[44:45], exec, -1
; %bb.86:
	s_or_b64 exec, exec, s[0:1]
	s_and_b64 s[0:1], s[44:45], exec
	s_or_saveexec_b64 s[38:39], s[38:39]
	v_pk_mov_b32 v[4:5], s[36:37], s[36:37] op_sel:[0,1]
	s_xor_b64 exec, exec, s[38:39]
	s_cbranch_execnz .LBB23_104
.LBB23_87:
	s_or_b64 exec, exec, s[38:39]
	s_and_saveexec_b64 s[36:37], s[0:1]
	s_cbranch_execz .LBB23_89
.LBB23_88:
	v_lshlrev_b32_e32 v3, 24, v1
	v_and_b32_e32 v1, 0xffff, v1
	v_and_b32_e32 v4, 7, v1
	v_ffbh_u32_e32 v8, v4
	v_min_u32_e32 v8, 32, v8
	v_subrev_u32_e32 v9, 28, v8
	v_bfe_u32 v5, v1, 3, 4
	v_lshlrev_b32_e32 v1, v9, v1
	v_sub_u32_e32 v8, 29, v8
	v_and_b32_e32 v1, 7, v1
	v_cmp_eq_u32_e32 vcc, 0, v5
	v_cndmask_b32_e32 v5, v5, v8, vcc
	v_cndmask_b32_e32 v1, v4, v1, vcc
	v_mov_b32_e32 v4, 0x3b800000
	v_lshlrev_b32_e32 v1, 20, v1
	v_and_b32_e32 v3, 0x80000000, v3
	v_lshl_add_u32 v4, v5, 23, v4
	v_or3_b32 v1, v3, v4, v1
	v_cvt_f64_f32_e32 v[4:5], v1
.LBB23_89:
	s_or_b64 exec, exec, s[36:37]
.LBB23_90:
	s_mov_b64 s[0:1], -1
.LBB23_91:
	s_branch .LBB23_126
.LBB23_92:
	v_mov_b32_e32 v1, 22
	v_cmp_gt_i16_sdwa s[36:37], v12, v1 src0_sel:BYTE_0 src1_sel:DWORD
	s_and_b64 vcc, exec, s[36:37]
	s_cbranch_vccz .LBB23_102
; %bb.93:
	v_mov_b32_e32 v1, 24
	v_cmp_lt_i16_sdwa s[0:1], v12, v1 src0_sel:BYTE_0 src1_sel:DWORD
	s_and_b64 vcc, exec, s[0:1]
	s_cbranch_vccnz .LBB23_105
; %bb.94:
	v_cmp_gt_i16_sdwa s[0:1], v12, v1 src0_sel:BYTE_0 src1_sel:DWORD
	s_and_b64 vcc, exec, s[0:1]
	s_cbranch_vccz .LBB23_106
; %bb.95:
	global_load_ubyte v1, v[6:7], off
	s_movk_i32 s0, 0x7f
                                        ; implicit-def: $sgpr36_sgpr37
	s_waitcnt vmcnt(0)
	v_cmp_lt_i16_e32 vcc, s0, v1
	s_mov_b64 s[0:1], 0
	s_and_saveexec_b64 s[38:39], vcc
	s_xor_b64 s[38:39], exec, s[38:39]
	s_cbranch_execz .LBB23_118
; %bb.96:
	s_movk_i32 s0, 0x80
	v_cmp_eq_u16_e32 vcc, s0, v1
	s_mov_b64 s[44:45], -1
                                        ; implicit-def: $sgpr36_sgpr37
	s_and_saveexec_b64 s[0:1], vcc
; %bb.97:
	s_mov_b32 s37, 0x7ff80000
	s_brev_b32 s36, 4
	s_xor_b64 s[44:45], exec, -1
; %bb.98:
	s_or_b64 exec, exec, s[0:1]
	s_and_b64 s[0:1], s[44:45], exec
	s_or_saveexec_b64 s[38:39], s[38:39]
	v_pk_mov_b32 v[4:5], s[36:37], s[36:37] op_sel:[0,1]
	s_xor_b64 exec, exec, s[38:39]
	s_cbranch_execnz .LBB23_119
.LBB23_99:
	s_or_b64 exec, exec, s[38:39]
	s_and_saveexec_b64 s[36:37], s[0:1]
	s_cbranch_execz .LBB23_101
.LBB23_100:
	v_lshlrev_b32_e32 v3, 24, v1
	v_and_b32_e32 v1, 0xffff, v1
	v_and_b32_e32 v4, 3, v1
	v_ffbh_u32_e32 v8, v4
	v_min_u32_e32 v8, 32, v8
	v_subrev_u32_e32 v9, 29, v8
	v_bfe_u32 v5, v1, 2, 5
	v_lshlrev_b32_e32 v1, v9, v1
	v_sub_u32_e32 v8, 30, v8
	v_and_b32_e32 v1, 3, v1
	v_cmp_eq_u32_e32 vcc, 0, v5
	v_cndmask_b32_e32 v5, v5, v8, vcc
	v_cndmask_b32_e32 v1, v4, v1, vcc
	v_mov_b32_e32 v4, 0x37800000
	v_lshlrev_b32_e32 v1, 21, v1
	v_and_b32_e32 v3, 0x80000000, v3
	v_lshl_add_u32 v4, v5, 23, v4
	v_or3_b32 v1, v3, v4, v1
	v_cvt_f64_f32_e32 v[4:5], v1
.LBB23_101:
	s_or_b64 exec, exec, s[36:37]
	s_mov_b64 s[0:1], 0
	s_branch .LBB23_107
.LBB23_102:
	s_mov_b64 s[36:37], -1
                                        ; implicit-def: $vgpr4_vgpr5
	s_branch .LBB23_113
.LBB23_103:
	s_or_saveexec_b64 s[38:39], s[38:39]
	v_pk_mov_b32 v[4:5], s[36:37], s[36:37] op_sel:[0,1]
	s_xor_b64 exec, exec, s[38:39]
	s_cbranch_execz .LBB23_87
.LBB23_104:
	v_cmp_ne_u16_e32 vcc, 0, v1
	s_andn2_b64 s[0:1], s[0:1], exec
	s_and_b64 s[36:37], vcc, exec
	v_pk_mov_b32 v[4:5], 0, 0
	s_or_b64 s[0:1], s[0:1], s[36:37]
	s_or_b64 exec, exec, s[38:39]
	s_and_saveexec_b64 s[36:37], s[0:1]
	s_cbranch_execnz .LBB23_88
	s_branch .LBB23_89
.LBB23_105:
	s_mov_b64 s[0:1], -1
                                        ; implicit-def: $vgpr4_vgpr5
	s_branch .LBB23_110
.LBB23_106:
	s_mov_b64 s[0:1], -1
                                        ; implicit-def: $vgpr4_vgpr5
.LBB23_107:
	s_and_b64 vcc, exec, s[0:1]
	s_cbranch_vccz .LBB23_109
; %bb.108:
	global_load_ubyte v1, v[6:7], off
	s_mov_b32 s0, 0x7f800000
	s_waitcnt vmcnt(0)
	v_lshlrev_b32_e32 v1, 24, v1
	v_and_b32_e32 v3, 0x7f000000, v1
	v_ffbh_u32_e32 v4, v3
	v_min_u32_e32 v4, 32, v4
	v_sub_u32_e64 v4, v4, 4 clamp
	v_lshlrev_b32_e32 v8, v4, v3
	v_lshlrev_b32_e32 v4, 23, v4
	v_lshrrev_b32_e32 v8, 4, v8
	v_add_u32_e32 v5, 0x1000000, v3
	v_sub_u32_e32 v4, v8, v4
	v_ashrrev_i32_e32 v5, 8, v5
	v_add_u32_e32 v4, 0x3c000000, v4
	v_and_or_b32 v4, v5, s0, v4
	v_cmp_ne_u32_e32 vcc, 0, v3
	v_cndmask_b32_e32 v3, 0, v4, vcc
	s_brev_b32 s0, 1
	v_and_or_b32 v1, v1, s0, v3
	v_cvt_f64_f32_e32 v[4:5], v1
.LBB23_109:
	s_mov_b64 s[0:1], 0
.LBB23_110:
	s_andn2_b64 vcc, exec, s[0:1]
	s_cbranch_vccnz .LBB23_112
; %bb.111:
	global_load_ubyte v1, v[6:7], off
	s_movk_i32 s0, 0x7f00
	s_brev_b32 s1, 16
	s_waitcnt vmcnt(0)
	v_lshlrev_b16_e32 v3, 8, v1
	v_lshlrev_b32_e32 v1, 25, v1
	v_lshrrev_b32_e32 v4, 4, v1
	v_and_or_b32 v5, v3, s0, 0.5
	v_or_b32_e32 v4, 0x70000000, v4
	v_add_f32_e32 v5, -0.5, v5
	v_mul_f32_e32 v4, 0x7800000, v4
	v_cmp_gt_u32_e32 vcc, s1, v1
	v_bfe_i32 v3, v3, 0, 16
	v_cndmask_b32_e32 v1, v4, v5, vcc
	s_brev_b32 s0, 1
	v_and_or_b32 v1, v3, s0, v1
	v_cvt_f64_f32_e32 v[4:5], v1
.LBB23_112:
	s_mov_b64 s[36:37], 0
	s_mov_b64 s[0:1], -1
.LBB23_113:
	s_andn2_b64 vcc, exec, s[36:37]
	s_cbranch_vccnz .LBB23_126
; %bb.114:
	v_mov_b32_e32 v1, 14
	v_cmp_gt_i16_sdwa s[36:37], v12, v1 src0_sel:BYTE_0 src1_sel:DWORD
	s_and_b64 vcc, exec, s[36:37]
	s_cbranch_vccz .LBB23_117
; %bb.115:
	v_mov_b32_e32 v1, 15
	v_cmp_eq_u16_sdwa s[36:37], v12, v1 src0_sel:BYTE_0 src1_sel:DWORD
	s_and_b64 vcc, exec, s[36:37]
	s_cbranch_vccz .LBB23_120
; %bb.116:
	global_load_ushort v1, v[6:7], off
	s_mov_b64 s[0:1], -1
	s_mov_b64 s[40:41], 0
	s_waitcnt vmcnt(0)
	v_lshlrev_b32_e32 v1, 16, v1
	v_cvt_f64_f32_e32 v[4:5], v1
	s_branch .LBB23_121
.LBB23_117:
	s_mov_b64 s[36:37], -1
                                        ; implicit-def: $vgpr4_vgpr5
	s_branch .LBB23_122
.LBB23_118:
	s_or_saveexec_b64 s[38:39], s[38:39]
	v_pk_mov_b32 v[4:5], s[36:37], s[36:37] op_sel:[0,1]
	s_xor_b64 exec, exec, s[38:39]
	s_cbranch_execz .LBB23_99
.LBB23_119:
	v_cmp_ne_u16_e32 vcc, 0, v1
	s_andn2_b64 s[0:1], s[0:1], exec
	s_and_b64 s[36:37], vcc, exec
	v_pk_mov_b32 v[4:5], 0, 0
	s_or_b64 s[0:1], s[0:1], s[36:37]
	s_or_b64 exec, exec, s[38:39]
	s_and_saveexec_b64 s[36:37], s[0:1]
	s_cbranch_execnz .LBB23_100
	s_branch .LBB23_101
.LBB23_120:
	s_mov_b64 s[40:41], -1
                                        ; implicit-def: $vgpr4_vgpr5
.LBB23_121:
	s_mov_b64 s[36:37], 0
.LBB23_122:
	s_and_b64 vcc, exec, s[36:37]
	s_cbranch_vccz .LBB23_126
; %bb.123:
	v_mov_b32_e32 v1, 11
	v_cmp_eq_u16_sdwa s[36:37], v12, v1 src0_sel:BYTE_0 src1_sel:DWORD
	s_and_b64 vcc, exec, s[36:37]
	s_cbranch_vccz .LBB23_125
; %bb.124:
	global_load_ubyte v1, v[6:7], off
	v_mov_b32_e32 v3, 0x3ff00000
	v_mov_b32_e32 v4, 0
	s_mov_b64 s[0:1], -1
	s_mov_b64 s[40:41], 0
	s_waitcnt vmcnt(0)
	v_cmp_ne_u16_e32 vcc, 0, v1
	v_cndmask_b32_e32 v5, 0, v3, vcc
	s_branch .LBB23_126
.LBB23_125:
	s_mov_b64 s[40:41], -1
                                        ; implicit-def: $vgpr4_vgpr5
.LBB23_126:
	s_branch .LBB23_20
.LBB23_127:
	v_mov_b32_e32 v1, 5
	v_cmp_lt_i16_sdwa s[0:1], v12, v1 src0_sel:BYTE_0 src1_sel:DWORD
	s_and_b64 vcc, exec, s[0:1]
	s_cbranch_vccnz .LBB23_132
; %bb.128:
	v_mov_b32_e32 v1, 8
	v_cmp_lt_i16_sdwa s[0:1], v12, v1 src0_sel:BYTE_0 src1_sel:DWORD
	s_and_b64 vcc, exec, s[0:1]
	s_cbranch_vccnz .LBB23_133
; %bb.129:
	;; [unrolled: 5-line block ×3, first 2 shown]
	v_cmp_gt_i16_sdwa s[0:1], v12, v1 src0_sel:BYTE_0 src1_sel:DWORD
	s_and_b64 vcc, exec, s[0:1]
	s_cbranch_vccz .LBB23_135
; %bb.131:
	global_load_dwordx2 v[4:5], v[6:7], off
	s_mov_b64 s[0:1], 0
	s_branch .LBB23_136
.LBB23_132:
                                        ; implicit-def: $vgpr4_vgpr5
	s_branch .LBB23_154
.LBB23_133:
	s_mov_b64 s[0:1], -1
                                        ; implicit-def: $vgpr4_vgpr5
	s_branch .LBB23_142
.LBB23_134:
	s_mov_b64 s[0:1], -1
                                        ; implicit-def: $vgpr4_vgpr5
	s_branch .LBB23_139
.LBB23_135:
	s_mov_b64 s[0:1], -1
                                        ; implicit-def: $vgpr4_vgpr5
.LBB23_136:
	s_andn2_b64 vcc, exec, s[0:1]
	s_cbranch_vccnz .LBB23_138
; %bb.137:
	global_load_dword v1, v[6:7], off
	s_waitcnt vmcnt(0)
	v_cvt_f64_f32_e32 v[4:5], v1
.LBB23_138:
	s_mov_b64 s[0:1], 0
.LBB23_139:
	s_andn2_b64 vcc, exec, s[0:1]
	s_cbranch_vccnz .LBB23_141
; %bb.140:
	global_load_dword v1, v[6:7], off
	s_waitcnt vmcnt(0)
	v_cvt_f32_f16_e32 v1, v1
	v_cvt_f64_f32_e32 v[4:5], v1
.LBB23_141:
	s_mov_b64 s[0:1], 0
.LBB23_142:
	s_andn2_b64 vcc, exec, s[0:1]
	s_cbranch_vccnz .LBB23_153
; %bb.143:
	v_mov_b32_e32 v1, 6
	v_cmp_lt_i16_sdwa s[0:1], v12, v1 src0_sel:BYTE_0 src1_sel:DWORD
	s_and_b64 vcc, exec, s[0:1]
	s_cbranch_vccnz .LBB23_146
; %bb.144:
	v_cmp_gt_i16_sdwa s[0:1], v12, v1 src0_sel:BYTE_0 src1_sel:DWORD
	s_and_b64 vcc, exec, s[0:1]
	s_cbranch_vccz .LBB23_147
; %bb.145:
	global_load_dwordx2 v[4:5], v[6:7], off
	s_mov_b64 s[0:1], 0
	s_branch .LBB23_148
.LBB23_146:
	s_mov_b64 s[0:1], -1
                                        ; implicit-def: $vgpr4_vgpr5
	s_branch .LBB23_151
.LBB23_147:
	s_mov_b64 s[0:1], -1
                                        ; implicit-def: $vgpr4_vgpr5
.LBB23_148:
	s_andn2_b64 vcc, exec, s[0:1]
	s_cbranch_vccnz .LBB23_150
; %bb.149:
	global_load_dword v1, v[6:7], off
	s_waitcnt vmcnt(0)
	v_cvt_f64_f32_e32 v[4:5], v1
.LBB23_150:
	s_mov_b64 s[0:1], 0
.LBB23_151:
	s_andn2_b64 vcc, exec, s[0:1]
	s_cbranch_vccnz .LBB23_153
; %bb.152:
	global_load_ushort v1, v[6:7], off
	s_waitcnt vmcnt(0)
	v_cvt_f32_f16_e32 v1, v1
	v_cvt_f64_f32_e32 v[4:5], v1
.LBB23_153:
	s_cbranch_execnz .LBB23_173
.LBB23_154:
	v_mov_b32_e32 v1, 2
	v_cmp_lt_i16_sdwa s[0:1], v12, v1 src0_sel:BYTE_0 src1_sel:DWORD
	s_and_b64 vcc, exec, s[0:1]
	s_cbranch_vccnz .LBB23_158
; %bb.155:
	v_mov_b32_e32 v1, 3
	v_cmp_lt_i16_sdwa s[0:1], v12, v1 src0_sel:BYTE_0 src1_sel:DWORD
	s_and_b64 vcc, exec, s[0:1]
	s_cbranch_vccnz .LBB23_159
; %bb.156:
	v_cmp_gt_i16_sdwa s[0:1], v12, v1 src0_sel:BYTE_0 src1_sel:DWORD
	s_and_b64 vcc, exec, s[0:1]
	s_cbranch_vccz .LBB23_160
; %bb.157:
	global_load_dwordx2 v[4:5], v[6:7], off
	s_mov_b64 s[0:1], 0
	s_waitcnt vmcnt(0)
	v_cvt_f64_i32_e32 v[8:9], v5
	v_cvt_f64_u32_e32 v[4:5], v4
	v_ldexp_f64 v[8:9], v[8:9], 32
	v_add_f64 v[4:5], v[8:9], v[4:5]
	s_branch .LBB23_161
.LBB23_158:
	s_mov_b64 s[0:1], -1
                                        ; implicit-def: $vgpr4_vgpr5
	s_branch .LBB23_167
.LBB23_159:
	s_mov_b64 s[0:1], -1
                                        ; implicit-def: $vgpr4_vgpr5
	s_branch .LBB23_164
.LBB23_160:
	s_mov_b64 s[0:1], -1
                                        ; implicit-def: $vgpr4_vgpr5
.LBB23_161:
	s_andn2_b64 vcc, exec, s[0:1]
	s_cbranch_vccnz .LBB23_163
; %bb.162:
	global_load_dword v1, v[6:7], off
	s_waitcnt vmcnt(0)
	v_cvt_f64_i32_e32 v[4:5], v1
.LBB23_163:
	s_mov_b64 s[0:1], 0
.LBB23_164:
	s_andn2_b64 vcc, exec, s[0:1]
	s_cbranch_vccnz .LBB23_166
; %bb.165:
	global_load_sshort v1, v[6:7], off
	s_waitcnt vmcnt(0)
	v_cvt_f64_i32_e32 v[4:5], v1
.LBB23_166:
	s_mov_b64 s[0:1], 0
.LBB23_167:
	s_andn2_b64 vcc, exec, s[0:1]
	s_cbranch_vccnz .LBB23_173
; %bb.168:
	v_mov_b32_e32 v1, 0
	v_cmp_gt_i16_sdwa s[0:1], v12, v1 src0_sel:BYTE_0 src1_sel:DWORD
	s_and_b64 vcc, exec, s[0:1]
	s_cbranch_vccz .LBB23_170
; %bb.169:
	global_load_sbyte v1, v[6:7], off
	s_mov_b64 s[0:1], 0
	s_waitcnt vmcnt(0)
	v_cvt_f64_i32_e32 v[4:5], v1
	s_branch .LBB23_171
.LBB23_170:
	s_mov_b64 s[0:1], -1
                                        ; implicit-def: $vgpr4_vgpr5
.LBB23_171:
	s_andn2_b64 vcc, exec, s[0:1]
	s_cbranch_vccnz .LBB23_173
; %bb.172:
	global_load_ubyte v1, v[6:7], off
	s_waitcnt vmcnt(0)
	v_cvt_f64_u32_e32 v[4:5], v1
.LBB23_173:
	s_branch .LBB23_21
.LBB23_174:
	s_mov_b64 s[0:1], 0
	s_mov_b64 s[38:39], 0
	s_branch .LBB23_403
.LBB23_175:
	s_mov_b64 s[38:39], -1
.LBB23_176:
	s_mov_b64 s[0:1], 0
                                        ; implicit-def: $vgpr6_vgpr7
.LBB23_177:
	s_and_b64 vcc, exec, s[36:37]
	s_cbranch_vccz .LBB23_293
; %bb.178:
	v_mov_b32_e32 v3, 44
	v_cmp_eq_u16_sdwa s[36:37], v11, v3 src0_sel:BYTE_0 src1_sel:DWORD
	s_and_b64 vcc, exec, s[36:37]
	s_cbranch_vccz .LBB23_292
; %bb.179:
	global_load_ubyte v3, v[0:1], off
	s_movk_i32 s36, 0xff
	v_bfrev_b32_e32 v8, 4
	v_mov_b32_e32 v9, 0x7ff80000
	v_bfrev_b32_e32 v13, 28
	s_mov_b64 s[0:1], -1
	s_mov_b64 s[38:39], 0
	s_waitcnt vmcnt(0)
	v_lshlrev_b32_e32 v6, 23, v3
	v_cvt_f64_f32_e32 v[6:7], v6
	v_cmp_ne_u32_e32 vcc, s36, v3
	v_cndmask_b32_e32 v6, v8, v6, vcc
	v_cndmask_b32_e32 v7, v9, v7, vcc
	v_cmp_ne_u32_e32 vcc, 0, v3
	v_cndmask_b32_e32 v7, v13, v7, vcc
	v_cndmask_b32_e32 v6, 0, v6, vcc
	s_branch .LBB23_293
.LBB23_180:
	s_mov_b64 s[44:45], -1
	s_mov_b64 s[0:1], 0
	s_mov_b64 s[36:37], 0
.LBB23_181:
	s_and_b64 vcc, exec, s[44:45]
	s_cbranch_vccz .LBB23_186
; %bb.182:
	v_mov_b32_e32 v2, 44
	v_cmp_eq_u16_sdwa s[44:45], v10, v2 src0_sel:BYTE_0 src1_sel:DWORD
	s_mov_b64 s[0:1], -1
	s_and_b64 vcc, exec, s[44:45]
	s_cbranch_vccz .LBB23_186
; %bb.183:
	v_cvt_f32_f64_e32 v2, v[0:1]
	v_bfe_u32 v3, v2, 23, 8
	s_movk_i32 s0, 0xff
	v_cmp_ne_u32_e32 vcc, s0, v3
	v_mov_b32_e32 v6, 0xff
	s_and_saveexec_b64 s[36:37], vcc
; %bb.184:
	s_mov_b32 s0, 0x3fffff
	v_lshrrev_b32_e32 v6, 23, v2
	v_and_b32_e32 v7, 0x400000, v2
	v_and_or_b32 v2, v2, s0, v3
	v_cmp_ne_u32_e32 vcc, 0, v7
	v_cmp_ne_u32_e64 s[0:1], 0, v2
	s_and_b64 s[0:1], vcc, s[0:1]
	v_cndmask_b32_e64 v2, 0, 1, s[0:1]
	v_add_u32_e32 v6, v6, v2
; %bb.185:
	s_or_b64 exec, exec, s[36:37]
	s_mov_b64 s[36:37], -1
	s_mov_b64 s[0:1], 0
	global_store_byte v[4:5], v6, off
.LBB23_186:
	s_mov_b64 s[44:45], 0
.LBB23_187:
	s_and_b64 vcc, exec, s[44:45]
	s_cbranch_vccz .LBB23_190
; %bb.188:
	v_mov_b32_e32 v2, 29
	v_cmp_eq_u16_sdwa s[44:45], v10, v2 src0_sel:BYTE_0 src1_sel:DWORD
	s_mov_b64 s[0:1], -1
	s_and_b64 vcc, exec, s[44:45]
	s_cbranch_vccz .LBB23_190
; %bb.189:
	v_trunc_f64_e32 v[2:3], v[0:1]
	s_movk_i32 s0, 0xffe0
	v_ldexp_f64 v[6:7], v[2:3], s0
	v_floor_f64_e32 v[6:7], v[6:7]
	v_fmac_f64_e32 v[2:3], 0xc1f00000, v[6:7]
	v_cvt_u32_f64_e32 v9, v[6:7]
	v_cvt_u32_f64_e32 v8, v[2:3]
	global_store_dwordx2 v[4:5], v[8:9], off
	s_mov_b64 s[36:37], -1
	s_mov_b64 s[0:1], 0
.LBB23_190:
	s_mov_b64 s[44:45], 0
.LBB23_191:
	s_and_b64 vcc, exec, s[44:45]
	s_cbranch_vccz .LBB23_207
; %bb.192:
	v_mov_b32_e32 v2, 27
	v_cmp_lt_i16_sdwa s[44:45], v10, v2 src0_sel:BYTE_0 src1_sel:DWORD
	s_mov_b64 s[36:37], -1
	s_and_b64 vcc, exec, s[44:45]
	s_cbranch_vccnz .LBB23_198
; %bb.193:
	v_cmp_gt_i16_sdwa s[44:45], v10, v2 src0_sel:BYTE_0 src1_sel:DWORD
	s_and_b64 vcc, exec, s[44:45]
	v_cvt_u32_f64_e32 v2, v[0:1]
	s_cbranch_vccz .LBB23_195
; %bb.194:
	s_mov_b64 s[36:37], 0
	global_store_dword v[4:5], v2, off
.LBB23_195:
	s_andn2_b64 vcc, exec, s[36:37]
	s_cbranch_vccnz .LBB23_197
; %bb.196:
	global_store_short v[4:5], v2, off
.LBB23_197:
	s_mov_b64 s[36:37], 0
.LBB23_198:
	s_andn2_b64 vcc, exec, s[36:37]
	s_cbranch_vccnz .LBB23_206
; %bb.199:
	v_cvt_f32_f64_e32 v2, v[0:1]
	v_and_b32_e32 v3, 0x7fffffff, v2
	s_mov_b32 s36, 0x43800000
	v_cmp_gt_u32_e32 vcc, s36, v3
	v_mov_b32_e32 v6, 0x80
	s_and_saveexec_b64 s[36:37], vcc
	s_cbranch_execz .LBB23_205
; %bb.200:
	s_mov_b32 s44, 0x3bffffff
	v_cmp_lt_u32_e32 vcc, s44, v3
	s_mov_b64 s[44:45], 0
                                        ; implicit-def: $vgpr3
	s_and_saveexec_b64 s[48:49], vcc
	s_xor_b64 s[48:49], exec, s[48:49]
	s_cbranch_execz .LBB23_444
; %bb.201:
	v_bfe_u32 v3, v2, 20, 1
	s_mov_b32 s50, 0x487ffff
	v_add3_u32 v3, v2, v3, s50
	s_mov_b64 s[44:45], exec
	v_lshrrev_b32_e32 v3, 20, v3
	s_or_saveexec_b64 s[48:49], s[48:49]
                                        ; implicit-def: $sgpr50
	s_xor_b64 exec, exec, s[48:49]
	s_cbranch_execnz .LBB23_445
.LBB23_202:
	s_or_b64 exec, exec, s[48:49]
	v_mov_b32_e32 v6, s50
	s_and_saveexec_b64 s[48:49], s[44:45]
.LBB23_203:
	v_lshrrev_b32_e32 v2, 24, v2
	s_movk_i32 s44, 0x80
	v_and_or_b32 v6, v2, s44, v3
.LBB23_204:
	s_or_b64 exec, exec, s[48:49]
.LBB23_205:
	s_or_b64 exec, exec, s[36:37]
	global_store_byte v[4:5], v6, off
.LBB23_206:
	s_mov_b64 s[36:37], -1
.LBB23_207:
	s_mov_b64 s[44:45], 0
.LBB23_208:
	s_and_b64 vcc, exec, s[44:45]
	s_cbranch_vccz .LBB23_249
; %bb.209:
	v_mov_b32_e32 v2, 22
	v_cmp_gt_i16_sdwa s[48:49], v10, v2 src0_sel:BYTE_0 src1_sel:DWORD
	s_mov_b64 s[44:45], -1
	s_and_b64 vcc, exec, s[48:49]
	s_cbranch_vccz .LBB23_241
; %bb.210:
	v_mov_b32_e32 v2, 24
	v_cmp_lt_i16_sdwa s[44:45], v10, v2 src0_sel:BYTE_0 src1_sel:DWORD
	s_mov_b64 s[36:37], -1
	s_and_b64 vcc, exec, s[44:45]
	s_cbranch_vccnz .LBB23_230
; %bb.211:
	v_cmp_gt_i16_sdwa s[44:45], v10, v2 src0_sel:BYTE_0 src1_sel:DWORD
	s_and_b64 vcc, exec, s[44:45]
	s_cbranch_vccz .LBB23_219
; %bb.212:
	v_cvt_f32_f64_e32 v2, v[0:1]
	v_and_b32_e32 v3, 0x7fffffff, v2
	s_mov_b32 s36, 0x47800000
	v_cmp_gt_u32_e32 vcc, s36, v3
	v_mov_b32_e32 v6, 0x80
	s_and_saveexec_b64 s[36:37], vcc
	s_cbranch_execz .LBB23_218
; %bb.213:
	s_mov_b32 s44, 0x37ffffff
	v_cmp_lt_u32_e32 vcc, s44, v3
	s_mov_b64 s[44:45], 0
                                        ; implicit-def: $vgpr3
	s_and_saveexec_b64 s[48:49], vcc
	s_xor_b64 s[48:49], exec, s[48:49]
	s_cbranch_execz .LBB23_563
; %bb.214:
	v_bfe_u32 v3, v2, 21, 1
	s_mov_b32 s50, 0x88fffff
	v_add3_u32 v3, v2, v3, s50
	s_mov_b64 s[44:45], exec
	v_lshrrev_b32_e32 v3, 21, v3
	s_or_saveexec_b64 s[48:49], s[48:49]
                                        ; implicit-def: $sgpr50
	s_xor_b64 exec, exec, s[48:49]
	s_cbranch_execnz .LBB23_564
.LBB23_215:
	s_or_b64 exec, exec, s[48:49]
	v_mov_b32_e32 v6, s50
	s_and_saveexec_b64 s[48:49], s[44:45]
.LBB23_216:
	v_lshrrev_b32_e32 v2, 24, v2
	s_movk_i32 s44, 0x80
	v_and_or_b32 v6, v2, s44, v3
.LBB23_217:
	s_or_b64 exec, exec, s[48:49]
.LBB23_218:
	s_or_b64 exec, exec, s[36:37]
	s_mov_b64 s[36:37], 0
	global_store_byte v[4:5], v6, off
.LBB23_219:
	s_and_b64 vcc, exec, s[36:37]
	s_cbranch_vccz .LBB23_229
; %bb.220:
	v_cvt_f32_f64_e32 v2, v[0:1]
	v_and_b32_e32 v6, 0x7fffffff, v2
	s_mov_b32 s36, 0x43f00000
	v_cmp_gt_u32_e32 vcc, s36, v6
                                        ; implicit-def: $vgpr3
	s_and_saveexec_b64 s[36:37], vcc
	s_xor_b64 s[36:37], exec, s[36:37]
	s_cbranch_execz .LBB23_226
; %bb.221:
	s_mov_b32 s44, 0x3c7fffff
	v_cmp_lt_u32_e32 vcc, s44, v6
                                        ; implicit-def: $vgpr3
	s_and_saveexec_b64 s[44:45], vcc
	s_xor_b64 s[44:45], exec, s[44:45]
; %bb.222:
	v_bfe_u32 v3, v2, 20, 1
	s_mov_b32 s48, 0x407ffff
	v_add3_u32 v3, v2, v3, s48
	v_lshrrev_b32_e32 v6, 20, v3
	v_and_b32_e32 v3, 0xff00000, v3
	s_mov_b32 s48, 0x7f00000
	v_mov_b32_e32 v7, 0x7e
	v_cmp_ne_u32_e32 vcc, s48, v3
	v_cndmask_b32_e32 v3, v7, v6, vcc
; %bb.223:
	s_andn2_saveexec_b64 s[44:45], s[44:45]
; %bb.224:
	s_mov_b32 s48, 0x46800000
	v_add_f32_e64 v3, |v2|, s48
; %bb.225:
	s_or_b64 exec, exec, s[44:45]
                                        ; implicit-def: $vgpr6
.LBB23_226:
	s_andn2_saveexec_b64 s[36:37], s[36:37]
; %bb.227:
	s_mov_b32 s44, 0x7f800000
	v_mov_b32_e32 v3, 0x7e
	v_mov_b32_e32 v7, 0x7f
	v_cmp_lt_u32_e32 vcc, s44, v6
	v_cndmask_b32_e32 v3, v3, v7, vcc
; %bb.228:
	s_or_b64 exec, exec, s[36:37]
	v_lshrrev_b32_e32 v2, 24, v2
	s_movk_i32 s36, 0x80
	v_and_or_b32 v2, v2, s36, v3
	global_store_byte v[4:5], v2, off
.LBB23_229:
	s_mov_b64 s[36:37], 0
.LBB23_230:
	s_andn2_b64 vcc, exec, s[36:37]
	s_cbranch_vccnz .LBB23_240
; %bb.231:
	v_cvt_f32_f64_e32 v2, v[0:1]
	v_and_b32_e32 v6, 0x7fffffff, v2
	s_mov_b32 s36, 0x47800000
	v_cmp_gt_u32_e32 vcc, s36, v6
                                        ; implicit-def: $vgpr3
	s_and_saveexec_b64 s[36:37], vcc
	s_xor_b64 s[36:37], exec, s[36:37]
	s_cbranch_execz .LBB23_237
; %bb.232:
	s_mov_b32 s44, 0x387fffff
	v_cmp_lt_u32_e32 vcc, s44, v6
                                        ; implicit-def: $vgpr3
	s_and_saveexec_b64 s[44:45], vcc
	s_xor_b64 s[44:45], exec, s[44:45]
; %bb.233:
	v_bfe_u32 v3, v2, 21, 1
	s_mov_b32 s48, 0x80fffff
	v_add3_u32 v3, v2, v3, s48
	v_lshrrev_b32_e32 v3, 21, v3
; %bb.234:
	s_andn2_saveexec_b64 s[44:45], s[44:45]
; %bb.235:
	s_mov_b32 s48, 0x43000000
	v_add_f32_e64 v3, |v2|, s48
; %bb.236:
	s_or_b64 exec, exec, s[44:45]
                                        ; implicit-def: $vgpr6
.LBB23_237:
	s_andn2_saveexec_b64 s[36:37], s[36:37]
; %bb.238:
	s_mov_b32 s44, 0x7f800000
	v_mov_b32_e32 v3, 0x7c
	v_mov_b32_e32 v7, 0x7f
	v_cmp_lt_u32_e32 vcc, s44, v6
	v_cndmask_b32_e32 v3, v3, v7, vcc
; %bb.239:
	s_or_b64 exec, exec, s[36:37]
	v_lshrrev_b32_e32 v2, 24, v2
	s_movk_i32 s36, 0x80
	v_and_or_b32 v2, v2, s36, v3
	global_store_byte v[4:5], v2, off
.LBB23_240:
	s_mov_b64 s[44:45], 0
	s_mov_b64 s[36:37], -1
.LBB23_241:
	s_andn2_b64 vcc, exec, s[44:45]
	s_cbranch_vccnz .LBB23_249
; %bb.242:
	v_mov_b32_e32 v2, 14
	v_cmp_gt_i16_sdwa s[48:49], v10, v2 src0_sel:BYTE_0 src1_sel:DWORD
	s_mov_b64 s[44:45], -1
	s_and_b64 vcc, exec, s[48:49]
	s_cbranch_vccz .LBB23_246
; %bb.243:
	v_mov_b32_e32 v2, 15
	v_cmp_eq_u16_sdwa s[44:45], v10, v2 src0_sel:BYTE_0 src1_sel:DWORD
	s_mov_b64 s[0:1], -1
	s_and_b64 vcc, exec, s[44:45]
	s_cbranch_vccz .LBB23_245
; %bb.244:
	v_cvt_f32_f64_e32 v2, v[0:1]
	v_bfe_u32 v3, v2, 16, 1
	s_movk_i32 s0, 0x7fff
	v_add3_u32 v3, v2, v3, s0
	v_lshrrev_b32_e32 v3, 16, v3
	v_mov_b32_e32 v6, 0x7fc0
	v_cmp_o_f32_e32 vcc, v2, v2
	v_cndmask_b32_e32 v2, v6, v3, vcc
	global_store_short v[4:5], v2, off
	s_mov_b64 s[36:37], -1
	s_mov_b64 s[0:1], 0
.LBB23_245:
	s_mov_b64 s[44:45], 0
.LBB23_246:
	s_and_b64 vcc, exec, s[44:45]
	s_cbranch_vccz .LBB23_249
; %bb.247:
	v_mov_b32_e32 v2, 11
	v_cmp_eq_u16_sdwa s[44:45], v10, v2 src0_sel:BYTE_0 src1_sel:DWORD
	s_mov_b64 s[0:1], -1
	s_and_b64 vcc, exec, s[44:45]
	s_cbranch_vccz .LBB23_249
; %bb.248:
	v_cmp_neq_f64_e32 vcc, 0, v[0:1]
	s_mov_b64 s[0:1], 0
	v_cndmask_b32_e64 v2, 0, 1, vcc
	s_mov_b64 s[36:37], -1
	global_store_byte v[4:5], v2, off
.LBB23_249:
	s_mov_b64 s[44:45], 0
.LBB23_250:
	s_and_b64 vcc, exec, s[44:45]
	s_cbranch_vccz .LBB23_289
; %bb.251:
	v_mov_b32_e32 v2, 5
	v_cmp_lt_i16_sdwa s[44:45], v10, v2 src0_sel:BYTE_0 src1_sel:DWORD
	s_mov_b64 s[36:37], -1
	s_and_b64 vcc, exec, s[44:45]
	s_cbranch_vccnz .LBB23_272
; %bb.252:
	v_mov_b32_e32 v2, 8
	v_cmp_lt_i16_sdwa s[44:45], v10, v2 src0_sel:BYTE_0 src1_sel:DWORD
	s_and_b64 vcc, exec, s[44:45]
	s_cbranch_vccnz .LBB23_262
; %bb.253:
	v_mov_b32_e32 v2, 9
	v_cmp_lt_i16_sdwa s[44:45], v10, v2 src0_sel:BYTE_0 src1_sel:DWORD
	s_and_b64 vcc, exec, s[44:45]
	s_cbranch_vccnz .LBB23_259
; %bb.254:
	v_cmp_gt_i16_sdwa s[44:45], v10, v2 src0_sel:BYTE_0 src1_sel:DWORD
	s_and_b64 vcc, exec, s[44:45]
	s_cbranch_vccz .LBB23_256
; %bb.255:
	v_mov_b32_e32 v2, 0
	v_mov_b32_e32 v3, v2
	global_store_dwordx4 v[4:5], v[0:3], off
	s_mov_b64 s[36:37], 0
.LBB23_256:
	s_andn2_b64 vcc, exec, s[36:37]
	s_cbranch_vccnz .LBB23_258
; %bb.257:
	v_cvt_f32_f64_e32 v2, v[0:1]
	v_mov_b32_e32 v3, 0
	global_store_dwordx2 v[4:5], v[2:3], off
.LBB23_258:
	s_mov_b64 s[36:37], 0
.LBB23_259:
	s_andn2_b64 vcc, exec, s[36:37]
	s_cbranch_vccnz .LBB23_261
; %bb.260:
	v_cvt_f32_f64_e32 v2, v[0:1]
	v_cvt_f16_f32_e32 v2, v2
	global_store_dword v[4:5], v2, off
.LBB23_261:
	s_mov_b64 s[36:37], 0
.LBB23_262:
	s_andn2_b64 vcc, exec, s[36:37]
	s_cbranch_vccnz .LBB23_271
; %bb.263:
	v_mov_b32_e32 v2, 6
	v_cmp_lt_i16_sdwa s[44:45], v10, v2 src0_sel:BYTE_0 src1_sel:DWORD
	s_mov_b64 s[36:37], -1
	s_and_b64 vcc, exec, s[44:45]
	s_cbranch_vccnz .LBB23_269
; %bb.264:
	v_cmp_gt_i16_sdwa s[44:45], v10, v2 src0_sel:BYTE_0 src1_sel:DWORD
	s_and_b64 vcc, exec, s[44:45]
	s_cbranch_vccz .LBB23_266
; %bb.265:
	global_store_dwordx2 v[4:5], v[0:1], off
	s_mov_b64 s[36:37], 0
.LBB23_266:
	s_andn2_b64 vcc, exec, s[36:37]
	s_cbranch_vccnz .LBB23_268
; %bb.267:
	v_cvt_f32_f64_e32 v2, v[0:1]
	global_store_dword v[4:5], v2, off
.LBB23_268:
	s_mov_b64 s[36:37], 0
.LBB23_269:
	s_andn2_b64 vcc, exec, s[36:37]
	s_cbranch_vccnz .LBB23_271
; %bb.270:
	v_cvt_f32_f64_e32 v2, v[0:1]
	v_cvt_f16_f32_e32 v2, v2
	global_store_short v[4:5], v2, off
.LBB23_271:
	s_mov_b64 s[36:37], 0
.LBB23_272:
	s_andn2_b64 vcc, exec, s[36:37]
	s_cbranch_vccnz .LBB23_288
; %bb.273:
	v_mov_b32_e32 v2, 2
	v_cmp_lt_i16_sdwa s[44:45], v10, v2 src0_sel:BYTE_0 src1_sel:DWORD
	s_mov_b64 s[36:37], -1
	s_and_b64 vcc, exec, s[44:45]
	s_cbranch_vccnz .LBB23_283
; %bb.274:
	v_mov_b32_e32 v2, 3
	v_cmp_lt_i16_sdwa s[44:45], v10, v2 src0_sel:BYTE_0 src1_sel:DWORD
	s_and_b64 vcc, exec, s[44:45]
	s_cbranch_vccnz .LBB23_280
; %bb.275:
	v_cmp_gt_i16_sdwa s[44:45], v10, v2 src0_sel:BYTE_0 src1_sel:DWORD
	s_and_b64 vcc, exec, s[44:45]
	s_cbranch_vccz .LBB23_277
; %bb.276:
	v_trunc_f64_e32 v[2:3], v[0:1]
	s_movk_i32 s36, 0xffe0
	v_ldexp_f64 v[6:7], v[2:3], s36
	v_floor_f64_e32 v[6:7], v[6:7]
	v_fmac_f64_e32 v[2:3], 0xc1f00000, v[6:7]
	v_cvt_i32_f64_e32 v9, v[6:7]
	v_cvt_u32_f64_e32 v8, v[2:3]
	global_store_dwordx2 v[4:5], v[8:9], off
	s_mov_b64 s[36:37], 0
.LBB23_277:
	s_andn2_b64 vcc, exec, s[36:37]
	s_cbranch_vccnz .LBB23_279
; %bb.278:
	v_cvt_i32_f64_e32 v2, v[0:1]
	global_store_dword v[4:5], v2, off
.LBB23_279:
	s_mov_b64 s[36:37], 0
.LBB23_280:
	s_andn2_b64 vcc, exec, s[36:37]
	s_cbranch_vccnz .LBB23_282
; %bb.281:
	v_cvt_i32_f64_e32 v2, v[0:1]
	global_store_short v[4:5], v2, off
.LBB23_282:
	s_mov_b64 s[36:37], 0
.LBB23_283:
	s_andn2_b64 vcc, exec, s[36:37]
	s_cbranch_vccnz .LBB23_288
; %bb.284:
	v_mov_b32_e32 v2, 0
	v_cmp_gt_i16_sdwa s[44:45], v10, v2 src0_sel:BYTE_0 src1_sel:DWORD
	s_mov_b64 s[36:37], -1
	s_and_b64 vcc, exec, s[44:45]
	s_cbranch_vccz .LBB23_286
; %bb.285:
	v_cvt_i32_f64_e32 v2, v[0:1]
	global_store_byte v[4:5], v2, off
	s_mov_b64 s[36:37], 0
.LBB23_286:
	s_andn2_b64 vcc, exec, s[36:37]
	s_cbranch_vccnz .LBB23_288
; %bb.287:
	v_trunc_f64_e32 v[0:1], v[0:1]
	s_movk_i32 s36, 0xffe0
	v_ldexp_f64 v[2:3], v[0:1], s36
	v_floor_f64_e32 v[2:3], v[2:3]
	v_fmac_f64_e32 v[0:1], 0xc1f00000, v[2:3]
	v_cvt_u32_f64_e32 v0, v[0:1]
	global_store_byte v[4:5], v0, off
.LBB23_288:
	s_mov_b64 s[36:37], -1
.LBB23_289:
	s_andn2_b64 vcc, exec, s[36:37]
	s_cbranch_vccnz .LBB23_291
; %bb.290:
	v_add_u32_e32 v14, 0x80, v14
	s_mov_b64 s[44:45], -1
	s_branch .LBB23_404
.LBB23_291:
	s_mov_b64 s[44:45], 0
                                        ; implicit-def: $vgpr14
	s_branch .LBB23_404
.LBB23_292:
	s_mov_b64 s[38:39], -1
                                        ; implicit-def: $vgpr6_vgpr7
.LBB23_293:
	s_mov_b64 s[36:37], 0
.LBB23_294:
	s_and_b64 vcc, exec, s[36:37]
	s_cbranch_vccz .LBB23_298
; %bb.295:
	v_mov_b32_e32 v3, 29
	v_cmp_eq_u16_sdwa s[36:37], v11, v3 src0_sel:BYTE_0 src1_sel:DWORD
	s_and_b64 vcc, exec, s[36:37]
	s_cbranch_vccz .LBB23_297
; %bb.296:
	global_load_dwordx2 v[6:7], v[0:1], off
	s_mov_b64 s[0:1], -1
	s_mov_b64 s[38:39], 0
	s_mov_b64 s[36:37], 0
	s_waitcnt vmcnt(0)
	v_cvt_f64_u32_e32 v[8:9], v7
	v_cvt_f64_u32_e32 v[6:7], v6
	v_ldexp_f64 v[8:9], v[8:9], 32
	v_add_f64 v[6:7], v[8:9], v[6:7]
	s_branch .LBB23_299
.LBB23_297:
	s_mov_b64 s[38:39], -1
                                        ; implicit-def: $vgpr6_vgpr7
.LBB23_298:
	s_mov_b64 s[36:37], 0
.LBB23_299:
	s_and_b64 vcc, exec, s[36:37]
	s_cbranch_vccz .LBB23_317
; %bb.300:
	v_mov_b32_e32 v3, 27
	v_cmp_lt_i16_sdwa s[0:1], v11, v3 src0_sel:BYTE_0 src1_sel:DWORD
	s_and_b64 vcc, exec, s[0:1]
	s_cbranch_vccnz .LBB23_303
; %bb.301:
	v_cmp_gt_i16_sdwa s[0:1], v11, v3 src0_sel:BYTE_0 src1_sel:DWORD
	s_and_b64 vcc, exec, s[0:1]
	s_cbranch_vccz .LBB23_304
; %bb.302:
	global_load_dword v3, v[0:1], off
	s_mov_b64 s[0:1], 0
	s_waitcnt vmcnt(0)
	v_cvt_f64_u32_e32 v[6:7], v3
	s_branch .LBB23_305
.LBB23_303:
	s_mov_b64 s[0:1], -1
                                        ; implicit-def: $vgpr6_vgpr7
	s_branch .LBB23_308
.LBB23_304:
	s_mov_b64 s[0:1], -1
                                        ; implicit-def: $vgpr6_vgpr7
.LBB23_305:
	s_andn2_b64 vcc, exec, s[0:1]
	s_cbranch_vccnz .LBB23_307
; %bb.306:
	global_load_ushort v3, v[0:1], off
	s_waitcnt vmcnt(0)
	v_cvt_f64_u32_e32 v[6:7], v3
.LBB23_307:
	s_mov_b64 s[0:1], 0
.LBB23_308:
	s_andn2_b64 vcc, exec, s[0:1]
	s_cbranch_vccnz .LBB23_316
; %bb.309:
	global_load_ubyte v3, v[0:1], off
	s_movk_i32 s0, 0x7f
                                        ; implicit-def: $sgpr36_sgpr37
	s_waitcnt vmcnt(0)
	v_cmp_lt_i16_e32 vcc, s0, v3
	s_mov_b64 s[0:1], 0
	s_and_saveexec_b64 s[44:45], vcc
	s_xor_b64 s[44:45], exec, s[44:45]
	s_cbranch_execz .LBB23_330
; %bb.310:
	s_movk_i32 s0, 0x80
	v_cmp_eq_u16_e32 vcc, s0, v3
	s_mov_b64 s[48:49], -1
                                        ; implicit-def: $sgpr36_sgpr37
	s_and_saveexec_b64 s[0:1], vcc
; %bb.311:
	s_mov_b32 s37, 0x7ff80000
	s_brev_b32 s36, 4
	s_xor_b64 s[48:49], exec, -1
; %bb.312:
	s_or_b64 exec, exec, s[0:1]
	s_and_b64 s[0:1], s[48:49], exec
	s_or_saveexec_b64 s[44:45], s[44:45]
	v_pk_mov_b32 v[6:7], s[36:37], s[36:37] op_sel:[0,1]
	s_xor_b64 exec, exec, s[44:45]
	s_cbranch_execnz .LBB23_331
.LBB23_313:
	s_or_b64 exec, exec, s[44:45]
	s_and_saveexec_b64 s[36:37], s[0:1]
	s_cbranch_execz .LBB23_315
.LBB23_314:
	v_lshlrev_b32_e32 v6, 24, v3
	v_and_b32_e32 v3, 0xffff, v3
	v_and_b32_e32 v7, 7, v3
	v_ffbh_u32_e32 v9, v7
	v_min_u32_e32 v9, 32, v9
	v_subrev_u32_e32 v13, 28, v9
	v_bfe_u32 v8, v3, 3, 4
	v_lshlrev_b32_e32 v3, v13, v3
	v_sub_u32_e32 v9, 29, v9
	v_and_b32_e32 v3, 7, v3
	v_cmp_eq_u32_e32 vcc, 0, v8
	v_cndmask_b32_e32 v8, v8, v9, vcc
	v_cndmask_b32_e32 v3, v7, v3, vcc
	v_mov_b32_e32 v7, 0x3b800000
	v_lshlrev_b32_e32 v3, 20, v3
	v_and_b32_e32 v6, 0x80000000, v6
	v_lshl_add_u32 v7, v8, 23, v7
	v_or3_b32 v3, v6, v7, v3
	v_cvt_f64_f32_e32 v[6:7], v3
.LBB23_315:
	s_or_b64 exec, exec, s[36:37]
.LBB23_316:
	s_mov_b64 s[0:1], -1
.LBB23_317:
	s_mov_b64 s[36:37], 0
.LBB23_318:
	s_and_b64 vcc, exec, s[36:37]
	s_cbranch_vccz .LBB23_353
; %bb.319:
	v_mov_b32_e32 v3, 22
	v_cmp_gt_i16_sdwa s[36:37], v11, v3 src0_sel:BYTE_0 src1_sel:DWORD
	s_and_b64 vcc, exec, s[36:37]
	s_cbranch_vccz .LBB23_329
; %bb.320:
	v_mov_b32_e32 v3, 24
	v_cmp_lt_i16_sdwa s[0:1], v11, v3 src0_sel:BYTE_0 src1_sel:DWORD
	s_and_b64 vcc, exec, s[0:1]
	s_cbranch_vccnz .LBB23_332
; %bb.321:
	v_cmp_gt_i16_sdwa s[0:1], v11, v3 src0_sel:BYTE_0 src1_sel:DWORD
	s_and_b64 vcc, exec, s[0:1]
	s_cbranch_vccz .LBB23_333
; %bb.322:
	global_load_ubyte v3, v[0:1], off
	s_movk_i32 s0, 0x7f
                                        ; implicit-def: $sgpr36_sgpr37
	s_waitcnt vmcnt(0)
	v_cmp_lt_i16_e32 vcc, s0, v3
	s_mov_b64 s[0:1], 0
	s_and_saveexec_b64 s[44:45], vcc
	s_xor_b64 s[44:45], exec, s[44:45]
	s_cbranch_execz .LBB23_345
; %bb.323:
	s_movk_i32 s0, 0x80
	v_cmp_eq_u16_e32 vcc, s0, v3
	s_mov_b64 s[48:49], -1
                                        ; implicit-def: $sgpr36_sgpr37
	s_and_saveexec_b64 s[0:1], vcc
; %bb.324:
	s_mov_b32 s37, 0x7ff80000
	s_brev_b32 s36, 4
	s_xor_b64 s[48:49], exec, -1
; %bb.325:
	s_or_b64 exec, exec, s[0:1]
	s_and_b64 s[0:1], s[48:49], exec
	s_or_saveexec_b64 s[44:45], s[44:45]
	v_pk_mov_b32 v[6:7], s[36:37], s[36:37] op_sel:[0,1]
	s_xor_b64 exec, exec, s[44:45]
	s_cbranch_execnz .LBB23_346
.LBB23_326:
	s_or_b64 exec, exec, s[44:45]
	s_and_saveexec_b64 s[36:37], s[0:1]
	s_cbranch_execz .LBB23_328
.LBB23_327:
	v_lshlrev_b32_e32 v6, 24, v3
	v_and_b32_e32 v3, 0xffff, v3
	v_and_b32_e32 v7, 3, v3
	v_ffbh_u32_e32 v9, v7
	v_min_u32_e32 v9, 32, v9
	v_subrev_u32_e32 v13, 29, v9
	v_bfe_u32 v8, v3, 2, 5
	v_lshlrev_b32_e32 v3, v13, v3
	v_sub_u32_e32 v9, 30, v9
	v_and_b32_e32 v3, 3, v3
	v_cmp_eq_u32_e32 vcc, 0, v8
	v_cndmask_b32_e32 v8, v8, v9, vcc
	v_cndmask_b32_e32 v3, v7, v3, vcc
	v_mov_b32_e32 v7, 0x37800000
	v_lshlrev_b32_e32 v3, 21, v3
	v_and_b32_e32 v6, 0x80000000, v6
	v_lshl_add_u32 v7, v8, 23, v7
	v_or3_b32 v3, v6, v7, v3
	v_cvt_f64_f32_e32 v[6:7], v3
.LBB23_328:
	s_or_b64 exec, exec, s[36:37]
	s_mov_b64 s[0:1], 0
	s_branch .LBB23_334
.LBB23_329:
	s_mov_b64 s[36:37], -1
                                        ; implicit-def: $vgpr6_vgpr7
	s_branch .LBB23_340
.LBB23_330:
	s_or_saveexec_b64 s[44:45], s[44:45]
	v_pk_mov_b32 v[6:7], s[36:37], s[36:37] op_sel:[0,1]
	s_xor_b64 exec, exec, s[44:45]
	s_cbranch_execz .LBB23_313
.LBB23_331:
	v_cmp_ne_u16_e32 vcc, 0, v3
	s_andn2_b64 s[0:1], s[0:1], exec
	s_and_b64 s[36:37], vcc, exec
	v_pk_mov_b32 v[6:7], 0, 0
	s_or_b64 s[0:1], s[0:1], s[36:37]
	s_or_b64 exec, exec, s[44:45]
	s_and_saveexec_b64 s[36:37], s[0:1]
	s_cbranch_execnz .LBB23_314
	s_branch .LBB23_315
.LBB23_332:
	s_mov_b64 s[0:1], -1
                                        ; implicit-def: $vgpr6_vgpr7
	s_branch .LBB23_337
.LBB23_333:
	s_mov_b64 s[0:1], -1
                                        ; implicit-def: $vgpr6_vgpr7
.LBB23_334:
	s_and_b64 vcc, exec, s[0:1]
	s_cbranch_vccz .LBB23_336
; %bb.335:
	global_load_ubyte v3, v[0:1], off
	s_mov_b32 s0, 0x7f800000
	s_waitcnt vmcnt(0)
	v_lshlrev_b32_e32 v3, 24, v3
	v_and_b32_e32 v6, 0x7f000000, v3
	v_ffbh_u32_e32 v7, v6
	v_min_u32_e32 v7, 32, v7
	v_sub_u32_e64 v7, v7, 4 clamp
	v_lshlrev_b32_e32 v9, v7, v6
	v_lshlrev_b32_e32 v7, 23, v7
	v_lshrrev_b32_e32 v9, 4, v9
	v_add_u32_e32 v8, 0x1000000, v6
	v_sub_u32_e32 v7, v9, v7
	v_ashrrev_i32_e32 v8, 8, v8
	v_add_u32_e32 v7, 0x3c000000, v7
	v_and_or_b32 v7, v8, s0, v7
	v_cmp_ne_u32_e32 vcc, 0, v6
	v_cndmask_b32_e32 v6, 0, v7, vcc
	s_brev_b32 s0, 1
	v_and_or_b32 v3, v3, s0, v6
	v_cvt_f64_f32_e32 v[6:7], v3
.LBB23_336:
	s_mov_b64 s[0:1], 0
.LBB23_337:
	s_andn2_b64 vcc, exec, s[0:1]
	s_cbranch_vccnz .LBB23_339
; %bb.338:
	global_load_ubyte v3, v[0:1], off
	s_movk_i32 s0, 0x7f00
	s_brev_b32 s1, 16
	s_waitcnt vmcnt(0)
	v_lshlrev_b16_e32 v6, 8, v3
	v_lshlrev_b32_e32 v3, 25, v3
	v_lshrrev_b32_e32 v7, 4, v3
	v_and_or_b32 v8, v6, s0, 0.5
	v_or_b32_e32 v7, 0x70000000, v7
	v_add_f32_e32 v8, -0.5, v8
	v_mul_f32_e32 v7, 0x7800000, v7
	v_cmp_gt_u32_e32 vcc, s1, v3
	v_bfe_i32 v6, v6, 0, 16
	v_cndmask_b32_e32 v3, v7, v8, vcc
	s_brev_b32 s0, 1
	v_and_or_b32 v3, v6, s0, v3
	v_cvt_f64_f32_e32 v[6:7], v3
.LBB23_339:
	s_mov_b64 s[36:37], 0
	s_mov_b64 s[0:1], -1
.LBB23_340:
	s_andn2_b64 vcc, exec, s[36:37]
	s_cbranch_vccnz .LBB23_353
; %bb.341:
	v_mov_b32_e32 v3, 14
	v_cmp_gt_i16_sdwa s[36:37], v11, v3 src0_sel:BYTE_0 src1_sel:DWORD
	s_and_b64 vcc, exec, s[36:37]
	s_cbranch_vccz .LBB23_344
; %bb.342:
	v_mov_b32_e32 v3, 15
	v_cmp_eq_u16_sdwa s[36:37], v11, v3 src0_sel:BYTE_0 src1_sel:DWORD
	s_and_b64 vcc, exec, s[36:37]
	s_cbranch_vccz .LBB23_347
; %bb.343:
	global_load_ushort v3, v[0:1], off
	s_mov_b64 s[0:1], -1
	s_mov_b64 s[38:39], 0
	s_waitcnt vmcnt(0)
	v_lshlrev_b32_e32 v3, 16, v3
	v_cvt_f64_f32_e32 v[6:7], v3
	s_branch .LBB23_348
.LBB23_344:
	s_mov_b64 s[36:37], -1
                                        ; implicit-def: $vgpr6_vgpr7
	s_branch .LBB23_349
.LBB23_345:
	s_or_saveexec_b64 s[44:45], s[44:45]
	v_pk_mov_b32 v[6:7], s[36:37], s[36:37] op_sel:[0,1]
	s_xor_b64 exec, exec, s[44:45]
	s_cbranch_execz .LBB23_326
.LBB23_346:
	v_cmp_ne_u16_e32 vcc, 0, v3
	s_andn2_b64 s[0:1], s[0:1], exec
	s_and_b64 s[36:37], vcc, exec
	v_pk_mov_b32 v[6:7], 0, 0
	s_or_b64 s[0:1], s[0:1], s[36:37]
	s_or_b64 exec, exec, s[44:45]
	s_and_saveexec_b64 s[36:37], s[0:1]
	s_cbranch_execnz .LBB23_327
	s_branch .LBB23_328
.LBB23_347:
	s_mov_b64 s[38:39], -1
                                        ; implicit-def: $vgpr6_vgpr7
.LBB23_348:
	s_mov_b64 s[36:37], 0
.LBB23_349:
	s_and_b64 vcc, exec, s[36:37]
	s_cbranch_vccz .LBB23_353
; %bb.350:
	v_mov_b32_e32 v3, 11
	v_cmp_eq_u16_sdwa s[36:37], v11, v3 src0_sel:BYTE_0 src1_sel:DWORD
	s_and_b64 vcc, exec, s[36:37]
	s_cbranch_vccz .LBB23_352
; %bb.351:
	global_load_ubyte v3, v[0:1], off
	v_mov_b32_e32 v7, 0x3ff00000
	v_mov_b32_e32 v6, 0
	s_mov_b64 s[0:1], -1
	s_mov_b64 s[38:39], 0
	s_waitcnt vmcnt(0)
	v_cmp_ne_u16_e32 vcc, 0, v3
	v_cndmask_b32_e32 v7, 0, v7, vcc
	s_branch .LBB23_353
.LBB23_352:
	s_mov_b64 s[38:39], -1
                                        ; implicit-def: $vgpr6_vgpr7
.LBB23_353:
	s_branch .LBB23_30
.LBB23_354:
	v_mov_b32_e32 v3, 5
	v_cmp_lt_i16_sdwa s[0:1], v11, v3 src0_sel:BYTE_0 src1_sel:DWORD
	s_and_b64 vcc, exec, s[0:1]
	s_cbranch_vccnz .LBB23_359
; %bb.355:
	v_mov_b32_e32 v3, 8
	v_cmp_lt_i16_sdwa s[0:1], v11, v3 src0_sel:BYTE_0 src1_sel:DWORD
	s_and_b64 vcc, exec, s[0:1]
	s_cbranch_vccnz .LBB23_360
; %bb.356:
	;; [unrolled: 5-line block ×3, first 2 shown]
	v_cmp_gt_i16_sdwa s[0:1], v11, v3 src0_sel:BYTE_0 src1_sel:DWORD
	s_and_b64 vcc, exec, s[0:1]
	s_cbranch_vccz .LBB23_362
; %bb.358:
	global_load_dwordx2 v[6:7], v[0:1], off
	s_mov_b64 s[0:1], 0
	s_branch .LBB23_363
.LBB23_359:
	s_mov_b64 s[0:1], -1
                                        ; implicit-def: $vgpr6_vgpr7
	s_branch .LBB23_381
.LBB23_360:
	s_mov_b64 s[0:1], -1
                                        ; implicit-def: $vgpr6_vgpr7
	s_branch .LBB23_369
.LBB23_361:
	s_mov_b64 s[0:1], -1
                                        ; implicit-def: $vgpr6_vgpr7
	s_branch .LBB23_366
.LBB23_362:
	s_mov_b64 s[0:1], -1
                                        ; implicit-def: $vgpr6_vgpr7
.LBB23_363:
	s_andn2_b64 vcc, exec, s[0:1]
	s_cbranch_vccnz .LBB23_365
; %bb.364:
	global_load_dword v3, v[0:1], off
	s_waitcnt vmcnt(0)
	v_cvt_f64_f32_e32 v[6:7], v3
.LBB23_365:
	s_mov_b64 s[0:1], 0
.LBB23_366:
	s_andn2_b64 vcc, exec, s[0:1]
	s_cbranch_vccnz .LBB23_368
; %bb.367:
	global_load_dword v3, v[0:1], off
	s_waitcnt vmcnt(0)
	v_cvt_f32_f16_e32 v3, v3
	v_cvt_f64_f32_e32 v[6:7], v3
.LBB23_368:
	s_mov_b64 s[0:1], 0
.LBB23_369:
	s_andn2_b64 vcc, exec, s[0:1]
	s_cbranch_vccnz .LBB23_380
; %bb.370:
	v_mov_b32_e32 v3, 6
	v_cmp_lt_i16_sdwa s[0:1], v11, v3 src0_sel:BYTE_0 src1_sel:DWORD
	s_and_b64 vcc, exec, s[0:1]
	s_cbranch_vccnz .LBB23_373
; %bb.371:
	v_cmp_gt_i16_sdwa s[0:1], v11, v3 src0_sel:BYTE_0 src1_sel:DWORD
	s_and_b64 vcc, exec, s[0:1]
	s_cbranch_vccz .LBB23_374
; %bb.372:
	global_load_dwordx2 v[6:7], v[0:1], off
	s_mov_b64 s[0:1], 0
	s_branch .LBB23_375
.LBB23_373:
	s_mov_b64 s[0:1], -1
                                        ; implicit-def: $vgpr6_vgpr7
	s_branch .LBB23_378
.LBB23_374:
	s_mov_b64 s[0:1], -1
                                        ; implicit-def: $vgpr6_vgpr7
.LBB23_375:
	s_andn2_b64 vcc, exec, s[0:1]
	s_cbranch_vccnz .LBB23_377
; %bb.376:
	global_load_dword v3, v[0:1], off
	s_waitcnt vmcnt(0)
	v_cvt_f64_f32_e32 v[6:7], v3
.LBB23_377:
	s_mov_b64 s[0:1], 0
.LBB23_378:
	s_andn2_b64 vcc, exec, s[0:1]
	s_cbranch_vccnz .LBB23_380
; %bb.379:
	global_load_ushort v3, v[0:1], off
	s_waitcnt vmcnt(0)
	v_cvt_f32_f16_e32 v3, v3
	v_cvt_f64_f32_e32 v[6:7], v3
.LBB23_380:
	s_mov_b64 s[0:1], 0
.LBB23_381:
	s_andn2_b64 vcc, exec, s[0:1]
	s_cbranch_vccnz .LBB23_401
; %bb.382:
	v_mov_b32_e32 v3, 2
	v_cmp_lt_i16_sdwa s[0:1], v11, v3 src0_sel:BYTE_0 src1_sel:DWORD
	s_and_b64 vcc, exec, s[0:1]
	s_cbranch_vccnz .LBB23_386
; %bb.383:
	v_mov_b32_e32 v3, 3
	v_cmp_lt_i16_sdwa s[0:1], v11, v3 src0_sel:BYTE_0 src1_sel:DWORD
	s_and_b64 vcc, exec, s[0:1]
	s_cbranch_vccnz .LBB23_387
; %bb.384:
	v_cmp_gt_i16_sdwa s[0:1], v11, v3 src0_sel:BYTE_0 src1_sel:DWORD
	s_and_b64 vcc, exec, s[0:1]
	s_cbranch_vccz .LBB23_388
; %bb.385:
	global_load_dwordx2 v[6:7], v[0:1], off
	s_mov_b64 s[0:1], 0
	s_waitcnt vmcnt(0)
	v_cvt_f64_i32_e32 v[8:9], v7
	v_cvt_f64_u32_e32 v[6:7], v6
	v_ldexp_f64 v[8:9], v[8:9], 32
	v_add_f64 v[6:7], v[8:9], v[6:7]
	s_branch .LBB23_389
.LBB23_386:
	s_mov_b64 s[0:1], -1
                                        ; implicit-def: $vgpr6_vgpr7
	s_branch .LBB23_395
.LBB23_387:
	s_mov_b64 s[0:1], -1
                                        ; implicit-def: $vgpr6_vgpr7
	s_branch .LBB23_392
.LBB23_388:
	s_mov_b64 s[0:1], -1
                                        ; implicit-def: $vgpr6_vgpr7
.LBB23_389:
	s_andn2_b64 vcc, exec, s[0:1]
	s_cbranch_vccnz .LBB23_391
; %bb.390:
	global_load_dword v3, v[0:1], off
	s_waitcnt vmcnt(0)
	v_cvt_f64_i32_e32 v[6:7], v3
.LBB23_391:
	s_mov_b64 s[0:1], 0
.LBB23_392:
	s_andn2_b64 vcc, exec, s[0:1]
	s_cbranch_vccnz .LBB23_394
; %bb.393:
	global_load_sshort v3, v[0:1], off
	s_waitcnt vmcnt(0)
	v_cvt_f64_i32_e32 v[6:7], v3
.LBB23_394:
	s_mov_b64 s[0:1], 0
.LBB23_395:
	s_andn2_b64 vcc, exec, s[0:1]
	s_cbranch_vccnz .LBB23_401
; %bb.396:
	v_mov_b32_e32 v3, 0
	v_cmp_gt_i16_sdwa s[0:1], v11, v3 src0_sel:BYTE_0 src1_sel:DWORD
	s_and_b64 vcc, exec, s[0:1]
	s_cbranch_vccz .LBB23_398
; %bb.397:
	global_load_sbyte v3, v[0:1], off
	s_mov_b64 s[0:1], 0
	s_waitcnt vmcnt(0)
	v_cvt_f64_i32_e32 v[6:7], v3
	s_branch .LBB23_399
.LBB23_398:
	s_mov_b64 s[0:1], -1
                                        ; implicit-def: $vgpr6_vgpr7
.LBB23_399:
	s_andn2_b64 vcc, exec, s[0:1]
	s_cbranch_vccnz .LBB23_401
; %bb.400:
	global_load_ubyte v0, v[0:1], off
	s_waitcnt vmcnt(0)
	v_cvt_f64_u32_e32 v[6:7], v0
.LBB23_401:
	s_branch .LBB23_31
.LBB23_402:
	s_mov_b64 s[0:1], 0
.LBB23_403:
                                        ; implicit-def: $vgpr14
	s_mov_b64 s[44:45], 0
.LBB23_404:
	s_and_b64 s[36:37], s[0:1], exec
	s_and_b64 s[38:39], s[38:39], exec
	;; [unrolled: 1-line block ×3, first 2 shown]
	s_orn2_b64 s[0:1], s[44:45], exec
.LBB23_405:
	s_or_b64 exec, exec, s[42:43]
	s_mov_b64 s[50:51], 0
	s_mov_b64 s[48:49], 0
                                        ; implicit-def: $vgpr1
                                        ; implicit-def: $vgpr6_vgpr7
                                        ; implicit-def: $vgpr0
                                        ; implicit-def: $vgpr2
                                        ; implicit-def: $vgpr4_vgpr5
	s_and_saveexec_b64 s[42:43], s[0:1]
	s_cbranch_execz .LBB23_414
; %bb.406:
	v_cmp_gt_i32_e32 vcc, s70, v14
	s_mov_b64 s[0:1], -1
	s_mov_b64 s[44:45], s[40:41]
	s_mov_b64 s[46:47], s[38:39]
	;; [unrolled: 1-line block ×3, first 2 shown]
	s_and_saveexec_b64 s[50:51], vcc
	s_cbranch_execz .LBB23_817
; %bb.407:
	s_andn2_b64 vcc, exec, s[20:21]
	s_cbranch_vccnz .LBB23_417
; %bb.408:
	s_andn2_b64 vcc, exec, s[34:35]
	v_mov_b32_e32 v0, 0
	s_waitcnt vmcnt(0)
	v_mov_b32_e32 v4, 0
	v_mov_b32_e32 v2, 0
	s_cbranch_vccnz .LBB23_413
; %bb.409:
	s_add_i32 s0, s69, 1
	s_and_b32 s44, s0, 30
	s_add_u32 s0, s2, 0xffffffec
	s_addc_u32 s1, s3, -1
	v_mov_b32_e32 v2, 0
	v_mov_b32_e32 v1, v14
	;; [unrolled: 1-line block ×4, first 2 shown]
.LBB23_410:                             ; =>This Inner Loop Header: Depth=1
	s_mov_b64 s[46:47], s[0:1]
	s_load_dwordx4 s[52:55], s[46:47], 0x18
	s_load_dwordx2 s[48:49], s[46:47], 0x28
	s_load_dwordx2 s[60:61], s[46:47], 0xe8
	s_load_dwordx4 s[56:59], s[46:47], 0xd8
	s_add_u32 s0, s46, 24
	s_waitcnt lgkmcnt(0)
	v_mul_hi_u32 v3, s53, v1
	v_add_u32_e32 v3, v1, v3
	v_lshrrev_b32_e32 v3, s54, v3
	v_mul_lo_u32 v5, v3, s52
	v_mul_hi_u32 v6, s48, v3
	v_sub_u32_e32 v1, v1, v5
	v_add_u32_e32 v5, v3, v6
	v_mul_lo_u32 v6, v1, s56
	v_mul_lo_u32 v7, v1, s57
	v_mul_lo_u32 v8, v1, s58
	v_lshrrev_b32_e32 v1, s49, v5
	v_mul_lo_u32 v5, v1, s55
	v_sub_u32_e32 v3, v3, v5
	s_addc_u32 s1, s47, 0
	s_add_i32 s44, s44, -2
	v_mul_lo_u32 v5, v3, s59
	v_mul_lo_u32 v9, v3, s60
	;; [unrolled: 1-line block ×3, first 2 shown]
	s_cmp_eq_u32 s44, 0
	v_add3_u32 v2, v6, v2, v5
	v_add3_u32 v0, v8, v0, v3
	;; [unrolled: 1-line block ×3, first 2 shown]
	s_cbranch_scc0 .LBB23_410
; %bb.411:
	s_bitcmp1_b32 s69, 0
	s_cselect_b64 s[44:45], -1, 0
	s_and_b64 vcc, exec, s[44:45]
	s_cbranch_vccnz .LBB23_413
; %bb.412:
	s_load_dwordx2 s[44:45], s[0:1], 0x18
	s_load_dword s46, s[0:1], 0x20
	s_load_dword s47, s[0:1], 0xe0
	s_nop 0
	s_load_dwordx2 s[0:1], s[0:1], 0xd8
	s_waitcnt lgkmcnt(0)
	v_mul_hi_u32 v3, s45, v1
	v_add_u32_e32 v3, v1, v3
	v_lshrrev_b32_e32 v3, s46, v3
	v_mul_lo_u32 v3, v3, s44
	v_sub_u32_e32 v1, v1, v3
	v_mad_u64_u32 v[2:3], s[44:45], v1, s0, v[2:3]
	v_mad_u64_u32 v[4:5], s[0:1], v1, s1, v[4:5]
	;; [unrolled: 1-line block ×3, first 2 shown]
.LBB23_413:
	s_cbranch_execz .LBB23_418
	s_branch .LBB23_420
.LBB23_414:
	s_or_b64 exec, exec, s[42:43]
	s_waitcnt lgkmcnt(0)
	s_mov_b64 s[10:11], 0
	s_and_saveexec_b64 s[0:1], s[40:41]
	s_cbranch_execnz .LBB23_1325
.LBB23_415:
	s_or_b64 exec, exec, s[0:1]
	s_and_saveexec_b64 s[0:1], s[46:47]
	s_xor_b64 s[0:1], exec, s[0:1]
	s_cbranch_execz .LBB23_1326
.LBB23_416:
	s_waitcnt vmcnt(0)
	global_load_ubyte v3, v[6:7], off
	v_mov_b32_e32 v5, 0x3ff00000
	v_mov_b32_e32 v4, 0
	s_or_b64 s[48:49], s[48:49], exec
	s_waitcnt vmcnt(0)
	v_cmp_ne_u16_e32 vcc, 0, v3
	v_cndmask_b32_e32 v5, 0, v5, vcc
	s_or_b64 exec, exec, s[0:1]
	s_and_saveexec_b64 s[0:1], s[50:51]
	s_cbranch_execz .LBB23_1372
	s_branch .LBB23_1327
.LBB23_417:
                                        ; implicit-def: $vgpr0
                                        ; implicit-def: $vgpr4
                                        ; implicit-def: $vgpr2
	s_andn2_b64 vcc, exec, s[0:1]
	s_cbranch_vccnz .LBB23_420
.LBB23_418:
	s_waitcnt lgkmcnt(0)
	v_mul_hi_u32 v0, s17, v14
	v_add_u32_e32 v0, v14, v0
	v_lshrrev_b32_e32 v1, s18, v0
	v_mul_lo_u32 v0, v1, s16
	v_sub_u32_e32 v3, v14, v0
	v_mul_lo_u32 v2, v3, s12
	v_mul_lo_u32 v0, v3, s14
	s_andn2_b64 vcc, exec, s[30:31]
	s_waitcnt vmcnt(0)
	v_mul_lo_u32 v4, v3, s13
	s_cbranch_vccnz .LBB23_420
; %bb.419:
	v_mul_hi_u32 v3, s28, v1
	v_add_u32_e32 v3, v1, v3
	v_lshrrev_b32_e32 v3, s29, v3
	v_mul_lo_u32 v3, v3, s19
	v_sub_u32_e32 v1, v1, v3
	v_mad_u64_u32 v[2:3], s[0:1], v1, s15, v[2:3]
	v_mad_u64_u32 v[4:5], s[0:1], v1, s26, v[4:5]
	v_mad_u64_u32 v[0:1], s[0:1], v1, s27, v[0:1]
.LBB23_420:
	s_waitcnt lgkmcnt(0)
	v_mov_b32_e32 v1, s11
	s_waitcnt vmcnt(0)
	v_add_co_u32_e32 v6, vcc, s10, v4
	v_addc_co_u32_e32 v7, vcc, 0, v1, vcc
	v_mov_b32_e32 v1, 11
	v_cmp_lt_i16_sdwa s[0:1], v12, v1 src0_sel:BYTE_0 src1_sel:DWORD
	s_and_b64 vcc, exec, s[0:1]
	s_cbranch_vccnz .LBB23_427
; %bb.421:
	v_mov_b32_e32 v1, 25
	v_cmp_gt_i16_sdwa s[0:1], v12, v1 src0_sel:BYTE_0 src1_sel:DWORD
	s_and_b64 vcc, exec, s[0:1]
	s_cbranch_vccz .LBB23_436
; %bb.422:
	v_mov_b32_e32 v1, 28
	v_cmp_gt_i16_sdwa s[0:1], v12, v1 src0_sel:BYTE_0 src1_sel:DWORD
	s_and_b64 vcc, exec, s[0:1]
	s_cbranch_vccz .LBB23_438
	;; [unrolled: 5-line block ×4, first 2 shown]
; %bb.425:
	v_mov_b32_e32 v1, 46
	v_cmp_eq_u16_sdwa s[0:1], v12, v1 src0_sel:BYTE_0 src1_sel:DWORD
	s_mov_b64 s[46:47], 0
	s_and_b64 vcc, exec, s[0:1]
	s_cbranch_vccz .LBB23_446
; %bb.426:
	global_load_dword v1, v[6:7], off
	s_mov_b64 s[0:1], -1
	s_mov_b64 s[44:45], 0
	s_waitcnt vmcnt(0)
	v_lshlrev_b32_e32 v1, 16, v1
	v_cvt_f64_f32_e32 v[4:5], v1
	s_branch .LBB23_447
.LBB23_427:
	s_mov_b64 s[0:1], 0
                                        ; implicit-def: $vgpr4_vgpr5
	s_mov_b64 s[44:45], s[40:41]
	s_cbranch_execnz .LBB23_513
.LBB23_428:
	s_andn2_b64 vcc, exec, s[0:1]
	s_cbranch_vccnz .LBB23_561
.LBB23_429:
	v_mov_b32_e32 v1, s25
	v_add_co_u32_e32 v0, vcc, s24, v0
	v_mov_b32_e32 v3, 11
	v_addc_co_u32_e32 v1, vcc, 0, v1, vcc
	v_cmp_lt_i16_sdwa s[0:1], v11, v3 src0_sel:BYTE_0 src1_sel:DWORD
	s_and_b64 vcc, exec, s[0:1]
	s_cbranch_vccnz .LBB23_437
; %bb.430:
	v_mov_b32_e32 v3, 25
	v_cmp_gt_i16_sdwa s[0:1], v11, v3 src0_sel:BYTE_0 src1_sel:DWORD
	s_and_b64 vcc, exec, s[0:1]
	s_cbranch_vccz .LBB23_439
; %bb.431:
	v_mov_b32_e32 v3, 28
	v_cmp_gt_i16_sdwa s[0:1], v11, v3 src0_sel:BYTE_0 src1_sel:DWORD
	s_and_b64 vcc, exec, s[0:1]
	s_cbranch_vccz .LBB23_441
; %bb.432:
	v_mov_b32_e32 v3, 43
	v_cmp_gt_i16_sdwa s[0:1], v11, v3 src0_sel:BYTE_0 src1_sel:DWORD
	s_and_b64 vcc, exec, s[0:1]
	s_cbranch_vccz .LBB23_443
; %bb.433:
	v_mov_b32_e32 v3, 45
	v_cmp_gt_i16_sdwa s[0:1], v11, v3 src0_sel:BYTE_0 src1_sel:DWORD
	s_and_b64 vcc, exec, s[0:1]
	s_cbranch_vccz .LBB23_450
; %bb.434:
	v_mov_b32_e32 v3, 46
	v_cmp_eq_u16_sdwa s[0:1], v11, v3 src0_sel:BYTE_0 src1_sel:DWORD
	s_mov_b64 s[48:49], 0
	s_and_b64 vcc, exec, s[0:1]
	s_cbranch_vccz .LBB23_565
; %bb.435:
	global_load_dword v3, v[0:1], off
	s_mov_b64 s[0:1], -1
	s_mov_b64 s[46:47], 0
	s_waitcnt vmcnt(0)
	v_lshlrev_b32_e32 v3, 16, v3
	v_cvt_f64_f32_e32 v[6:7], v3
	s_branch .LBB23_566
.LBB23_436:
	s_mov_b64 s[46:47], -1
	s_mov_b64 s[0:1], 0
	s_mov_b64 s[44:45], s[40:41]
                                        ; implicit-def: $vgpr4_vgpr5
	s_branch .LBB23_477
.LBB23_437:
	s_mov_b64 s[48:49], -1
	s_mov_b64 s[0:1], 0
                                        ; implicit-def: $vgpr6_vgpr7
	s_mov_b64 s[46:47], s[38:39]
	s_branch .LBB23_631
.LBB23_438:
	s_mov_b64 s[46:47], -1
	s_mov_b64 s[0:1], 0
	s_mov_b64 s[44:45], s[40:41]
                                        ; implicit-def: $vgpr4_vgpr5
	s_branch .LBB23_458
.LBB23_439:
	s_mov_b64 s[48:49], -1
	s_mov_b64 s[0:1], 0
	s_mov_b64 s[46:47], s[38:39]
                                        ; implicit-def: $vgpr6_vgpr7
	s_branch .LBB23_595
.LBB23_440:
	s_mov_b64 s[46:47], -1
	s_mov_b64 s[0:1], 0
	s_mov_b64 s[44:45], s[40:41]
                                        ; implicit-def: $vgpr4_vgpr5
	s_branch .LBB23_453
.LBB23_441:
	s_mov_b64 s[48:49], -1
	s_mov_b64 s[0:1], 0
	s_mov_b64 s[46:47], s[38:39]
                                        ; implicit-def: $vgpr6_vgpr7
	s_branch .LBB23_576
.LBB23_442:
	s_mov_b64 s[46:47], -1
	s_mov_b64 s[0:1], 0
	s_mov_b64 s[44:45], s[40:41]
                                        ; implicit-def: $vgpr4_vgpr5
	s_branch .LBB23_447
.LBB23_443:
	s_mov_b64 s[48:49], -1
	s_mov_b64 s[0:1], 0
	s_mov_b64 s[46:47], s[38:39]
                                        ; implicit-def: $vgpr6_vgpr7
	s_branch .LBB23_571
.LBB23_444:
	s_or_saveexec_b64 s[48:49], s[48:49]
                                        ; implicit-def: $sgpr50
	s_xor_b64 exec, exec, s[48:49]
	s_cbranch_execz .LBB23_202
.LBB23_445:
	s_mov_b32 s50, 0x46000000
	v_add_f32_e64 v3, |v2|, s50
	v_and_b32_e32 v3, 0xff, v3
	v_cmp_ne_u32_e32 vcc, 0, v3
	s_andn2_b64 s[44:45], s[44:45], exec
	s_and_b64 s[52:53], vcc, exec
	s_mov_b32 s50, 0
	s_or_b64 s[44:45], s[44:45], s[52:53]
	s_or_b64 exec, exec, s[48:49]
	v_mov_b32_e32 v6, s50
	s_and_saveexec_b64 s[48:49], s[44:45]
	s_cbranch_execnz .LBB23_203
	s_branch .LBB23_204
.LBB23_446:
	s_mov_b64 s[44:45], -1
                                        ; implicit-def: $vgpr4_vgpr5
	s_mov_b64 s[0:1], 0
.LBB23_447:
	s_and_b64 vcc, exec, s[46:47]
	s_cbranch_vccz .LBB23_452
; %bb.448:
	v_mov_b32_e32 v1, 44
	v_cmp_eq_u16_sdwa s[44:45], v12, v1 src0_sel:BYTE_0 src1_sel:DWORD
	s_and_b64 vcc, exec, s[44:45]
	s_cbranch_vccz .LBB23_451
; %bb.449:
	global_load_ubyte v1, v[6:7], off
	s_movk_i32 s44, 0xff
	v_bfrev_b32_e32 v3, 4
	v_mov_b32_e32 v8, 0x7ff80000
	v_bfrev_b32_e32 v9, 28
	s_mov_b64 s[0:1], -1
	s_waitcnt vmcnt(0)
	v_lshlrev_b32_e32 v4, 23, v1
	v_cvt_f64_f32_e32 v[4:5], v4
	v_cmp_ne_u32_e32 vcc, s44, v1
	v_cndmask_b32_e32 v3, v3, v4, vcc
	v_cndmask_b32_e32 v4, v8, v5, vcc
	v_cmp_ne_u32_e32 vcc, 0, v1
	v_cndmask_b32_e32 v5, v9, v4, vcc
	v_cndmask_b32_e32 v4, 0, v3, vcc
	s_mov_b64 s[44:45], 0
	s_branch .LBB23_452
.LBB23_450:
	s_mov_b64 s[48:49], -1
	s_mov_b64 s[0:1], 0
	s_mov_b64 s[46:47], s[38:39]
                                        ; implicit-def: $vgpr6_vgpr7
	s_branch .LBB23_566
.LBB23_451:
	s_mov_b64 s[44:45], -1
                                        ; implicit-def: $vgpr4_vgpr5
.LBB23_452:
	s_mov_b64 s[46:47], 0
.LBB23_453:
	s_and_b64 vcc, exec, s[46:47]
	s_cbranch_vccz .LBB23_457
; %bb.454:
	v_mov_b32_e32 v1, 29
	v_cmp_eq_u16_sdwa s[44:45], v12, v1 src0_sel:BYTE_0 src1_sel:DWORD
	s_and_b64 vcc, exec, s[44:45]
	s_cbranch_vccz .LBB23_456
; %bb.455:
	global_load_dwordx2 v[4:5], v[6:7], off
	s_mov_b64 s[0:1], -1
	s_mov_b64 s[44:45], 0
	s_mov_b64 s[46:47], 0
	s_waitcnt vmcnt(0)
	v_cvt_f64_u32_e32 v[8:9], v5
	v_cvt_f64_u32_e32 v[4:5], v4
	v_ldexp_f64 v[8:9], v[8:9], 32
	v_add_f64 v[4:5], v[8:9], v[4:5]
	s_branch .LBB23_458
.LBB23_456:
	s_mov_b64 s[44:45], -1
                                        ; implicit-def: $vgpr4_vgpr5
.LBB23_457:
	s_mov_b64 s[46:47], 0
.LBB23_458:
	s_and_b64 vcc, exec, s[46:47]
	s_cbranch_vccz .LBB23_476
; %bb.459:
	v_mov_b32_e32 v1, 27
	v_cmp_lt_i16_sdwa s[0:1], v12, v1 src0_sel:BYTE_0 src1_sel:DWORD
	s_and_b64 vcc, exec, s[0:1]
	s_cbranch_vccnz .LBB23_462
; %bb.460:
	v_cmp_gt_i16_sdwa s[0:1], v12, v1 src0_sel:BYTE_0 src1_sel:DWORD
	s_and_b64 vcc, exec, s[0:1]
	s_cbranch_vccz .LBB23_463
; %bb.461:
	global_load_dword v1, v[6:7], off
	s_mov_b64 s[0:1], 0
	s_waitcnt vmcnt(0)
	v_cvt_f64_u32_e32 v[4:5], v1
	s_branch .LBB23_464
.LBB23_462:
	s_mov_b64 s[0:1], -1
                                        ; implicit-def: $vgpr4_vgpr5
	s_branch .LBB23_467
.LBB23_463:
	s_mov_b64 s[0:1], -1
                                        ; implicit-def: $vgpr4_vgpr5
.LBB23_464:
	s_andn2_b64 vcc, exec, s[0:1]
	s_cbranch_vccnz .LBB23_466
; %bb.465:
	global_load_ushort v1, v[6:7], off
	s_waitcnt vmcnt(0)
	v_cvt_f64_u32_e32 v[4:5], v1
.LBB23_466:
	s_mov_b64 s[0:1], 0
.LBB23_467:
	s_andn2_b64 vcc, exec, s[0:1]
	s_cbranch_vccnz .LBB23_475
; %bb.468:
	global_load_ubyte v1, v[6:7], off
	s_movk_i32 s0, 0x7f
                                        ; implicit-def: $sgpr46_sgpr47
	s_waitcnt vmcnt(0)
	v_cmp_lt_i16_e32 vcc, s0, v1
	s_mov_b64 s[0:1], 0
	s_and_saveexec_b64 s[48:49], vcc
	s_xor_b64 s[48:49], exec, s[48:49]
	s_cbranch_execz .LBB23_489
; %bb.469:
	s_movk_i32 s0, 0x80
	v_cmp_eq_u16_e32 vcc, s0, v1
	s_mov_b64 s[52:53], -1
                                        ; implicit-def: $sgpr46_sgpr47
	s_and_saveexec_b64 s[0:1], vcc
; %bb.470:
	s_mov_b32 s47, 0x7ff80000
	s_brev_b32 s46, 4
	s_xor_b64 s[52:53], exec, -1
; %bb.471:
	s_or_b64 exec, exec, s[0:1]
	s_and_b64 s[0:1], s[52:53], exec
	s_or_saveexec_b64 s[48:49], s[48:49]
	v_pk_mov_b32 v[4:5], s[46:47], s[46:47] op_sel:[0,1]
	s_xor_b64 exec, exec, s[48:49]
	s_cbranch_execnz .LBB23_490
.LBB23_472:
	s_or_b64 exec, exec, s[48:49]
	s_and_saveexec_b64 s[46:47], s[0:1]
	s_cbranch_execz .LBB23_474
.LBB23_473:
	v_lshlrev_b32_e32 v3, 24, v1
	v_and_b32_e32 v1, 0xffff, v1
	v_and_b32_e32 v4, 7, v1
	v_ffbh_u32_e32 v8, v4
	v_min_u32_e32 v8, 32, v8
	v_subrev_u32_e32 v9, 28, v8
	v_bfe_u32 v5, v1, 3, 4
	v_lshlrev_b32_e32 v1, v9, v1
	v_sub_u32_e32 v8, 29, v8
	v_and_b32_e32 v1, 7, v1
	v_cmp_eq_u32_e32 vcc, 0, v5
	v_cndmask_b32_e32 v5, v5, v8, vcc
	v_cndmask_b32_e32 v1, v4, v1, vcc
	v_mov_b32_e32 v4, 0x3b800000
	v_lshlrev_b32_e32 v1, 20, v1
	v_and_b32_e32 v3, 0x80000000, v3
	v_lshl_add_u32 v4, v5, 23, v4
	v_or3_b32 v1, v3, v4, v1
	v_cvt_f64_f32_e32 v[4:5], v1
.LBB23_474:
	s_or_b64 exec, exec, s[46:47]
.LBB23_475:
	s_mov_b64 s[0:1], -1
.LBB23_476:
	s_mov_b64 s[46:47], 0
.LBB23_477:
	s_and_b64 vcc, exec, s[46:47]
	s_cbranch_vccz .LBB23_512
; %bb.478:
	v_mov_b32_e32 v1, 22
	v_cmp_gt_i16_sdwa s[46:47], v12, v1 src0_sel:BYTE_0 src1_sel:DWORD
	s_and_b64 vcc, exec, s[46:47]
	s_cbranch_vccz .LBB23_488
; %bb.479:
	v_mov_b32_e32 v1, 24
	v_cmp_lt_i16_sdwa s[0:1], v12, v1 src0_sel:BYTE_0 src1_sel:DWORD
	s_and_b64 vcc, exec, s[0:1]
	s_cbranch_vccnz .LBB23_491
; %bb.480:
	v_cmp_gt_i16_sdwa s[0:1], v12, v1 src0_sel:BYTE_0 src1_sel:DWORD
	s_and_b64 vcc, exec, s[0:1]
	s_cbranch_vccz .LBB23_492
; %bb.481:
	global_load_ubyte v1, v[6:7], off
	s_movk_i32 s0, 0x7f
                                        ; implicit-def: $sgpr46_sgpr47
	s_waitcnt vmcnt(0)
	v_cmp_lt_i16_e32 vcc, s0, v1
	s_mov_b64 s[0:1], 0
	s_and_saveexec_b64 s[48:49], vcc
	s_xor_b64 s[48:49], exec, s[48:49]
	s_cbranch_execz .LBB23_504
; %bb.482:
	s_movk_i32 s0, 0x80
	v_cmp_eq_u16_e32 vcc, s0, v1
	s_mov_b64 s[52:53], -1
                                        ; implicit-def: $sgpr46_sgpr47
	s_and_saveexec_b64 s[0:1], vcc
; %bb.483:
	s_mov_b32 s47, 0x7ff80000
	s_brev_b32 s46, 4
	s_xor_b64 s[52:53], exec, -1
; %bb.484:
	s_or_b64 exec, exec, s[0:1]
	s_and_b64 s[0:1], s[52:53], exec
	s_or_saveexec_b64 s[48:49], s[48:49]
	v_pk_mov_b32 v[4:5], s[46:47], s[46:47] op_sel:[0,1]
	s_xor_b64 exec, exec, s[48:49]
	s_cbranch_execnz .LBB23_505
.LBB23_485:
	s_or_b64 exec, exec, s[48:49]
	s_and_saveexec_b64 s[46:47], s[0:1]
	s_cbranch_execz .LBB23_487
.LBB23_486:
	v_lshlrev_b32_e32 v3, 24, v1
	v_and_b32_e32 v1, 0xffff, v1
	v_and_b32_e32 v4, 3, v1
	v_ffbh_u32_e32 v8, v4
	v_min_u32_e32 v8, 32, v8
	v_subrev_u32_e32 v9, 29, v8
	v_bfe_u32 v5, v1, 2, 5
	v_lshlrev_b32_e32 v1, v9, v1
	v_sub_u32_e32 v8, 30, v8
	v_and_b32_e32 v1, 3, v1
	v_cmp_eq_u32_e32 vcc, 0, v5
	v_cndmask_b32_e32 v5, v5, v8, vcc
	v_cndmask_b32_e32 v1, v4, v1, vcc
	v_mov_b32_e32 v4, 0x37800000
	v_lshlrev_b32_e32 v1, 21, v1
	v_and_b32_e32 v3, 0x80000000, v3
	v_lshl_add_u32 v4, v5, 23, v4
	v_or3_b32 v1, v3, v4, v1
	v_cvt_f64_f32_e32 v[4:5], v1
.LBB23_487:
	s_or_b64 exec, exec, s[46:47]
	s_mov_b64 s[0:1], 0
	s_branch .LBB23_493
.LBB23_488:
	s_mov_b64 s[46:47], -1
                                        ; implicit-def: $vgpr4_vgpr5
	s_branch .LBB23_499
.LBB23_489:
	s_or_saveexec_b64 s[48:49], s[48:49]
	v_pk_mov_b32 v[4:5], s[46:47], s[46:47] op_sel:[0,1]
	s_xor_b64 exec, exec, s[48:49]
	s_cbranch_execz .LBB23_472
.LBB23_490:
	v_cmp_ne_u16_e32 vcc, 0, v1
	s_andn2_b64 s[0:1], s[0:1], exec
	s_and_b64 s[46:47], vcc, exec
	v_pk_mov_b32 v[4:5], 0, 0
	s_or_b64 s[0:1], s[0:1], s[46:47]
	s_or_b64 exec, exec, s[48:49]
	s_and_saveexec_b64 s[46:47], s[0:1]
	s_cbranch_execnz .LBB23_473
	s_branch .LBB23_474
.LBB23_491:
	s_mov_b64 s[0:1], -1
                                        ; implicit-def: $vgpr4_vgpr5
	s_branch .LBB23_496
.LBB23_492:
	s_mov_b64 s[0:1], -1
                                        ; implicit-def: $vgpr4_vgpr5
.LBB23_493:
	s_and_b64 vcc, exec, s[0:1]
	s_cbranch_vccz .LBB23_495
; %bb.494:
	global_load_ubyte v1, v[6:7], off
	s_mov_b32 s0, 0x7f800000
	s_waitcnt vmcnt(0)
	v_lshlrev_b32_e32 v1, 24, v1
	v_and_b32_e32 v3, 0x7f000000, v1
	v_ffbh_u32_e32 v4, v3
	v_min_u32_e32 v4, 32, v4
	v_sub_u32_e64 v4, v4, 4 clamp
	v_lshlrev_b32_e32 v8, v4, v3
	v_lshlrev_b32_e32 v4, 23, v4
	v_lshrrev_b32_e32 v8, 4, v8
	v_add_u32_e32 v5, 0x1000000, v3
	v_sub_u32_e32 v4, v8, v4
	v_ashrrev_i32_e32 v5, 8, v5
	v_add_u32_e32 v4, 0x3c000000, v4
	v_and_or_b32 v4, v5, s0, v4
	v_cmp_ne_u32_e32 vcc, 0, v3
	v_cndmask_b32_e32 v3, 0, v4, vcc
	s_brev_b32 s0, 1
	v_and_or_b32 v1, v1, s0, v3
	v_cvt_f64_f32_e32 v[4:5], v1
.LBB23_495:
	s_mov_b64 s[0:1], 0
.LBB23_496:
	s_andn2_b64 vcc, exec, s[0:1]
	s_cbranch_vccnz .LBB23_498
; %bb.497:
	global_load_ubyte v1, v[6:7], off
	s_movk_i32 s0, 0x7f00
	s_brev_b32 s1, 16
	s_waitcnt vmcnt(0)
	v_lshlrev_b16_e32 v3, 8, v1
	v_lshlrev_b32_e32 v1, 25, v1
	v_lshrrev_b32_e32 v4, 4, v1
	v_and_or_b32 v5, v3, s0, 0.5
	v_or_b32_e32 v4, 0x70000000, v4
	v_add_f32_e32 v5, -0.5, v5
	v_mul_f32_e32 v4, 0x7800000, v4
	v_cmp_gt_u32_e32 vcc, s1, v1
	v_bfe_i32 v3, v3, 0, 16
	v_cndmask_b32_e32 v1, v4, v5, vcc
	s_brev_b32 s0, 1
	v_and_or_b32 v1, v3, s0, v1
	v_cvt_f64_f32_e32 v[4:5], v1
.LBB23_498:
	s_mov_b64 s[46:47], 0
	s_mov_b64 s[0:1], -1
.LBB23_499:
	s_andn2_b64 vcc, exec, s[46:47]
	s_cbranch_vccnz .LBB23_512
; %bb.500:
	v_mov_b32_e32 v1, 14
	v_cmp_gt_i16_sdwa s[46:47], v12, v1 src0_sel:BYTE_0 src1_sel:DWORD
	s_and_b64 vcc, exec, s[46:47]
	s_cbranch_vccz .LBB23_503
; %bb.501:
	v_mov_b32_e32 v1, 15
	v_cmp_eq_u16_sdwa s[44:45], v12, v1 src0_sel:BYTE_0 src1_sel:DWORD
	s_and_b64 vcc, exec, s[44:45]
	s_cbranch_vccz .LBB23_506
; %bb.502:
	global_load_ushort v1, v[6:7], off
	s_mov_b64 s[0:1], -1
	s_mov_b64 s[44:45], 0
	s_waitcnt vmcnt(0)
	v_lshlrev_b32_e32 v1, 16, v1
	v_cvt_f64_f32_e32 v[4:5], v1
	s_branch .LBB23_507
.LBB23_503:
	s_mov_b64 s[46:47], -1
                                        ; implicit-def: $vgpr4_vgpr5
	s_branch .LBB23_508
.LBB23_504:
	s_or_saveexec_b64 s[48:49], s[48:49]
	v_pk_mov_b32 v[4:5], s[46:47], s[46:47] op_sel:[0,1]
	s_xor_b64 exec, exec, s[48:49]
	s_cbranch_execz .LBB23_485
.LBB23_505:
	v_cmp_ne_u16_e32 vcc, 0, v1
	s_andn2_b64 s[0:1], s[0:1], exec
	s_and_b64 s[46:47], vcc, exec
	v_pk_mov_b32 v[4:5], 0, 0
	s_or_b64 s[0:1], s[0:1], s[46:47]
	s_or_b64 exec, exec, s[48:49]
	s_and_saveexec_b64 s[46:47], s[0:1]
	s_cbranch_execnz .LBB23_486
	s_branch .LBB23_487
.LBB23_506:
	s_mov_b64 s[44:45], -1
                                        ; implicit-def: $vgpr4_vgpr5
.LBB23_507:
	s_mov_b64 s[46:47], 0
.LBB23_508:
	s_and_b64 vcc, exec, s[46:47]
	s_cbranch_vccz .LBB23_512
; %bb.509:
	v_mov_b32_e32 v1, 11
	v_cmp_eq_u16_sdwa s[44:45], v12, v1 src0_sel:BYTE_0 src1_sel:DWORD
	s_and_b64 vcc, exec, s[44:45]
	s_cbranch_vccz .LBB23_511
; %bb.510:
	global_load_ubyte v1, v[6:7], off
	v_mov_b32_e32 v3, 0x3ff00000
	v_mov_b32_e32 v4, 0
	s_mov_b64 s[0:1], -1
	s_mov_b64 s[44:45], 0
	s_waitcnt vmcnt(0)
	v_cmp_ne_u16_e32 vcc, 0, v1
	v_cndmask_b32_e32 v5, 0, v3, vcc
	s_branch .LBB23_512
.LBB23_511:
	s_mov_b64 s[44:45], -1
                                        ; implicit-def: $vgpr4_vgpr5
.LBB23_512:
	s_branch .LBB23_428
.LBB23_513:
	v_mov_b32_e32 v1, 5
	v_cmp_lt_i16_sdwa s[0:1], v12, v1 src0_sel:BYTE_0 src1_sel:DWORD
	s_and_b64 vcc, exec, s[0:1]
	s_cbranch_vccnz .LBB23_518
; %bb.514:
	v_mov_b32_e32 v1, 8
	v_cmp_lt_i16_sdwa s[0:1], v12, v1 src0_sel:BYTE_0 src1_sel:DWORD
	s_and_b64 vcc, exec, s[0:1]
	s_cbranch_vccnz .LBB23_519
; %bb.515:
	;; [unrolled: 5-line block ×3, first 2 shown]
	v_cmp_gt_i16_sdwa s[0:1], v12, v1 src0_sel:BYTE_0 src1_sel:DWORD
	s_and_b64 vcc, exec, s[0:1]
	s_cbranch_vccz .LBB23_521
; %bb.517:
	global_load_dwordx2 v[4:5], v[6:7], off
	s_mov_b64 s[0:1], 0
	s_branch .LBB23_522
.LBB23_518:
	s_mov_b64 s[0:1], -1
                                        ; implicit-def: $vgpr4_vgpr5
	s_branch .LBB23_540
.LBB23_519:
	s_mov_b64 s[0:1], -1
                                        ; implicit-def: $vgpr4_vgpr5
	s_branch .LBB23_528
.LBB23_520:
	s_mov_b64 s[0:1], -1
                                        ; implicit-def: $vgpr4_vgpr5
	s_branch .LBB23_525
.LBB23_521:
	s_mov_b64 s[0:1], -1
                                        ; implicit-def: $vgpr4_vgpr5
.LBB23_522:
	s_andn2_b64 vcc, exec, s[0:1]
	s_cbranch_vccnz .LBB23_524
; %bb.523:
	global_load_dword v1, v[6:7], off
	s_waitcnt vmcnt(0)
	v_cvt_f64_f32_e32 v[4:5], v1
.LBB23_524:
	s_mov_b64 s[0:1], 0
.LBB23_525:
	s_andn2_b64 vcc, exec, s[0:1]
	s_cbranch_vccnz .LBB23_527
; %bb.526:
	global_load_dword v1, v[6:7], off
	s_waitcnt vmcnt(0)
	v_cvt_f32_f16_e32 v1, v1
	v_cvt_f64_f32_e32 v[4:5], v1
.LBB23_527:
	s_mov_b64 s[0:1], 0
.LBB23_528:
	s_andn2_b64 vcc, exec, s[0:1]
	s_cbranch_vccnz .LBB23_539
; %bb.529:
	v_mov_b32_e32 v1, 6
	v_cmp_lt_i16_sdwa s[0:1], v12, v1 src0_sel:BYTE_0 src1_sel:DWORD
	s_and_b64 vcc, exec, s[0:1]
	s_cbranch_vccnz .LBB23_532
; %bb.530:
	v_cmp_gt_i16_sdwa s[0:1], v12, v1 src0_sel:BYTE_0 src1_sel:DWORD
	s_and_b64 vcc, exec, s[0:1]
	s_cbranch_vccz .LBB23_533
; %bb.531:
	global_load_dwordx2 v[4:5], v[6:7], off
	s_mov_b64 s[0:1], 0
	s_branch .LBB23_534
.LBB23_532:
	s_mov_b64 s[0:1], -1
                                        ; implicit-def: $vgpr4_vgpr5
	s_branch .LBB23_537
.LBB23_533:
	s_mov_b64 s[0:1], -1
                                        ; implicit-def: $vgpr4_vgpr5
.LBB23_534:
	s_andn2_b64 vcc, exec, s[0:1]
	s_cbranch_vccnz .LBB23_536
; %bb.535:
	global_load_dword v1, v[6:7], off
	s_waitcnt vmcnt(0)
	v_cvt_f64_f32_e32 v[4:5], v1
.LBB23_536:
	s_mov_b64 s[0:1], 0
.LBB23_537:
	s_andn2_b64 vcc, exec, s[0:1]
	s_cbranch_vccnz .LBB23_539
; %bb.538:
	global_load_ushort v1, v[6:7], off
	s_waitcnt vmcnt(0)
	v_cvt_f32_f16_e32 v1, v1
	v_cvt_f64_f32_e32 v[4:5], v1
.LBB23_539:
	s_mov_b64 s[0:1], 0
.LBB23_540:
	s_andn2_b64 vcc, exec, s[0:1]
	s_cbranch_vccnz .LBB23_560
; %bb.541:
	v_mov_b32_e32 v1, 2
	v_cmp_lt_i16_sdwa s[0:1], v12, v1 src0_sel:BYTE_0 src1_sel:DWORD
	s_and_b64 vcc, exec, s[0:1]
	s_cbranch_vccnz .LBB23_545
; %bb.542:
	v_mov_b32_e32 v1, 3
	v_cmp_lt_i16_sdwa s[0:1], v12, v1 src0_sel:BYTE_0 src1_sel:DWORD
	s_and_b64 vcc, exec, s[0:1]
	s_cbranch_vccnz .LBB23_546
; %bb.543:
	v_cmp_gt_i16_sdwa s[0:1], v12, v1 src0_sel:BYTE_0 src1_sel:DWORD
	s_and_b64 vcc, exec, s[0:1]
	s_cbranch_vccz .LBB23_547
; %bb.544:
	global_load_dwordx2 v[4:5], v[6:7], off
	s_mov_b64 s[0:1], 0
	s_waitcnt vmcnt(0)
	v_cvt_f64_i32_e32 v[8:9], v5
	v_cvt_f64_u32_e32 v[4:5], v4
	v_ldexp_f64 v[8:9], v[8:9], 32
	v_add_f64 v[4:5], v[8:9], v[4:5]
	s_branch .LBB23_548
.LBB23_545:
	s_mov_b64 s[0:1], -1
                                        ; implicit-def: $vgpr4_vgpr5
	s_branch .LBB23_554
.LBB23_546:
	s_mov_b64 s[0:1], -1
                                        ; implicit-def: $vgpr4_vgpr5
	s_branch .LBB23_551
.LBB23_547:
	s_mov_b64 s[0:1], -1
                                        ; implicit-def: $vgpr4_vgpr5
.LBB23_548:
	s_andn2_b64 vcc, exec, s[0:1]
	s_cbranch_vccnz .LBB23_550
; %bb.549:
	global_load_dword v1, v[6:7], off
	s_waitcnt vmcnt(0)
	v_cvt_f64_i32_e32 v[4:5], v1
.LBB23_550:
	s_mov_b64 s[0:1], 0
.LBB23_551:
	s_andn2_b64 vcc, exec, s[0:1]
	s_cbranch_vccnz .LBB23_553
; %bb.552:
	global_load_sshort v1, v[6:7], off
	s_waitcnt vmcnt(0)
	v_cvt_f64_i32_e32 v[4:5], v1
.LBB23_553:
	s_mov_b64 s[0:1], 0
.LBB23_554:
	s_andn2_b64 vcc, exec, s[0:1]
	s_cbranch_vccnz .LBB23_560
; %bb.555:
	v_mov_b32_e32 v1, 0
	v_cmp_gt_i16_sdwa s[0:1], v12, v1 src0_sel:BYTE_0 src1_sel:DWORD
	s_and_b64 vcc, exec, s[0:1]
	s_cbranch_vccz .LBB23_557
; %bb.556:
	global_load_sbyte v1, v[6:7], off
	s_mov_b64 s[0:1], 0
	s_waitcnt vmcnt(0)
	v_cvt_f64_i32_e32 v[4:5], v1
	s_branch .LBB23_558
.LBB23_557:
	s_mov_b64 s[0:1], -1
                                        ; implicit-def: $vgpr4_vgpr5
.LBB23_558:
	s_andn2_b64 vcc, exec, s[0:1]
	s_cbranch_vccnz .LBB23_560
; %bb.559:
	global_load_ubyte v1, v[6:7], off
	s_waitcnt vmcnt(0)
	v_cvt_f64_u32_e32 v[4:5], v1
.LBB23_560:
	s_branch .LBB23_429
.LBB23_561:
	s_mov_b64 s[52:53], 0
	s_mov_b64 s[0:1], s[36:37]
	;; [unrolled: 1-line block ×3, first 2 shown]
.LBB23_562:
                                        ; implicit-def: $vgpr14
	s_branch .LBB23_816
.LBB23_563:
	s_or_saveexec_b64 s[48:49], s[48:49]
                                        ; implicit-def: $sgpr50
	s_xor_b64 exec, exec, s[48:49]
	s_cbranch_execz .LBB23_215
.LBB23_564:
	s_mov_b32 s50, 0x42800000
	v_add_f32_e64 v3, |v2|, s50
	v_and_b32_e32 v3, 0xff, v3
	v_cmp_ne_u32_e32 vcc, 0, v3
	s_andn2_b64 s[44:45], s[44:45], exec
	s_and_b64 s[52:53], vcc, exec
	s_mov_b32 s50, 0
	s_or_b64 s[44:45], s[44:45], s[52:53]
	s_or_b64 exec, exec, s[48:49]
	v_mov_b32_e32 v6, s50
	s_and_saveexec_b64 s[48:49], s[44:45]
	s_cbranch_execnz .LBB23_216
	s_branch .LBB23_217
.LBB23_565:
	s_mov_b64 s[46:47], -1
                                        ; implicit-def: $vgpr6_vgpr7
	s_mov_b64 s[0:1], 0
.LBB23_566:
	s_and_b64 vcc, exec, s[48:49]
	s_cbranch_vccz .LBB23_570
; %bb.567:
	v_mov_b32_e32 v3, 44
	v_cmp_eq_u16_sdwa s[46:47], v11, v3 src0_sel:BYTE_0 src1_sel:DWORD
	s_and_b64 vcc, exec, s[46:47]
	s_cbranch_vccz .LBB23_569
; %bb.568:
	global_load_ubyte v3, v[0:1], off
	s_movk_i32 s46, 0xff
	v_bfrev_b32_e32 v8, 4
	v_mov_b32_e32 v9, 0x7ff80000
	v_bfrev_b32_e32 v13, 28
	s_mov_b64 s[0:1], -1
	s_waitcnt vmcnt(0)
	v_lshlrev_b32_e32 v6, 23, v3
	v_cvt_f64_f32_e32 v[6:7], v6
	v_cmp_ne_u32_e32 vcc, s46, v3
	v_cndmask_b32_e32 v6, v8, v6, vcc
	v_cndmask_b32_e32 v7, v9, v7, vcc
	v_cmp_ne_u32_e32 vcc, 0, v3
	v_cndmask_b32_e32 v7, v13, v7, vcc
	v_cndmask_b32_e32 v6, 0, v6, vcc
	s_mov_b64 s[46:47], 0
	s_branch .LBB23_570
.LBB23_569:
	s_mov_b64 s[46:47], -1
                                        ; implicit-def: $vgpr6_vgpr7
.LBB23_570:
	s_mov_b64 s[48:49], 0
.LBB23_571:
	s_and_b64 vcc, exec, s[48:49]
	s_cbranch_vccz .LBB23_575
; %bb.572:
	v_mov_b32_e32 v3, 29
	v_cmp_eq_u16_sdwa s[46:47], v11, v3 src0_sel:BYTE_0 src1_sel:DWORD
	s_and_b64 vcc, exec, s[46:47]
	s_cbranch_vccz .LBB23_574
; %bb.573:
	global_load_dwordx2 v[6:7], v[0:1], off
	s_mov_b64 s[0:1], -1
	s_mov_b64 s[46:47], 0
	s_mov_b64 s[48:49], 0
	s_waitcnt vmcnt(0)
	v_cvt_f64_u32_e32 v[8:9], v7
	v_cvt_f64_u32_e32 v[6:7], v6
	v_ldexp_f64 v[8:9], v[8:9], 32
	v_add_f64 v[6:7], v[8:9], v[6:7]
	s_branch .LBB23_576
.LBB23_574:
	s_mov_b64 s[46:47], -1
                                        ; implicit-def: $vgpr6_vgpr7
.LBB23_575:
	s_mov_b64 s[48:49], 0
.LBB23_576:
	s_and_b64 vcc, exec, s[48:49]
	s_cbranch_vccz .LBB23_594
; %bb.577:
	v_mov_b32_e32 v3, 27
	v_cmp_lt_i16_sdwa s[0:1], v11, v3 src0_sel:BYTE_0 src1_sel:DWORD
	s_and_b64 vcc, exec, s[0:1]
	s_cbranch_vccnz .LBB23_580
; %bb.578:
	v_cmp_gt_i16_sdwa s[0:1], v11, v3 src0_sel:BYTE_0 src1_sel:DWORD
	s_and_b64 vcc, exec, s[0:1]
	s_cbranch_vccz .LBB23_581
; %bb.579:
	global_load_dword v3, v[0:1], off
	s_mov_b64 s[0:1], 0
	s_waitcnt vmcnt(0)
	v_cvt_f64_u32_e32 v[6:7], v3
	s_branch .LBB23_582
.LBB23_580:
	s_mov_b64 s[0:1], -1
                                        ; implicit-def: $vgpr6_vgpr7
	s_branch .LBB23_585
.LBB23_581:
	s_mov_b64 s[0:1], -1
                                        ; implicit-def: $vgpr6_vgpr7
.LBB23_582:
	s_andn2_b64 vcc, exec, s[0:1]
	s_cbranch_vccnz .LBB23_584
; %bb.583:
	global_load_ushort v3, v[0:1], off
	s_waitcnt vmcnt(0)
	v_cvt_f64_u32_e32 v[6:7], v3
.LBB23_584:
	s_mov_b64 s[0:1], 0
.LBB23_585:
	s_andn2_b64 vcc, exec, s[0:1]
	s_cbranch_vccnz .LBB23_593
; %bb.586:
	global_load_ubyte v3, v[0:1], off
	s_movk_i32 s0, 0x7f
                                        ; implicit-def: $sgpr48_sgpr49
	s_waitcnt vmcnt(0)
	v_cmp_lt_i16_e32 vcc, s0, v3
	s_mov_b64 s[0:1], 0
	s_and_saveexec_b64 s[52:53], vcc
	s_xor_b64 s[52:53], exec, s[52:53]
	s_cbranch_execz .LBB23_607
; %bb.587:
	s_movk_i32 s0, 0x80
	v_cmp_eq_u16_e32 vcc, s0, v3
	s_mov_b64 s[54:55], -1
                                        ; implicit-def: $sgpr48_sgpr49
	s_and_saveexec_b64 s[0:1], vcc
; %bb.588:
	s_mov_b32 s49, 0x7ff80000
	s_brev_b32 s48, 4
	s_xor_b64 s[54:55], exec, -1
; %bb.589:
	s_or_b64 exec, exec, s[0:1]
	s_and_b64 s[0:1], s[54:55], exec
	s_or_saveexec_b64 s[52:53], s[52:53]
	v_pk_mov_b32 v[6:7], s[48:49], s[48:49] op_sel:[0,1]
	s_xor_b64 exec, exec, s[52:53]
	s_cbranch_execnz .LBB23_608
.LBB23_590:
	s_or_b64 exec, exec, s[52:53]
	s_and_saveexec_b64 s[48:49], s[0:1]
	s_cbranch_execz .LBB23_592
.LBB23_591:
	v_lshlrev_b32_e32 v6, 24, v3
	v_and_b32_e32 v3, 0xffff, v3
	v_and_b32_e32 v7, 7, v3
	v_ffbh_u32_e32 v9, v7
	v_min_u32_e32 v9, 32, v9
	v_subrev_u32_e32 v13, 28, v9
	v_bfe_u32 v8, v3, 3, 4
	v_lshlrev_b32_e32 v3, v13, v3
	v_sub_u32_e32 v9, 29, v9
	v_and_b32_e32 v3, 7, v3
	v_cmp_eq_u32_e32 vcc, 0, v8
	v_cndmask_b32_e32 v8, v8, v9, vcc
	v_cndmask_b32_e32 v3, v7, v3, vcc
	v_mov_b32_e32 v7, 0x3b800000
	v_lshlrev_b32_e32 v3, 20, v3
	v_and_b32_e32 v6, 0x80000000, v6
	v_lshl_add_u32 v7, v8, 23, v7
	v_or3_b32 v3, v6, v7, v3
	v_cvt_f64_f32_e32 v[6:7], v3
.LBB23_592:
	s_or_b64 exec, exec, s[48:49]
.LBB23_593:
	s_mov_b64 s[0:1], -1
.LBB23_594:
	s_mov_b64 s[48:49], 0
.LBB23_595:
	s_and_b64 vcc, exec, s[48:49]
	s_cbranch_vccz .LBB23_630
; %bb.596:
	v_mov_b32_e32 v3, 22
	v_cmp_gt_i16_sdwa s[48:49], v11, v3 src0_sel:BYTE_0 src1_sel:DWORD
	s_and_b64 vcc, exec, s[48:49]
	s_cbranch_vccz .LBB23_606
; %bb.597:
	v_mov_b32_e32 v3, 24
	v_cmp_lt_i16_sdwa s[0:1], v11, v3 src0_sel:BYTE_0 src1_sel:DWORD
	s_and_b64 vcc, exec, s[0:1]
	s_cbranch_vccnz .LBB23_609
; %bb.598:
	v_cmp_gt_i16_sdwa s[0:1], v11, v3 src0_sel:BYTE_0 src1_sel:DWORD
	s_and_b64 vcc, exec, s[0:1]
	s_cbranch_vccz .LBB23_610
; %bb.599:
	global_load_ubyte v3, v[0:1], off
	s_movk_i32 s0, 0x7f
                                        ; implicit-def: $sgpr48_sgpr49
	s_waitcnt vmcnt(0)
	v_cmp_lt_i16_e32 vcc, s0, v3
	s_mov_b64 s[0:1], 0
	s_and_saveexec_b64 s[52:53], vcc
	s_xor_b64 s[52:53], exec, s[52:53]
	s_cbranch_execz .LBB23_622
; %bb.600:
	s_movk_i32 s0, 0x80
	v_cmp_eq_u16_e32 vcc, s0, v3
	s_mov_b64 s[54:55], -1
                                        ; implicit-def: $sgpr48_sgpr49
	s_and_saveexec_b64 s[0:1], vcc
; %bb.601:
	s_mov_b32 s49, 0x7ff80000
	s_brev_b32 s48, 4
	s_xor_b64 s[54:55], exec, -1
; %bb.602:
	s_or_b64 exec, exec, s[0:1]
	s_and_b64 s[0:1], s[54:55], exec
	s_or_saveexec_b64 s[52:53], s[52:53]
	v_pk_mov_b32 v[6:7], s[48:49], s[48:49] op_sel:[0,1]
	s_xor_b64 exec, exec, s[52:53]
	s_cbranch_execnz .LBB23_623
.LBB23_603:
	s_or_b64 exec, exec, s[52:53]
	s_and_saveexec_b64 s[48:49], s[0:1]
	s_cbranch_execz .LBB23_605
.LBB23_604:
	v_lshlrev_b32_e32 v6, 24, v3
	v_and_b32_e32 v3, 0xffff, v3
	v_and_b32_e32 v7, 3, v3
	v_ffbh_u32_e32 v9, v7
	v_min_u32_e32 v9, 32, v9
	v_subrev_u32_e32 v13, 29, v9
	v_bfe_u32 v8, v3, 2, 5
	v_lshlrev_b32_e32 v3, v13, v3
	v_sub_u32_e32 v9, 30, v9
	v_and_b32_e32 v3, 3, v3
	v_cmp_eq_u32_e32 vcc, 0, v8
	v_cndmask_b32_e32 v8, v8, v9, vcc
	v_cndmask_b32_e32 v3, v7, v3, vcc
	v_mov_b32_e32 v7, 0x37800000
	v_lshlrev_b32_e32 v3, 21, v3
	v_and_b32_e32 v6, 0x80000000, v6
	v_lshl_add_u32 v7, v8, 23, v7
	v_or3_b32 v3, v6, v7, v3
	v_cvt_f64_f32_e32 v[6:7], v3
.LBB23_605:
	s_or_b64 exec, exec, s[48:49]
	s_mov_b64 s[0:1], 0
	s_branch .LBB23_611
.LBB23_606:
	s_mov_b64 s[48:49], -1
                                        ; implicit-def: $vgpr6_vgpr7
	s_branch .LBB23_617
.LBB23_607:
	s_or_saveexec_b64 s[52:53], s[52:53]
	v_pk_mov_b32 v[6:7], s[48:49], s[48:49] op_sel:[0,1]
	s_xor_b64 exec, exec, s[52:53]
	s_cbranch_execz .LBB23_590
.LBB23_608:
	v_cmp_ne_u16_e32 vcc, 0, v3
	s_andn2_b64 s[0:1], s[0:1], exec
	s_and_b64 s[48:49], vcc, exec
	v_pk_mov_b32 v[6:7], 0, 0
	s_or_b64 s[0:1], s[0:1], s[48:49]
	s_or_b64 exec, exec, s[52:53]
	s_and_saveexec_b64 s[48:49], s[0:1]
	s_cbranch_execnz .LBB23_591
	s_branch .LBB23_592
.LBB23_609:
	s_mov_b64 s[0:1], -1
                                        ; implicit-def: $vgpr6_vgpr7
	s_branch .LBB23_614
.LBB23_610:
	s_mov_b64 s[0:1], -1
                                        ; implicit-def: $vgpr6_vgpr7
.LBB23_611:
	s_and_b64 vcc, exec, s[0:1]
	s_cbranch_vccz .LBB23_613
; %bb.612:
	global_load_ubyte v3, v[0:1], off
	s_mov_b32 s0, 0x7f800000
	s_waitcnt vmcnt(0)
	v_lshlrev_b32_e32 v3, 24, v3
	v_and_b32_e32 v6, 0x7f000000, v3
	v_ffbh_u32_e32 v7, v6
	v_min_u32_e32 v7, 32, v7
	v_sub_u32_e64 v7, v7, 4 clamp
	v_lshlrev_b32_e32 v9, v7, v6
	v_lshlrev_b32_e32 v7, 23, v7
	v_lshrrev_b32_e32 v9, 4, v9
	v_add_u32_e32 v8, 0x1000000, v6
	v_sub_u32_e32 v7, v9, v7
	v_ashrrev_i32_e32 v8, 8, v8
	v_add_u32_e32 v7, 0x3c000000, v7
	v_and_or_b32 v7, v8, s0, v7
	v_cmp_ne_u32_e32 vcc, 0, v6
	v_cndmask_b32_e32 v6, 0, v7, vcc
	s_brev_b32 s0, 1
	v_and_or_b32 v3, v3, s0, v6
	v_cvt_f64_f32_e32 v[6:7], v3
.LBB23_613:
	s_mov_b64 s[0:1], 0
.LBB23_614:
	s_andn2_b64 vcc, exec, s[0:1]
	s_cbranch_vccnz .LBB23_616
; %bb.615:
	global_load_ubyte v3, v[0:1], off
	s_movk_i32 s0, 0x7f00
	s_brev_b32 s1, 16
	s_waitcnt vmcnt(0)
	v_lshlrev_b16_e32 v6, 8, v3
	v_lshlrev_b32_e32 v3, 25, v3
	v_lshrrev_b32_e32 v7, 4, v3
	v_and_or_b32 v8, v6, s0, 0.5
	v_or_b32_e32 v7, 0x70000000, v7
	v_add_f32_e32 v8, -0.5, v8
	v_mul_f32_e32 v7, 0x7800000, v7
	v_cmp_gt_u32_e32 vcc, s1, v3
	v_bfe_i32 v6, v6, 0, 16
	v_cndmask_b32_e32 v3, v7, v8, vcc
	s_brev_b32 s0, 1
	v_and_or_b32 v3, v6, s0, v3
	v_cvt_f64_f32_e32 v[6:7], v3
.LBB23_616:
	s_mov_b64 s[48:49], 0
	s_mov_b64 s[0:1], -1
.LBB23_617:
	s_andn2_b64 vcc, exec, s[48:49]
	s_cbranch_vccnz .LBB23_630
; %bb.618:
	v_mov_b32_e32 v3, 14
	v_cmp_gt_i16_sdwa s[48:49], v11, v3 src0_sel:BYTE_0 src1_sel:DWORD
	s_and_b64 vcc, exec, s[48:49]
	s_cbranch_vccz .LBB23_621
; %bb.619:
	v_mov_b32_e32 v3, 15
	v_cmp_eq_u16_sdwa s[46:47], v11, v3 src0_sel:BYTE_0 src1_sel:DWORD
	s_and_b64 vcc, exec, s[46:47]
	s_cbranch_vccz .LBB23_624
; %bb.620:
	global_load_ushort v3, v[0:1], off
	s_mov_b64 s[0:1], -1
	s_mov_b64 s[46:47], 0
	s_waitcnt vmcnt(0)
	v_lshlrev_b32_e32 v3, 16, v3
	v_cvt_f64_f32_e32 v[6:7], v3
	s_branch .LBB23_625
.LBB23_621:
	s_mov_b64 s[48:49], -1
                                        ; implicit-def: $vgpr6_vgpr7
	s_branch .LBB23_626
.LBB23_622:
	s_or_saveexec_b64 s[52:53], s[52:53]
	v_pk_mov_b32 v[6:7], s[48:49], s[48:49] op_sel:[0,1]
	s_xor_b64 exec, exec, s[52:53]
	s_cbranch_execz .LBB23_603
.LBB23_623:
	v_cmp_ne_u16_e32 vcc, 0, v3
	s_andn2_b64 s[0:1], s[0:1], exec
	s_and_b64 s[48:49], vcc, exec
	v_pk_mov_b32 v[6:7], 0, 0
	s_or_b64 s[0:1], s[0:1], s[48:49]
	s_or_b64 exec, exec, s[52:53]
	s_and_saveexec_b64 s[48:49], s[0:1]
	s_cbranch_execnz .LBB23_604
	s_branch .LBB23_605
.LBB23_624:
	s_mov_b64 s[46:47], -1
                                        ; implicit-def: $vgpr6_vgpr7
.LBB23_625:
	s_mov_b64 s[48:49], 0
.LBB23_626:
	s_and_b64 vcc, exec, s[48:49]
	s_cbranch_vccz .LBB23_630
; %bb.627:
	v_mov_b32_e32 v3, 11
	v_cmp_eq_u16_sdwa s[46:47], v11, v3 src0_sel:BYTE_0 src1_sel:DWORD
	s_and_b64 vcc, exec, s[46:47]
	s_cbranch_vccz .LBB23_629
; %bb.628:
	global_load_ubyte v3, v[0:1], off
	v_mov_b32_e32 v7, 0x3ff00000
	v_mov_b32_e32 v6, 0
	s_mov_b64 s[0:1], -1
	s_mov_b64 s[46:47], 0
	s_waitcnt vmcnt(0)
	v_cmp_ne_u16_e32 vcc, 0, v3
	v_cndmask_b32_e32 v7, 0, v7, vcc
	s_branch .LBB23_630
.LBB23_629:
	s_mov_b64 s[46:47], -1
                                        ; implicit-def: $vgpr6_vgpr7
.LBB23_630:
	s_mov_b64 s[48:49], 0
.LBB23_631:
	s_and_b64 vcc, exec, s[48:49]
	s_cbranch_vccz .LBB23_680
; %bb.632:
	v_mov_b32_e32 v3, 5
	v_cmp_lt_i16_sdwa s[0:1], v11, v3 src0_sel:BYTE_0 src1_sel:DWORD
	s_and_b64 vcc, exec, s[0:1]
	s_cbranch_vccnz .LBB23_637
; %bb.633:
	v_mov_b32_e32 v3, 8
	v_cmp_lt_i16_sdwa s[0:1], v11, v3 src0_sel:BYTE_0 src1_sel:DWORD
	s_and_b64 vcc, exec, s[0:1]
	s_cbranch_vccnz .LBB23_638
	;; [unrolled: 5-line block ×3, first 2 shown]
; %bb.635:
	v_cmp_gt_i16_sdwa s[0:1], v11, v3 src0_sel:BYTE_0 src1_sel:DWORD
	s_and_b64 vcc, exec, s[0:1]
	s_cbranch_vccz .LBB23_640
; %bb.636:
	global_load_dwordx2 v[6:7], v[0:1], off
	s_mov_b64 s[0:1], 0
	s_branch .LBB23_641
.LBB23_637:
	s_mov_b64 s[0:1], -1
                                        ; implicit-def: $vgpr6_vgpr7
	s_branch .LBB23_659
.LBB23_638:
	s_mov_b64 s[0:1], -1
                                        ; implicit-def: $vgpr6_vgpr7
	s_branch .LBB23_647
.LBB23_639:
	s_mov_b64 s[0:1], -1
                                        ; implicit-def: $vgpr6_vgpr7
	s_branch .LBB23_644
.LBB23_640:
	s_mov_b64 s[0:1], -1
                                        ; implicit-def: $vgpr6_vgpr7
.LBB23_641:
	s_andn2_b64 vcc, exec, s[0:1]
	s_cbranch_vccnz .LBB23_643
; %bb.642:
	global_load_dword v3, v[0:1], off
	s_waitcnt vmcnt(0)
	v_cvt_f64_f32_e32 v[6:7], v3
.LBB23_643:
	s_mov_b64 s[0:1], 0
.LBB23_644:
	s_andn2_b64 vcc, exec, s[0:1]
	s_cbranch_vccnz .LBB23_646
; %bb.645:
	global_load_dword v3, v[0:1], off
	s_waitcnt vmcnt(0)
	v_cvt_f32_f16_e32 v3, v3
	v_cvt_f64_f32_e32 v[6:7], v3
.LBB23_646:
	s_mov_b64 s[0:1], 0
.LBB23_647:
	s_andn2_b64 vcc, exec, s[0:1]
	s_cbranch_vccnz .LBB23_658
; %bb.648:
	v_mov_b32_e32 v3, 6
	v_cmp_lt_i16_sdwa s[0:1], v11, v3 src0_sel:BYTE_0 src1_sel:DWORD
	s_and_b64 vcc, exec, s[0:1]
	s_cbranch_vccnz .LBB23_651
; %bb.649:
	v_cmp_gt_i16_sdwa s[0:1], v11, v3 src0_sel:BYTE_0 src1_sel:DWORD
	s_and_b64 vcc, exec, s[0:1]
	s_cbranch_vccz .LBB23_652
; %bb.650:
	global_load_dwordx2 v[6:7], v[0:1], off
	s_mov_b64 s[0:1], 0
	s_branch .LBB23_653
.LBB23_651:
	s_mov_b64 s[0:1], -1
                                        ; implicit-def: $vgpr6_vgpr7
	s_branch .LBB23_656
.LBB23_652:
	s_mov_b64 s[0:1], -1
                                        ; implicit-def: $vgpr6_vgpr7
.LBB23_653:
	s_andn2_b64 vcc, exec, s[0:1]
	s_cbranch_vccnz .LBB23_655
; %bb.654:
	global_load_dword v3, v[0:1], off
	s_waitcnt vmcnt(0)
	v_cvt_f64_f32_e32 v[6:7], v3
.LBB23_655:
	s_mov_b64 s[0:1], 0
.LBB23_656:
	s_andn2_b64 vcc, exec, s[0:1]
	s_cbranch_vccnz .LBB23_658
; %bb.657:
	global_load_ushort v3, v[0:1], off
	s_waitcnt vmcnt(0)
	v_cvt_f32_f16_e32 v3, v3
	v_cvt_f64_f32_e32 v[6:7], v3
.LBB23_658:
	s_mov_b64 s[0:1], 0
.LBB23_659:
	s_andn2_b64 vcc, exec, s[0:1]
	s_cbranch_vccnz .LBB23_679
; %bb.660:
	v_mov_b32_e32 v3, 2
	v_cmp_lt_i16_sdwa s[0:1], v11, v3 src0_sel:BYTE_0 src1_sel:DWORD
	s_and_b64 vcc, exec, s[0:1]
	s_cbranch_vccnz .LBB23_664
; %bb.661:
	v_mov_b32_e32 v3, 3
	v_cmp_lt_i16_sdwa s[0:1], v11, v3 src0_sel:BYTE_0 src1_sel:DWORD
	s_and_b64 vcc, exec, s[0:1]
	s_cbranch_vccnz .LBB23_665
; %bb.662:
	v_cmp_gt_i16_sdwa s[0:1], v11, v3 src0_sel:BYTE_0 src1_sel:DWORD
	s_and_b64 vcc, exec, s[0:1]
	s_cbranch_vccz .LBB23_666
; %bb.663:
	global_load_dwordx2 v[6:7], v[0:1], off
	s_mov_b64 s[0:1], 0
	s_waitcnt vmcnt(0)
	v_cvt_f64_i32_e32 v[8:9], v7
	v_cvt_f64_u32_e32 v[6:7], v6
	v_ldexp_f64 v[8:9], v[8:9], 32
	v_add_f64 v[6:7], v[8:9], v[6:7]
	s_branch .LBB23_667
.LBB23_664:
	s_mov_b64 s[0:1], -1
                                        ; implicit-def: $vgpr6_vgpr7
	s_branch .LBB23_673
.LBB23_665:
	s_mov_b64 s[0:1], -1
                                        ; implicit-def: $vgpr6_vgpr7
	s_branch .LBB23_670
.LBB23_666:
	s_mov_b64 s[0:1], -1
                                        ; implicit-def: $vgpr6_vgpr7
.LBB23_667:
	s_andn2_b64 vcc, exec, s[0:1]
	s_cbranch_vccnz .LBB23_669
; %bb.668:
	global_load_dword v3, v[0:1], off
	s_waitcnt vmcnt(0)
	v_cvt_f64_i32_e32 v[6:7], v3
.LBB23_669:
	s_mov_b64 s[0:1], 0
.LBB23_670:
	s_andn2_b64 vcc, exec, s[0:1]
	s_cbranch_vccnz .LBB23_672
; %bb.671:
	global_load_sshort v3, v[0:1], off
	s_waitcnt vmcnt(0)
	v_cvt_f64_i32_e32 v[6:7], v3
.LBB23_672:
	s_mov_b64 s[0:1], 0
.LBB23_673:
	s_andn2_b64 vcc, exec, s[0:1]
	s_cbranch_vccnz .LBB23_679
; %bb.674:
	v_mov_b32_e32 v3, 0
	v_cmp_gt_i16_sdwa s[0:1], v11, v3 src0_sel:BYTE_0 src1_sel:DWORD
	s_and_b64 vcc, exec, s[0:1]
	s_cbranch_vccz .LBB23_676
; %bb.675:
	global_load_sbyte v3, v[0:1], off
	s_mov_b64 s[0:1], 0
	s_waitcnt vmcnt(0)
	v_cvt_f64_i32_e32 v[6:7], v3
	s_branch .LBB23_677
.LBB23_676:
	s_mov_b64 s[0:1], -1
                                        ; implicit-def: $vgpr6_vgpr7
.LBB23_677:
	s_andn2_b64 vcc, exec, s[0:1]
	s_cbranch_vccnz .LBB23_679
; %bb.678:
	global_load_ubyte v0, v[0:1], off
	s_waitcnt vmcnt(0)
	v_cvt_f64_u32_e32 v[6:7], v0
.LBB23_679:
	s_mov_b64 s[0:1], -1
.LBB23_680:
	s_andn2_b64 vcc, exec, s[0:1]
	s_cbranch_vccnz .LBB23_700
; %bb.681:
	s_waitcnt vmcnt(0)
	v_trunc_f64_e32 v[0:1], v[6:7]
	s_movk_i32 s0, 0xffe0
	v_ldexp_f64 v[6:7], v[0:1], s0
	v_floor_f64_e32 v[8:9], v[6:7]
	v_fmac_f64_e32 v[0:1], 0xc1f00000, v[8:9]
	v_cvt_i32_f64_e32 v7, v[8:9]
	v_cvt_u32_f64_e32 v6, v[0:1]
	v_cmp_lt_i64_e32 vcc, -1, v[6:7]
	v_pk_mov_b32 v[0:1], 0, 0
	s_and_saveexec_b64 s[0:1], vcc
	s_cbranch_execz .LBB23_693
; %bb.682:
	v_mov_b32_e32 v0, 0
	v_cmp_lt_i64_e32 vcc, 0, v[6:7]
	v_mov_b32_e32 v1, 0x3ff00000
	s_and_saveexec_b64 s[48:49], vcc
	s_cbranch_execz .LBB23_692
; %bb.683:
	v_cmp_ne_u64_e32 vcc, 1, v[6:7]
                                        ; implicit-def: $vgpr0_vgpr1
	s_and_saveexec_b64 s[52:53], vcc
	s_xor_b64 s[52:53], exec, s[52:53]
	s_cbranch_execz .LBB23_689
; %bb.684:
	s_mov_b64 s[54:55], 0x201
	v_mov_b32_e32 v0, 0
	v_cmp_gt_u64_e32 vcc, s[54:55], v[6:7]
	v_mov_b32_e32 v1, 0x7ff80000
	s_and_saveexec_b64 s[54:55], vcc
	s_cbranch_execz .LBB23_688
; %bb.685:
	v_mov_b32_e32 v8, 0
	s_mov_b64 s[58:59], 1
	s_mov_b64 s[56:57], 0
	v_mov_b32_e32 v9, 0x3ff00000
	v_pk_mov_b32 v[0:1], v[4:5], v[4:5] op_sel:[0,1]
.LBB23_686:                             ; =>This Inner Loop Header: Depth=1
	v_cvt_f64_u32_e32 v[16:17], s59
	v_cvt_f64_u32_e32 v[18:19], s58
	s_add_u32 s58, s58, 1
	v_ldexp_f64 v[16:17], v[16:17], 32
	s_addc_u32 s59, s59, 0
	v_add_f64 v[16:17], v[16:17], v[18:19]
	v_cmp_eq_u64_e32 vcc, s[58:59], v[6:7]
	v_mul_f64 v[16:17], v[8:9], v[16:17]
	s_or_b64 s[56:57], vcc, s[56:57]
	v_pk_mov_b32 v[8:9], v[0:1], v[0:1] op_sel:[0,1]
	v_fma_f64 v[0:1], v[4:5], v[0:1], -v[16:17]
	s_andn2_b64 exec, exec, s[56:57]
	s_cbranch_execnz .LBB23_686
; %bb.687:
	s_or_b64 exec, exec, s[56:57]
.LBB23_688:
	s_or_b64 exec, exec, s[54:55]
                                        ; implicit-def: $vgpr4_vgpr5
.LBB23_689:
	s_andn2_saveexec_b64 s[52:53], s[52:53]
; %bb.690:
	v_pk_mov_b32 v[0:1], v[4:5], v[4:5] op_sel:[0,1]
; %bb.691:
	s_or_b64 exec, exec, s[52:53]
.LBB23_692:
	s_or_b64 exec, exec, s[48:49]
.LBB23_693:
	s_or_b64 exec, exec, s[0:1]
	v_mov_b32_e32 v3, s9
	v_add_co_u32_e32 v4, vcc, s8, v2
	v_mov_b32_e32 v2, 11
	v_addc_co_u32_e32 v5, vcc, 0, v3, vcc
	v_cmp_lt_i16_sdwa s[0:1], v10, v2 src0_sel:BYTE_0 src1_sel:DWORD
	s_and_b64 vcc, exec, s[0:1]
	s_cbranch_vccnz .LBB23_701
; %bb.694:
	v_mov_b32_e32 v2, 25
	v_cmp_gt_i16_sdwa s[0:1], v10, v2 src0_sel:BYTE_0 src1_sel:DWORD
	s_and_b64 vcc, exec, s[0:1]
	s_cbranch_vccz .LBB23_702
; %bb.695:
	v_mov_b32_e32 v2, 28
	v_cmp_gt_i16_sdwa s[0:1], v10, v2 src0_sel:BYTE_0 src1_sel:DWORD
	s_and_b64 vcc, exec, s[0:1]
	s_cbranch_vccz .LBB23_703
	;; [unrolled: 5-line block ×4, first 2 shown]
; %bb.698:
	v_mov_b32_e32 v2, 46
	v_cmp_eq_u16_sdwa s[48:49], v10, v2 src0_sel:BYTE_0 src1_sel:DWORD
	s_mov_b64 s[52:53], 0
	s_mov_b64 s[0:1], -1
	s_and_b64 vcc, exec, s[48:49]
	s_mov_b64 s[48:49], 0
	s_cbranch_vccz .LBB23_706
; %bb.699:
	v_cvt_f32_f64_e32 v2, v[0:1]
	v_bfe_u32 v3, v2, 16, 1
	s_movk_i32 s0, 0x7fff
	v_add3_u32 v3, v2, v3, s0
	v_lshrrev_b32_e32 v3, 16, v3
	v_mov_b32_e32 v6, 0x7fc0
	v_cmp_o_f32_e32 vcc, v2, v2
	v_cndmask_b32_e32 v2, v6, v3, vcc
	global_store_dword v[4:5], v2, off
	s_mov_b64 s[48:49], -1
	s_mov_b64 s[0:1], 0
	s_branch .LBB23_706
.LBB23_700:
	s_mov_b64 s[52:53], 0
                                        ; implicit-def: $vgpr14
	s_mov_b64 s[0:1], s[36:37]
	s_branch .LBB23_816
.LBB23_701:
	s_mov_b64 s[52:53], -1
	s_mov_b64 s[48:49], 0
	s_mov_b64 s[0:1], s[36:37]
	s_branch .LBB23_775
.LBB23_702:
	s_mov_b64 s[52:53], -1
	s_mov_b64 s[48:49], 0
	s_mov_b64 s[0:1], s[36:37]
	s_branch .LBB23_733
.LBB23_703:
	s_mov_b64 s[52:53], -1
	s_mov_b64 s[48:49], 0
	s_mov_b64 s[0:1], s[36:37]
	s_branch .LBB23_716
.LBB23_704:
	s_mov_b64 s[52:53], -1
	s_mov_b64 s[48:49], 0
	s_mov_b64 s[0:1], s[36:37]
	s_branch .LBB23_712
.LBB23_705:
	s_mov_b64 s[52:53], -1
	s_mov_b64 s[48:49], 0
	s_mov_b64 s[0:1], s[36:37]
.LBB23_706:
	s_and_b64 vcc, exec, s[52:53]
	s_cbranch_vccz .LBB23_711
; %bb.707:
	v_mov_b32_e32 v2, 44
	v_cmp_eq_u16_sdwa s[52:53], v10, v2 src0_sel:BYTE_0 src1_sel:DWORD
	s_mov_b64 s[0:1], -1
	s_and_b64 vcc, exec, s[52:53]
	s_cbranch_vccz .LBB23_711
; %bb.708:
	v_cvt_f32_f64_e32 v2, v[0:1]
	v_bfe_u32 v3, v2, 23, 8
	s_movk_i32 s0, 0xff
	v_cmp_ne_u32_e32 vcc, s0, v3
	v_mov_b32_e32 v6, 0xff
	s_and_saveexec_b64 s[48:49], vcc
; %bb.709:
	s_mov_b32 s0, 0x3fffff
	v_lshrrev_b32_e32 v6, 23, v2
	v_and_b32_e32 v7, 0x400000, v2
	v_and_or_b32 v2, v2, s0, v3
	v_cmp_ne_u32_e32 vcc, 0, v7
	v_cmp_ne_u32_e64 s[0:1], 0, v2
	s_and_b64 s[0:1], vcc, s[0:1]
	v_cndmask_b32_e64 v2, 0, 1, s[0:1]
	v_add_u32_e32 v6, v6, v2
; %bb.710:
	s_or_b64 exec, exec, s[48:49]
	s_mov_b64 s[48:49], -1
	s_mov_b64 s[0:1], 0
	global_store_byte v[4:5], v6, off
.LBB23_711:
	s_mov_b64 s[52:53], 0
.LBB23_712:
	s_and_b64 vcc, exec, s[52:53]
	s_cbranch_vccz .LBB23_715
; %bb.713:
	v_mov_b32_e32 v2, 29
	v_cmp_eq_u16_sdwa s[52:53], v10, v2 src0_sel:BYTE_0 src1_sel:DWORD
	s_mov_b64 s[0:1], -1
	s_and_b64 vcc, exec, s[52:53]
	s_cbranch_vccz .LBB23_715
; %bb.714:
	v_trunc_f64_e32 v[2:3], v[0:1]
	s_movk_i32 s0, 0xffe0
	v_ldexp_f64 v[6:7], v[2:3], s0
	v_floor_f64_e32 v[6:7], v[6:7]
	v_fmac_f64_e32 v[2:3], 0xc1f00000, v[6:7]
	v_cvt_u32_f64_e32 v9, v[6:7]
	v_cvt_u32_f64_e32 v8, v[2:3]
	global_store_dwordx2 v[4:5], v[8:9], off
	s_mov_b64 s[48:49], -1
	s_mov_b64 s[0:1], 0
.LBB23_715:
	s_mov_b64 s[52:53], 0
.LBB23_716:
	s_and_b64 vcc, exec, s[52:53]
	s_cbranch_vccz .LBB23_732
; %bb.717:
	v_mov_b32_e32 v2, 27
	v_cmp_lt_i16_sdwa s[52:53], v10, v2 src0_sel:BYTE_0 src1_sel:DWORD
	s_mov_b64 s[48:49], -1
	s_and_b64 vcc, exec, s[52:53]
	s_cbranch_vccnz .LBB23_723
; %bb.718:
	v_cmp_gt_i16_sdwa s[52:53], v10, v2 src0_sel:BYTE_0 src1_sel:DWORD
	s_and_b64 vcc, exec, s[52:53]
	v_cvt_u32_f64_e32 v2, v[0:1]
	s_cbranch_vccz .LBB23_720
; %bb.719:
	s_mov_b64 s[48:49], 0
	global_store_dword v[4:5], v2, off
.LBB23_720:
	s_andn2_b64 vcc, exec, s[48:49]
	s_cbranch_vccnz .LBB23_722
; %bb.721:
	global_store_short v[4:5], v2, off
.LBB23_722:
	s_mov_b64 s[48:49], 0
.LBB23_723:
	s_andn2_b64 vcc, exec, s[48:49]
	s_cbranch_vccnz .LBB23_731
; %bb.724:
	v_cvt_f32_f64_e32 v2, v[0:1]
	v_and_b32_e32 v3, 0x7fffffff, v2
	s_mov_b32 s48, 0x43800000
	v_cmp_gt_u32_e32 vcc, s48, v3
	v_mov_b32_e32 v6, 0x80
	s_and_saveexec_b64 s[48:49], vcc
	s_cbranch_execz .LBB23_730
; %bb.725:
	s_mov_b32 s52, 0x3bffffff
	v_cmp_lt_u32_e32 vcc, s52, v3
	s_mov_b64 s[52:53], 0
                                        ; implicit-def: $vgpr3
	s_and_saveexec_b64 s[54:55], vcc
	s_xor_b64 s[54:55], exec, s[54:55]
	s_cbranch_execz .LBB23_843
; %bb.726:
	v_bfe_u32 v3, v2, 20, 1
	s_mov_b32 s56, 0x487ffff
	v_add3_u32 v3, v2, v3, s56
	s_mov_b64 s[52:53], exec
	v_lshrrev_b32_e32 v3, 20, v3
	s_or_saveexec_b64 s[54:55], s[54:55]
                                        ; implicit-def: $sgpr56
	s_xor_b64 exec, exec, s[54:55]
	s_cbranch_execnz .LBB23_844
.LBB23_727:
	s_or_b64 exec, exec, s[54:55]
	v_mov_b32_e32 v6, s56
	s_and_saveexec_b64 s[54:55], s[52:53]
.LBB23_728:
	v_lshrrev_b32_e32 v2, 24, v2
	s_movk_i32 s52, 0x80
	v_and_or_b32 v6, v2, s52, v3
.LBB23_729:
	s_or_b64 exec, exec, s[54:55]
.LBB23_730:
	s_or_b64 exec, exec, s[48:49]
	global_store_byte v[4:5], v6, off
.LBB23_731:
	s_mov_b64 s[48:49], -1
.LBB23_732:
	s_mov_b64 s[52:53], 0
.LBB23_733:
	s_and_b64 vcc, exec, s[52:53]
	s_cbranch_vccz .LBB23_774
; %bb.734:
	v_mov_b32_e32 v2, 22
	v_cmp_gt_i16_sdwa s[54:55], v10, v2 src0_sel:BYTE_0 src1_sel:DWORD
	s_mov_b64 s[52:53], -1
	s_and_b64 vcc, exec, s[54:55]
	s_cbranch_vccz .LBB23_766
; %bb.735:
	v_mov_b32_e32 v2, 24
	v_cmp_lt_i16_sdwa s[52:53], v10, v2 src0_sel:BYTE_0 src1_sel:DWORD
	s_mov_b64 s[48:49], -1
	s_and_b64 vcc, exec, s[52:53]
	s_cbranch_vccnz .LBB23_755
; %bb.736:
	v_cmp_gt_i16_sdwa s[52:53], v10, v2 src0_sel:BYTE_0 src1_sel:DWORD
	s_and_b64 vcc, exec, s[52:53]
	s_cbranch_vccz .LBB23_744
; %bb.737:
	v_cvt_f32_f64_e32 v2, v[0:1]
	v_and_b32_e32 v3, 0x7fffffff, v2
	s_mov_b32 s48, 0x47800000
	v_cmp_gt_u32_e32 vcc, s48, v3
	v_mov_b32_e32 v6, 0x80
	s_and_saveexec_b64 s[48:49], vcc
	s_cbranch_execz .LBB23_743
; %bb.738:
	s_mov_b32 s52, 0x37ffffff
	v_cmp_lt_u32_e32 vcc, s52, v3
	s_mov_b64 s[52:53], 0
                                        ; implicit-def: $vgpr3
	s_and_saveexec_b64 s[54:55], vcc
	s_xor_b64 s[54:55], exec, s[54:55]
	s_cbranch_execz .LBB23_975
; %bb.739:
	v_bfe_u32 v3, v2, 21, 1
	s_mov_b32 s56, 0x88fffff
	v_add3_u32 v3, v2, v3, s56
	s_mov_b64 s[52:53], exec
	v_lshrrev_b32_e32 v3, 21, v3
	s_or_saveexec_b64 s[54:55], s[54:55]
                                        ; implicit-def: $sgpr56
	s_xor_b64 exec, exec, s[54:55]
	s_cbranch_execnz .LBB23_976
.LBB23_740:
	s_or_b64 exec, exec, s[54:55]
	v_mov_b32_e32 v6, s56
	s_and_saveexec_b64 s[54:55], s[52:53]
.LBB23_741:
	v_lshrrev_b32_e32 v2, 24, v2
	s_movk_i32 s52, 0x80
	v_and_or_b32 v6, v2, s52, v3
.LBB23_742:
	s_or_b64 exec, exec, s[54:55]
.LBB23_743:
	s_or_b64 exec, exec, s[48:49]
	s_mov_b64 s[48:49], 0
	global_store_byte v[4:5], v6, off
.LBB23_744:
	s_and_b64 vcc, exec, s[48:49]
	s_cbranch_vccz .LBB23_754
; %bb.745:
	v_cvt_f32_f64_e32 v2, v[0:1]
	v_and_b32_e32 v6, 0x7fffffff, v2
	s_mov_b32 s48, 0x43f00000
	v_cmp_gt_u32_e32 vcc, s48, v6
                                        ; implicit-def: $vgpr3
	s_and_saveexec_b64 s[48:49], vcc
	s_xor_b64 s[48:49], exec, s[48:49]
	s_cbranch_execz .LBB23_751
; %bb.746:
	s_mov_b32 s52, 0x3c7fffff
	v_cmp_lt_u32_e32 vcc, s52, v6
                                        ; implicit-def: $vgpr3
	s_and_saveexec_b64 s[52:53], vcc
	s_xor_b64 s[52:53], exec, s[52:53]
; %bb.747:
	v_bfe_u32 v3, v2, 20, 1
	s_mov_b32 s54, 0x407ffff
	v_add3_u32 v3, v2, v3, s54
	v_lshrrev_b32_e32 v6, 20, v3
	v_and_b32_e32 v3, 0xff00000, v3
	s_mov_b32 s54, 0x7f00000
	v_mov_b32_e32 v7, 0x7e
	v_cmp_ne_u32_e32 vcc, s54, v3
	v_cndmask_b32_e32 v3, v7, v6, vcc
; %bb.748:
	s_andn2_saveexec_b64 s[52:53], s[52:53]
; %bb.749:
	s_mov_b32 s54, 0x46800000
	v_add_f32_e64 v3, |v2|, s54
; %bb.750:
	s_or_b64 exec, exec, s[52:53]
                                        ; implicit-def: $vgpr6
.LBB23_751:
	s_andn2_saveexec_b64 s[48:49], s[48:49]
; %bb.752:
	s_mov_b32 s52, 0x7f800000
	v_mov_b32_e32 v3, 0x7e
	v_mov_b32_e32 v7, 0x7f
	v_cmp_lt_u32_e32 vcc, s52, v6
	v_cndmask_b32_e32 v3, v3, v7, vcc
; %bb.753:
	s_or_b64 exec, exec, s[48:49]
	v_lshrrev_b32_e32 v2, 24, v2
	s_movk_i32 s48, 0x80
	v_and_or_b32 v2, v2, s48, v3
	global_store_byte v[4:5], v2, off
.LBB23_754:
	s_mov_b64 s[48:49], 0
.LBB23_755:
	s_andn2_b64 vcc, exec, s[48:49]
	s_cbranch_vccnz .LBB23_765
; %bb.756:
	v_cvt_f32_f64_e32 v2, v[0:1]
	v_and_b32_e32 v6, 0x7fffffff, v2
	s_mov_b32 s48, 0x47800000
	v_cmp_gt_u32_e32 vcc, s48, v6
                                        ; implicit-def: $vgpr3
	s_and_saveexec_b64 s[48:49], vcc
	s_xor_b64 s[48:49], exec, s[48:49]
	s_cbranch_execz .LBB23_762
; %bb.757:
	s_mov_b32 s52, 0x387fffff
	v_cmp_lt_u32_e32 vcc, s52, v6
                                        ; implicit-def: $vgpr3
	s_and_saveexec_b64 s[52:53], vcc
	s_xor_b64 s[52:53], exec, s[52:53]
; %bb.758:
	v_bfe_u32 v3, v2, 21, 1
	s_mov_b32 s54, 0x80fffff
	v_add3_u32 v3, v2, v3, s54
	v_lshrrev_b32_e32 v3, 21, v3
; %bb.759:
	s_andn2_saveexec_b64 s[52:53], s[52:53]
; %bb.760:
	s_mov_b32 s54, 0x43000000
	v_add_f32_e64 v3, |v2|, s54
; %bb.761:
	s_or_b64 exec, exec, s[52:53]
                                        ; implicit-def: $vgpr6
.LBB23_762:
	s_andn2_saveexec_b64 s[48:49], s[48:49]
; %bb.763:
	s_mov_b32 s52, 0x7f800000
	v_mov_b32_e32 v3, 0x7c
	v_mov_b32_e32 v7, 0x7f
	v_cmp_lt_u32_e32 vcc, s52, v6
	v_cndmask_b32_e32 v3, v3, v7, vcc
; %bb.764:
	s_or_b64 exec, exec, s[48:49]
	v_lshrrev_b32_e32 v2, 24, v2
	s_movk_i32 s48, 0x80
	v_and_or_b32 v2, v2, s48, v3
	global_store_byte v[4:5], v2, off
.LBB23_765:
	s_mov_b64 s[52:53], 0
	s_mov_b64 s[48:49], -1
.LBB23_766:
	s_andn2_b64 vcc, exec, s[52:53]
	s_cbranch_vccnz .LBB23_774
; %bb.767:
	v_mov_b32_e32 v2, 14
	v_cmp_gt_i16_sdwa s[54:55], v10, v2 src0_sel:BYTE_0 src1_sel:DWORD
	s_mov_b64 s[52:53], -1
	s_and_b64 vcc, exec, s[54:55]
	s_cbranch_vccz .LBB23_771
; %bb.768:
	v_mov_b32_e32 v2, 15
	v_cmp_eq_u16_sdwa s[52:53], v10, v2 src0_sel:BYTE_0 src1_sel:DWORD
	s_mov_b64 s[0:1], -1
	s_and_b64 vcc, exec, s[52:53]
	s_cbranch_vccz .LBB23_770
; %bb.769:
	v_cvt_f32_f64_e32 v2, v[0:1]
	v_bfe_u32 v3, v2, 16, 1
	s_movk_i32 s0, 0x7fff
	v_add3_u32 v3, v2, v3, s0
	v_lshrrev_b32_e32 v3, 16, v3
	v_mov_b32_e32 v6, 0x7fc0
	v_cmp_o_f32_e32 vcc, v2, v2
	v_cndmask_b32_e32 v2, v6, v3, vcc
	global_store_short v[4:5], v2, off
	s_mov_b64 s[48:49], -1
	s_mov_b64 s[0:1], 0
.LBB23_770:
	s_mov_b64 s[52:53], 0
.LBB23_771:
	s_and_b64 vcc, exec, s[52:53]
	s_cbranch_vccz .LBB23_774
; %bb.772:
	v_mov_b32_e32 v2, 11
	v_cmp_eq_u16_sdwa s[52:53], v10, v2 src0_sel:BYTE_0 src1_sel:DWORD
	s_mov_b64 s[0:1], -1
	s_and_b64 vcc, exec, s[52:53]
	s_cbranch_vccz .LBB23_774
; %bb.773:
	v_cmp_neq_f64_e32 vcc, 0, v[0:1]
	s_mov_b64 s[0:1], 0
	v_cndmask_b32_e64 v2, 0, 1, vcc
	s_mov_b64 s[48:49], -1
	global_store_byte v[4:5], v2, off
.LBB23_774:
	s_mov_b64 s[52:53], 0
.LBB23_775:
	s_and_b64 vcc, exec, s[52:53]
	s_cbranch_vccz .LBB23_814
; %bb.776:
	v_mov_b32_e32 v2, 5
	v_cmp_lt_i16_sdwa s[52:53], v10, v2 src0_sel:BYTE_0 src1_sel:DWORD
	s_mov_b64 s[48:49], -1
	s_and_b64 vcc, exec, s[52:53]
	s_cbranch_vccnz .LBB23_797
; %bb.777:
	v_mov_b32_e32 v2, 8
	v_cmp_lt_i16_sdwa s[52:53], v10, v2 src0_sel:BYTE_0 src1_sel:DWORD
	s_and_b64 vcc, exec, s[52:53]
	s_cbranch_vccnz .LBB23_787
; %bb.778:
	v_mov_b32_e32 v2, 9
	v_cmp_lt_i16_sdwa s[52:53], v10, v2 src0_sel:BYTE_0 src1_sel:DWORD
	s_and_b64 vcc, exec, s[52:53]
	s_cbranch_vccnz .LBB23_784
; %bb.779:
	v_cmp_gt_i16_sdwa s[52:53], v10, v2 src0_sel:BYTE_0 src1_sel:DWORD
	s_and_b64 vcc, exec, s[52:53]
	s_cbranch_vccz .LBB23_781
; %bb.780:
	v_mov_b32_e32 v2, 0
	v_mov_b32_e32 v3, v2
	s_mov_b64 s[48:49], 0
	global_store_dwordx4 v[4:5], v[0:3], off
.LBB23_781:
	s_andn2_b64 vcc, exec, s[48:49]
	s_cbranch_vccnz .LBB23_783
; %bb.782:
	v_cvt_f32_f64_e32 v2, v[0:1]
	v_mov_b32_e32 v3, 0
	global_store_dwordx2 v[4:5], v[2:3], off
.LBB23_783:
	s_mov_b64 s[48:49], 0
.LBB23_784:
	s_andn2_b64 vcc, exec, s[48:49]
	s_cbranch_vccnz .LBB23_786
; %bb.785:
	v_cvt_f32_f64_e32 v2, v[0:1]
	v_cvt_f16_f32_e32 v2, v2
	global_store_dword v[4:5], v2, off
.LBB23_786:
	s_mov_b64 s[48:49], 0
.LBB23_787:
	s_andn2_b64 vcc, exec, s[48:49]
	s_cbranch_vccnz .LBB23_796
; %bb.788:
	v_mov_b32_e32 v2, 6
	v_cmp_lt_i16_sdwa s[52:53], v10, v2 src0_sel:BYTE_0 src1_sel:DWORD
	s_mov_b64 s[48:49], -1
	s_and_b64 vcc, exec, s[52:53]
	s_cbranch_vccnz .LBB23_794
; %bb.789:
	v_cmp_gt_i16_sdwa s[52:53], v10, v2 src0_sel:BYTE_0 src1_sel:DWORD
	s_and_b64 vcc, exec, s[52:53]
	s_cbranch_vccz .LBB23_791
; %bb.790:
	s_mov_b64 s[48:49], 0
	global_store_dwordx2 v[4:5], v[0:1], off
.LBB23_791:
	s_andn2_b64 vcc, exec, s[48:49]
	s_cbranch_vccnz .LBB23_793
; %bb.792:
	v_cvt_f32_f64_e32 v2, v[0:1]
	global_store_dword v[4:5], v2, off
.LBB23_793:
	s_mov_b64 s[48:49], 0
.LBB23_794:
	s_andn2_b64 vcc, exec, s[48:49]
	s_cbranch_vccnz .LBB23_796
; %bb.795:
	v_cvt_f32_f64_e32 v2, v[0:1]
	v_cvt_f16_f32_e32 v2, v2
	global_store_short v[4:5], v2, off
.LBB23_796:
	s_mov_b64 s[48:49], 0
.LBB23_797:
	s_andn2_b64 vcc, exec, s[48:49]
	s_cbranch_vccnz .LBB23_813
; %bb.798:
	v_mov_b32_e32 v2, 2
	v_cmp_lt_i16_sdwa s[52:53], v10, v2 src0_sel:BYTE_0 src1_sel:DWORD
	s_mov_b64 s[48:49], -1
	s_and_b64 vcc, exec, s[52:53]
	s_cbranch_vccnz .LBB23_808
; %bb.799:
	v_mov_b32_e32 v2, 3
	v_cmp_lt_i16_sdwa s[52:53], v10, v2 src0_sel:BYTE_0 src1_sel:DWORD
	s_and_b64 vcc, exec, s[52:53]
	s_cbranch_vccnz .LBB23_805
; %bb.800:
	v_cmp_gt_i16_sdwa s[52:53], v10, v2 src0_sel:BYTE_0 src1_sel:DWORD
	s_and_b64 vcc, exec, s[52:53]
	s_cbranch_vccz .LBB23_802
; %bb.801:
	v_trunc_f64_e32 v[2:3], v[0:1]
	s_movk_i32 s48, 0xffe0
	v_ldexp_f64 v[6:7], v[2:3], s48
	v_floor_f64_e32 v[6:7], v[6:7]
	v_fmac_f64_e32 v[2:3], 0xc1f00000, v[6:7]
	v_cvt_i32_f64_e32 v9, v[6:7]
	v_cvt_u32_f64_e32 v8, v[2:3]
	s_mov_b64 s[48:49], 0
	global_store_dwordx2 v[4:5], v[8:9], off
.LBB23_802:
	s_andn2_b64 vcc, exec, s[48:49]
	s_cbranch_vccnz .LBB23_804
; %bb.803:
	v_cvt_i32_f64_e32 v2, v[0:1]
	global_store_dword v[4:5], v2, off
.LBB23_804:
	s_mov_b64 s[48:49], 0
.LBB23_805:
	s_andn2_b64 vcc, exec, s[48:49]
	s_cbranch_vccnz .LBB23_807
; %bb.806:
	v_cvt_i32_f64_e32 v2, v[0:1]
	global_store_short v[4:5], v2, off
.LBB23_807:
	s_mov_b64 s[48:49], 0
.LBB23_808:
	s_andn2_b64 vcc, exec, s[48:49]
	s_cbranch_vccnz .LBB23_813
; %bb.809:
	v_mov_b32_e32 v2, 0
	v_cmp_gt_i16_sdwa s[52:53], v10, v2 src0_sel:BYTE_0 src1_sel:DWORD
	s_mov_b64 s[48:49], -1
	s_and_b64 vcc, exec, s[52:53]
	s_cbranch_vccz .LBB23_811
; %bb.810:
	v_cvt_i32_f64_e32 v2, v[0:1]
	s_mov_b64 s[48:49], 0
	global_store_byte v[4:5], v2, off
.LBB23_811:
	s_andn2_b64 vcc, exec, s[48:49]
	s_cbranch_vccnz .LBB23_813
; %bb.812:
	v_trunc_f64_e32 v[0:1], v[0:1]
	s_movk_i32 s48, 0xffe0
	v_ldexp_f64 v[2:3], v[0:1], s48
	v_floor_f64_e32 v[2:3], v[2:3]
	v_fmac_f64_e32 v[0:1], 0xc1f00000, v[2:3]
	v_cvt_u32_f64_e32 v0, v[0:1]
	global_store_byte v[4:5], v0, off
.LBB23_813:
	s_mov_b64 s[48:49], -1
.LBB23_814:
	s_andn2_b64 vcc, exec, s[48:49]
	s_cbranch_vccnz .LBB23_838
; %bb.815:
	v_add_u32_e32 v14, 0x80, v14
	s_mov_b64 s[52:53], -1
.LBB23_816:
	s_andn2_b64 s[48:49], s[36:37], exec
	s_and_b64 s[0:1], s[0:1], exec
	s_or_b64 s[48:49], s[48:49], s[0:1]
	s_andn2_b64 s[0:1], s[38:39], exec
	s_and_b64 s[46:47], s[46:47], exec
	s_or_b64 s[46:47], s[0:1], s[46:47]
	s_andn2_b64 s[0:1], s[40:41], exec
	s_and_b64 s[44:45], s[44:45], exec
	s_or_b64 s[44:45], s[0:1], s[44:45]
	s_orn2_b64 s[0:1], s[52:53], exec
.LBB23_817:
	s_or_b64 exec, exec, s[50:51]
	s_mov_b64 s[52:53], 0
	s_mov_b64 s[54:55], 0
	;; [unrolled: 1-line block ×3, first 2 shown]
                                        ; implicit-def: $vgpr1
                                        ; implicit-def: $vgpr6_vgpr7
                                        ; implicit-def: $vgpr0
                                        ; implicit-def: $vgpr2
                                        ; implicit-def: $vgpr4_vgpr5
	s_and_saveexec_b64 s[50:51], s[0:1]
	s_cbranch_execz .LBB23_1324
; %bb.818:
	v_cmp_gt_i32_e32 vcc, s70, v14
	s_mov_b64 s[64:65], -1
	s_mov_b64 s[0:1], s[44:45]
	s_mov_b64 s[56:57], s[46:47]
	s_mov_b64 s[58:59], s[48:49]
	s_and_saveexec_b64 s[52:53], vcc
	s_cbranch_execz .LBB23_1229
; %bb.819:
	s_andn2_b64 vcc, exec, s[20:21]
	s_cbranch_vccnz .LBB23_826
; %bb.820:
	s_andn2_b64 vcc, exec, s[34:35]
	v_mov_b32_e32 v0, 0
	s_waitcnt vmcnt(0)
	v_mov_b32_e32 v4, 0
	v_mov_b32_e32 v2, 0
	s_cbranch_vccnz .LBB23_825
; %bb.821:
	s_add_i32 s0, s69, 1
	s_and_b32 s54, s0, 30
	s_add_u32 s0, s2, 0xffffffec
	s_addc_u32 s1, s3, -1
	v_mov_b32_e32 v2, 0
	v_mov_b32_e32 v1, v14
	;; [unrolled: 1-line block ×4, first 2 shown]
.LBB23_822:                             ; =>This Inner Loop Header: Depth=1
	s_mov_b64 s[64:65], s[0:1]
	s_load_dwordx4 s[56:59], s[64:65], 0x18
	s_load_dwordx2 s[66:67], s[64:65], 0x28
	s_load_dwordx2 s[72:73], s[64:65], 0xe8
	s_load_dwordx4 s[60:63], s[64:65], 0xd8
	s_add_u32 s0, s64, 24
	s_waitcnt lgkmcnt(0)
	v_mul_hi_u32 v3, s57, v1
	v_add_u32_e32 v3, v1, v3
	v_lshrrev_b32_e32 v3, s58, v3
	v_mul_lo_u32 v5, v3, s56
	v_mul_hi_u32 v6, s66, v3
	v_sub_u32_e32 v1, v1, v5
	v_add_u32_e32 v5, v3, v6
	v_mul_lo_u32 v6, v1, s60
	v_mul_lo_u32 v7, v1, s61
	;; [unrolled: 1-line block ×3, first 2 shown]
	v_lshrrev_b32_e32 v1, s67, v5
	v_mul_lo_u32 v5, v1, s59
	v_sub_u32_e32 v3, v3, v5
	s_addc_u32 s1, s65, 0
	s_add_i32 s54, s54, -2
	v_mul_lo_u32 v5, v3, s63
	v_mul_lo_u32 v9, v3, s72
	;; [unrolled: 1-line block ×3, first 2 shown]
	s_cmp_eq_u32 s54, 0
	v_add3_u32 v2, v6, v2, v5
	v_add3_u32 v0, v8, v0, v3
	;; [unrolled: 1-line block ×3, first 2 shown]
	s_cbranch_scc0 .LBB23_822
; %bb.823:
	s_bitcmp1_b32 s69, 0
	s_cselect_b64 s[54:55], -1, 0
	s_and_b64 vcc, exec, s[54:55]
	s_cbranch_vccnz .LBB23_825
; %bb.824:
	s_load_dwordx2 s[54:55], s[0:1], 0x18
	s_load_dword s56, s[0:1], 0x20
	s_load_dword s57, s[0:1], 0xe0
	s_nop 0
	s_load_dwordx2 s[0:1], s[0:1], 0xd8
	s_waitcnt lgkmcnt(0)
	v_mul_hi_u32 v3, s55, v1
	v_add_u32_e32 v3, v1, v3
	v_lshrrev_b32_e32 v3, s56, v3
	v_mul_lo_u32 v3, v3, s54
	v_sub_u32_e32 v1, v1, v3
	v_mad_u64_u32 v[2:3], s[54:55], v1, s0, v[2:3]
	v_mad_u64_u32 v[4:5], s[0:1], v1, s1, v[4:5]
	;; [unrolled: 1-line block ×3, first 2 shown]
.LBB23_825:
	s_mov_b64 s[0:1], 0
	s_branch .LBB23_827
.LBB23_826:
	s_mov_b64 s[0:1], -1
                                        ; implicit-def: $vgpr0
                                        ; implicit-def: $vgpr4
                                        ; implicit-def: $vgpr2
.LBB23_827:
	s_andn2_b64 vcc, exec, s[0:1]
	s_cbranch_vccnz .LBB23_830
; %bb.828:
	s_waitcnt lgkmcnt(0)
	v_mul_hi_u32 v0, s17, v14
	v_add_u32_e32 v0, v14, v0
	v_lshrrev_b32_e32 v1, s18, v0
	v_mul_lo_u32 v0, v1, s16
	v_sub_u32_e32 v3, v14, v0
	v_mul_lo_u32 v2, v3, s12
	v_mul_lo_u32 v0, v3, s14
	s_andn2_b64 vcc, exec, s[30:31]
	s_waitcnt vmcnt(0)
	v_mul_lo_u32 v4, v3, s13
	s_cbranch_vccnz .LBB23_830
; %bb.829:
	v_mul_hi_u32 v3, s28, v1
	v_add_u32_e32 v3, v1, v3
	v_lshrrev_b32_e32 v3, s29, v3
	v_mul_lo_u32 v3, v3, s19
	v_sub_u32_e32 v1, v1, v3
	v_mad_u64_u32 v[2:3], s[0:1], v1, s15, v[2:3]
	v_mad_u64_u32 v[4:5], s[0:1], v1, s26, v[4:5]
	;; [unrolled: 1-line block ×3, first 2 shown]
.LBB23_830:
	s_waitcnt lgkmcnt(0)
	v_mov_b32_e32 v1, s11
	s_waitcnt vmcnt(0)
	v_add_co_u32_e32 v6, vcc, s10, v4
	v_addc_co_u32_e32 v7, vcc, 0, v1, vcc
	v_mov_b32_e32 v1, 11
	v_cmp_lt_i16_sdwa s[0:1], v12, v1 src0_sel:BYTE_0 src1_sel:DWORD
	s_and_b64 vcc, exec, s[0:1]
	s_cbranch_vccnz .LBB23_837
; %bb.831:
	v_mov_b32_e32 v1, 25
	v_cmp_gt_i16_sdwa s[0:1], v12, v1 src0_sel:BYTE_0 src1_sel:DWORD
	s_and_b64 vcc, exec, s[0:1]
	s_cbranch_vccz .LBB23_839
; %bb.832:
	v_mov_b32_e32 v1, 28
	v_cmp_gt_i16_sdwa s[0:1], v12, v1 src0_sel:BYTE_0 src1_sel:DWORD
	s_and_b64 vcc, exec, s[0:1]
	s_cbranch_vccz .LBB23_840
	;; [unrolled: 5-line block ×4, first 2 shown]
; %bb.835:
	v_mov_b32_e32 v1, 46
	v_cmp_eq_u16_sdwa s[0:1], v12, v1 src0_sel:BYTE_0 src1_sel:DWORD
	s_mov_b64 s[56:57], 0
	s_and_b64 vcc, exec, s[0:1]
	s_cbranch_vccz .LBB23_845
; %bb.836:
	global_load_dword v1, v[6:7], off
	s_mov_b64 s[0:1], -1
	s_mov_b64 s[54:55], 0
	s_waitcnt vmcnt(0)
	v_lshlrev_b32_e32 v1, 16, v1
	v_cvt_f64_f32_e32 v[4:5], v1
	s_branch .LBB23_846
.LBB23_837:
	s_mov_b64 s[56:57], -1
	s_mov_b64 s[0:1], 0
                                        ; implicit-def: $vgpr4_vgpr5
	s_mov_b64 s[54:55], s[44:45]
	s_branch .LBB23_911
.LBB23_838:
	s_mov_b64 s[52:53], 0
	s_branch .LBB23_562
.LBB23_839:
	s_mov_b64 s[56:57], -1
	s_mov_b64 s[0:1], 0
	s_mov_b64 s[54:55], s[44:45]
                                        ; implicit-def: $vgpr4_vgpr5
	s_branch .LBB23_875
.LBB23_840:
	s_mov_b64 s[56:57], -1
	s_mov_b64 s[0:1], 0
	s_mov_b64 s[54:55], s[44:45]
                                        ; implicit-def: $vgpr4_vgpr5
	s_branch .LBB23_856
.LBB23_841:
	s_mov_b64 s[56:57], -1
	s_mov_b64 s[0:1], 0
	s_mov_b64 s[54:55], s[44:45]
                                        ; implicit-def: $vgpr4_vgpr5
	s_branch .LBB23_851
.LBB23_842:
	s_mov_b64 s[56:57], -1
	s_mov_b64 s[0:1], 0
	s_mov_b64 s[54:55], s[44:45]
                                        ; implicit-def: $vgpr4_vgpr5
	s_branch .LBB23_846
.LBB23_843:
	s_or_saveexec_b64 s[54:55], s[54:55]
                                        ; implicit-def: $sgpr56
	s_xor_b64 exec, exec, s[54:55]
	s_cbranch_execz .LBB23_727
.LBB23_844:
	s_mov_b32 s56, 0x46000000
	v_add_f32_e64 v3, |v2|, s56
	v_and_b32_e32 v3, 0xff, v3
	v_cmp_ne_u32_e32 vcc, 0, v3
	s_andn2_b64 s[52:53], s[52:53], exec
	s_and_b64 s[58:59], vcc, exec
	s_mov_b32 s56, 0
	s_or_b64 s[52:53], s[52:53], s[58:59]
	s_or_b64 exec, exec, s[54:55]
	v_mov_b32_e32 v6, s56
	s_and_saveexec_b64 s[54:55], s[52:53]
	s_cbranch_execnz .LBB23_728
	s_branch .LBB23_729
.LBB23_845:
	s_mov_b64 s[54:55], -1
                                        ; implicit-def: $vgpr4_vgpr5
	s_mov_b64 s[0:1], 0
.LBB23_846:
	s_and_b64 vcc, exec, s[56:57]
	s_cbranch_vccz .LBB23_850
; %bb.847:
	v_mov_b32_e32 v1, 44
	v_cmp_eq_u16_sdwa s[54:55], v12, v1 src0_sel:BYTE_0 src1_sel:DWORD
	s_and_b64 vcc, exec, s[54:55]
	s_cbranch_vccz .LBB23_849
; %bb.848:
	global_load_ubyte v1, v[6:7], off
	s_movk_i32 s54, 0xff
	v_bfrev_b32_e32 v3, 4
	v_mov_b32_e32 v8, 0x7ff80000
	v_bfrev_b32_e32 v9, 28
	s_mov_b64 s[0:1], -1
	s_waitcnt vmcnt(0)
	v_lshlrev_b32_e32 v4, 23, v1
	v_cvt_f64_f32_e32 v[4:5], v4
	v_cmp_ne_u32_e32 vcc, s54, v1
	v_cndmask_b32_e32 v3, v3, v4, vcc
	v_cndmask_b32_e32 v4, v8, v5, vcc
	v_cmp_ne_u32_e32 vcc, 0, v1
	v_cndmask_b32_e32 v5, v9, v4, vcc
	v_cndmask_b32_e32 v4, 0, v3, vcc
	s_mov_b64 s[54:55], 0
	s_branch .LBB23_850
.LBB23_849:
	s_mov_b64 s[54:55], -1
                                        ; implicit-def: $vgpr4_vgpr5
.LBB23_850:
	s_mov_b64 s[56:57], 0
.LBB23_851:
	s_and_b64 vcc, exec, s[56:57]
	s_cbranch_vccz .LBB23_855
; %bb.852:
	v_mov_b32_e32 v1, 29
	v_cmp_eq_u16_sdwa s[54:55], v12, v1 src0_sel:BYTE_0 src1_sel:DWORD
	s_and_b64 vcc, exec, s[54:55]
	s_cbranch_vccz .LBB23_854
; %bb.853:
	global_load_dwordx2 v[4:5], v[6:7], off
	s_mov_b64 s[0:1], -1
	s_mov_b64 s[54:55], 0
	s_mov_b64 s[56:57], 0
	s_waitcnt vmcnt(0)
	v_cvt_f64_u32_e32 v[8:9], v5
	v_cvt_f64_u32_e32 v[4:5], v4
	v_ldexp_f64 v[8:9], v[8:9], 32
	v_add_f64 v[4:5], v[8:9], v[4:5]
	s_branch .LBB23_856
.LBB23_854:
	s_mov_b64 s[54:55], -1
                                        ; implicit-def: $vgpr4_vgpr5
.LBB23_855:
	s_mov_b64 s[56:57], 0
.LBB23_856:
	s_and_b64 vcc, exec, s[56:57]
	s_cbranch_vccz .LBB23_874
; %bb.857:
	v_mov_b32_e32 v1, 27
	v_cmp_lt_i16_sdwa s[0:1], v12, v1 src0_sel:BYTE_0 src1_sel:DWORD
	s_and_b64 vcc, exec, s[0:1]
	s_cbranch_vccnz .LBB23_860
; %bb.858:
	v_cmp_gt_i16_sdwa s[0:1], v12, v1 src0_sel:BYTE_0 src1_sel:DWORD
	s_and_b64 vcc, exec, s[0:1]
	s_cbranch_vccz .LBB23_861
; %bb.859:
	global_load_dword v1, v[6:7], off
	s_mov_b64 s[0:1], 0
	s_waitcnt vmcnt(0)
	v_cvt_f64_u32_e32 v[4:5], v1
	s_branch .LBB23_862
.LBB23_860:
	s_mov_b64 s[0:1], -1
                                        ; implicit-def: $vgpr4_vgpr5
	s_branch .LBB23_865
.LBB23_861:
	s_mov_b64 s[0:1], -1
                                        ; implicit-def: $vgpr4_vgpr5
.LBB23_862:
	s_andn2_b64 vcc, exec, s[0:1]
	s_cbranch_vccnz .LBB23_864
; %bb.863:
	global_load_ushort v1, v[6:7], off
	s_waitcnt vmcnt(0)
	v_cvt_f64_u32_e32 v[4:5], v1
.LBB23_864:
	s_mov_b64 s[0:1], 0
.LBB23_865:
	s_andn2_b64 vcc, exec, s[0:1]
	s_cbranch_vccnz .LBB23_873
; %bb.866:
	global_load_ubyte v1, v[6:7], off
	s_movk_i32 s0, 0x7f
                                        ; implicit-def: $sgpr56_sgpr57
	s_waitcnt vmcnt(0)
	v_cmp_lt_i16_e32 vcc, s0, v1
	s_mov_b64 s[0:1], 0
	s_and_saveexec_b64 s[58:59], vcc
	s_xor_b64 s[58:59], exec, s[58:59]
	s_cbranch_execz .LBB23_887
; %bb.867:
	s_movk_i32 s0, 0x80
	v_cmp_eq_u16_e32 vcc, s0, v1
	s_mov_b64 s[60:61], -1
                                        ; implicit-def: $sgpr56_sgpr57
	s_and_saveexec_b64 s[0:1], vcc
; %bb.868:
	s_mov_b32 s57, 0x7ff80000
	s_brev_b32 s56, 4
	s_xor_b64 s[60:61], exec, -1
; %bb.869:
	s_or_b64 exec, exec, s[0:1]
	s_and_b64 s[0:1], s[60:61], exec
	s_or_saveexec_b64 s[58:59], s[58:59]
	v_pk_mov_b32 v[4:5], s[56:57], s[56:57] op_sel:[0,1]
	s_xor_b64 exec, exec, s[58:59]
	s_cbranch_execnz .LBB23_888
.LBB23_870:
	s_or_b64 exec, exec, s[58:59]
	s_and_saveexec_b64 s[56:57], s[0:1]
	s_cbranch_execz .LBB23_872
.LBB23_871:
	v_lshlrev_b32_e32 v3, 24, v1
	v_and_b32_e32 v1, 0xffff, v1
	v_and_b32_e32 v4, 7, v1
	v_ffbh_u32_e32 v8, v4
	v_min_u32_e32 v8, 32, v8
	v_subrev_u32_e32 v9, 28, v8
	v_bfe_u32 v5, v1, 3, 4
	v_lshlrev_b32_e32 v1, v9, v1
	v_sub_u32_e32 v8, 29, v8
	v_and_b32_e32 v1, 7, v1
	v_cmp_eq_u32_e32 vcc, 0, v5
	v_cndmask_b32_e32 v5, v5, v8, vcc
	v_cndmask_b32_e32 v1, v4, v1, vcc
	v_mov_b32_e32 v4, 0x3b800000
	v_lshlrev_b32_e32 v1, 20, v1
	v_and_b32_e32 v3, 0x80000000, v3
	v_lshl_add_u32 v4, v5, 23, v4
	v_or3_b32 v1, v3, v4, v1
	v_cvt_f64_f32_e32 v[4:5], v1
.LBB23_872:
	s_or_b64 exec, exec, s[56:57]
.LBB23_873:
	s_mov_b64 s[0:1], -1
.LBB23_874:
	s_mov_b64 s[56:57], 0
.LBB23_875:
	s_and_b64 vcc, exec, s[56:57]
	s_cbranch_vccz .LBB23_910
; %bb.876:
	v_mov_b32_e32 v1, 22
	v_cmp_gt_i16_sdwa s[56:57], v12, v1 src0_sel:BYTE_0 src1_sel:DWORD
	s_and_b64 vcc, exec, s[56:57]
	s_cbranch_vccz .LBB23_886
; %bb.877:
	v_mov_b32_e32 v1, 24
	v_cmp_lt_i16_sdwa s[0:1], v12, v1 src0_sel:BYTE_0 src1_sel:DWORD
	s_and_b64 vcc, exec, s[0:1]
	s_cbranch_vccnz .LBB23_889
; %bb.878:
	v_cmp_gt_i16_sdwa s[0:1], v12, v1 src0_sel:BYTE_0 src1_sel:DWORD
	s_and_b64 vcc, exec, s[0:1]
	s_cbranch_vccz .LBB23_890
; %bb.879:
	global_load_ubyte v1, v[6:7], off
	s_movk_i32 s0, 0x7f
                                        ; implicit-def: $sgpr56_sgpr57
	s_waitcnt vmcnt(0)
	v_cmp_lt_i16_e32 vcc, s0, v1
	s_mov_b64 s[0:1], 0
	s_and_saveexec_b64 s[58:59], vcc
	s_xor_b64 s[58:59], exec, s[58:59]
	s_cbranch_execz .LBB23_902
; %bb.880:
	s_movk_i32 s0, 0x80
	v_cmp_eq_u16_e32 vcc, s0, v1
	s_mov_b64 s[60:61], -1
                                        ; implicit-def: $sgpr56_sgpr57
	s_and_saveexec_b64 s[0:1], vcc
; %bb.881:
	s_mov_b32 s57, 0x7ff80000
	s_brev_b32 s56, 4
	s_xor_b64 s[60:61], exec, -1
; %bb.882:
	s_or_b64 exec, exec, s[0:1]
	s_and_b64 s[0:1], s[60:61], exec
	s_or_saveexec_b64 s[58:59], s[58:59]
	v_pk_mov_b32 v[4:5], s[56:57], s[56:57] op_sel:[0,1]
	s_xor_b64 exec, exec, s[58:59]
	s_cbranch_execnz .LBB23_903
.LBB23_883:
	s_or_b64 exec, exec, s[58:59]
	s_and_saveexec_b64 s[56:57], s[0:1]
	s_cbranch_execz .LBB23_885
.LBB23_884:
	v_lshlrev_b32_e32 v3, 24, v1
	v_and_b32_e32 v1, 0xffff, v1
	v_and_b32_e32 v4, 3, v1
	v_ffbh_u32_e32 v8, v4
	v_min_u32_e32 v8, 32, v8
	v_subrev_u32_e32 v9, 29, v8
	v_bfe_u32 v5, v1, 2, 5
	v_lshlrev_b32_e32 v1, v9, v1
	v_sub_u32_e32 v8, 30, v8
	v_and_b32_e32 v1, 3, v1
	v_cmp_eq_u32_e32 vcc, 0, v5
	v_cndmask_b32_e32 v5, v5, v8, vcc
	v_cndmask_b32_e32 v1, v4, v1, vcc
	v_mov_b32_e32 v4, 0x37800000
	v_lshlrev_b32_e32 v1, 21, v1
	v_and_b32_e32 v3, 0x80000000, v3
	v_lshl_add_u32 v4, v5, 23, v4
	v_or3_b32 v1, v3, v4, v1
	v_cvt_f64_f32_e32 v[4:5], v1
.LBB23_885:
	s_or_b64 exec, exec, s[56:57]
	s_mov_b64 s[0:1], 0
	s_branch .LBB23_891
.LBB23_886:
	s_mov_b64 s[56:57], -1
                                        ; implicit-def: $vgpr4_vgpr5
	s_branch .LBB23_897
.LBB23_887:
	s_or_saveexec_b64 s[58:59], s[58:59]
	v_pk_mov_b32 v[4:5], s[56:57], s[56:57] op_sel:[0,1]
	s_xor_b64 exec, exec, s[58:59]
	s_cbranch_execz .LBB23_870
.LBB23_888:
	v_cmp_ne_u16_e32 vcc, 0, v1
	s_andn2_b64 s[0:1], s[0:1], exec
	s_and_b64 s[56:57], vcc, exec
	v_pk_mov_b32 v[4:5], 0, 0
	s_or_b64 s[0:1], s[0:1], s[56:57]
	s_or_b64 exec, exec, s[58:59]
	s_and_saveexec_b64 s[56:57], s[0:1]
	s_cbranch_execnz .LBB23_871
	s_branch .LBB23_872
.LBB23_889:
	s_mov_b64 s[0:1], -1
                                        ; implicit-def: $vgpr4_vgpr5
	s_branch .LBB23_894
.LBB23_890:
	s_mov_b64 s[0:1], -1
                                        ; implicit-def: $vgpr4_vgpr5
.LBB23_891:
	s_and_b64 vcc, exec, s[0:1]
	s_cbranch_vccz .LBB23_893
; %bb.892:
	global_load_ubyte v1, v[6:7], off
	s_mov_b32 s0, 0x7f800000
	s_waitcnt vmcnt(0)
	v_lshlrev_b32_e32 v1, 24, v1
	v_and_b32_e32 v3, 0x7f000000, v1
	v_ffbh_u32_e32 v4, v3
	v_min_u32_e32 v4, 32, v4
	v_sub_u32_e64 v4, v4, 4 clamp
	v_lshlrev_b32_e32 v8, v4, v3
	v_lshlrev_b32_e32 v4, 23, v4
	v_lshrrev_b32_e32 v8, 4, v8
	v_add_u32_e32 v5, 0x1000000, v3
	v_sub_u32_e32 v4, v8, v4
	v_ashrrev_i32_e32 v5, 8, v5
	v_add_u32_e32 v4, 0x3c000000, v4
	v_and_or_b32 v4, v5, s0, v4
	v_cmp_ne_u32_e32 vcc, 0, v3
	v_cndmask_b32_e32 v3, 0, v4, vcc
	s_brev_b32 s0, 1
	v_and_or_b32 v1, v1, s0, v3
	v_cvt_f64_f32_e32 v[4:5], v1
.LBB23_893:
	s_mov_b64 s[0:1], 0
.LBB23_894:
	s_andn2_b64 vcc, exec, s[0:1]
	s_cbranch_vccnz .LBB23_896
; %bb.895:
	global_load_ubyte v1, v[6:7], off
	s_movk_i32 s0, 0x7f00
	s_brev_b32 s1, 16
	s_waitcnt vmcnt(0)
	v_lshlrev_b16_e32 v3, 8, v1
	v_lshlrev_b32_e32 v1, 25, v1
	v_lshrrev_b32_e32 v4, 4, v1
	v_and_or_b32 v5, v3, s0, 0.5
	v_or_b32_e32 v4, 0x70000000, v4
	v_add_f32_e32 v5, -0.5, v5
	v_mul_f32_e32 v4, 0x7800000, v4
	v_cmp_gt_u32_e32 vcc, s1, v1
	v_bfe_i32 v3, v3, 0, 16
	v_cndmask_b32_e32 v1, v4, v5, vcc
	s_brev_b32 s0, 1
	v_and_or_b32 v1, v3, s0, v1
	v_cvt_f64_f32_e32 v[4:5], v1
.LBB23_896:
	s_mov_b64 s[56:57], 0
	s_mov_b64 s[0:1], -1
.LBB23_897:
	s_andn2_b64 vcc, exec, s[56:57]
	s_cbranch_vccnz .LBB23_910
; %bb.898:
	v_mov_b32_e32 v1, 14
	v_cmp_gt_i16_sdwa s[56:57], v12, v1 src0_sel:BYTE_0 src1_sel:DWORD
	s_and_b64 vcc, exec, s[56:57]
	s_cbranch_vccz .LBB23_901
; %bb.899:
	v_mov_b32_e32 v1, 15
	v_cmp_eq_u16_sdwa s[54:55], v12, v1 src0_sel:BYTE_0 src1_sel:DWORD
	s_and_b64 vcc, exec, s[54:55]
	s_cbranch_vccz .LBB23_904
; %bb.900:
	global_load_ushort v1, v[6:7], off
	s_mov_b64 s[0:1], -1
	s_mov_b64 s[54:55], 0
	s_waitcnt vmcnt(0)
	v_lshlrev_b32_e32 v1, 16, v1
	v_cvt_f64_f32_e32 v[4:5], v1
	s_branch .LBB23_905
.LBB23_901:
	s_mov_b64 s[56:57], -1
                                        ; implicit-def: $vgpr4_vgpr5
	s_branch .LBB23_906
.LBB23_902:
	s_or_saveexec_b64 s[58:59], s[58:59]
	v_pk_mov_b32 v[4:5], s[56:57], s[56:57] op_sel:[0,1]
	s_xor_b64 exec, exec, s[58:59]
	s_cbranch_execz .LBB23_883
.LBB23_903:
	v_cmp_ne_u16_e32 vcc, 0, v1
	s_andn2_b64 s[0:1], s[0:1], exec
	s_and_b64 s[56:57], vcc, exec
	v_pk_mov_b32 v[4:5], 0, 0
	s_or_b64 s[0:1], s[0:1], s[56:57]
	s_or_b64 exec, exec, s[58:59]
	s_and_saveexec_b64 s[56:57], s[0:1]
	s_cbranch_execnz .LBB23_884
	s_branch .LBB23_885
.LBB23_904:
	s_mov_b64 s[54:55], -1
                                        ; implicit-def: $vgpr4_vgpr5
.LBB23_905:
	s_mov_b64 s[56:57], 0
.LBB23_906:
	s_and_b64 vcc, exec, s[56:57]
	s_cbranch_vccz .LBB23_910
; %bb.907:
	v_mov_b32_e32 v1, 11
	v_cmp_eq_u16_sdwa s[54:55], v12, v1 src0_sel:BYTE_0 src1_sel:DWORD
	s_and_b64 vcc, exec, s[54:55]
	s_cbranch_vccz .LBB23_909
; %bb.908:
	global_load_ubyte v1, v[6:7], off
	v_mov_b32_e32 v3, 0x3ff00000
	v_mov_b32_e32 v4, 0
	s_mov_b64 s[0:1], -1
	s_mov_b64 s[54:55], 0
	s_waitcnt vmcnt(0)
	v_cmp_ne_u16_e32 vcc, 0, v1
	v_cndmask_b32_e32 v5, 0, v3, vcc
	s_branch .LBB23_910
.LBB23_909:
	s_mov_b64 s[54:55], -1
                                        ; implicit-def: $vgpr4_vgpr5
.LBB23_910:
	s_mov_b64 s[56:57], 0
.LBB23_911:
	s_and_b64 vcc, exec, s[56:57]
	s_cbranch_vccz .LBB23_960
; %bb.912:
	v_mov_b32_e32 v1, 5
	v_cmp_lt_i16_sdwa s[0:1], v12, v1 src0_sel:BYTE_0 src1_sel:DWORD
	s_and_b64 vcc, exec, s[0:1]
	s_cbranch_vccnz .LBB23_917
; %bb.913:
	v_mov_b32_e32 v1, 8
	v_cmp_lt_i16_sdwa s[0:1], v12, v1 src0_sel:BYTE_0 src1_sel:DWORD
	s_and_b64 vcc, exec, s[0:1]
	s_cbranch_vccnz .LBB23_918
	;; [unrolled: 5-line block ×3, first 2 shown]
; %bb.915:
	v_cmp_gt_i16_sdwa s[0:1], v12, v1 src0_sel:BYTE_0 src1_sel:DWORD
	s_and_b64 vcc, exec, s[0:1]
	s_cbranch_vccz .LBB23_920
; %bb.916:
	global_load_dwordx2 v[4:5], v[6:7], off
	s_mov_b64 s[0:1], 0
	s_branch .LBB23_921
.LBB23_917:
	s_mov_b64 s[0:1], -1
                                        ; implicit-def: $vgpr4_vgpr5
	s_branch .LBB23_939
.LBB23_918:
	s_mov_b64 s[0:1], -1
                                        ; implicit-def: $vgpr4_vgpr5
	s_branch .LBB23_927
.LBB23_919:
	s_mov_b64 s[0:1], -1
                                        ; implicit-def: $vgpr4_vgpr5
	s_branch .LBB23_924
.LBB23_920:
	s_mov_b64 s[0:1], -1
                                        ; implicit-def: $vgpr4_vgpr5
.LBB23_921:
	s_andn2_b64 vcc, exec, s[0:1]
	s_cbranch_vccnz .LBB23_923
; %bb.922:
	global_load_dword v1, v[6:7], off
	s_waitcnt vmcnt(0)
	v_cvt_f64_f32_e32 v[4:5], v1
.LBB23_923:
	s_mov_b64 s[0:1], 0
.LBB23_924:
	s_andn2_b64 vcc, exec, s[0:1]
	s_cbranch_vccnz .LBB23_926
; %bb.925:
	global_load_dword v1, v[6:7], off
	s_waitcnt vmcnt(0)
	v_cvt_f32_f16_e32 v1, v1
	v_cvt_f64_f32_e32 v[4:5], v1
.LBB23_926:
	s_mov_b64 s[0:1], 0
.LBB23_927:
	s_andn2_b64 vcc, exec, s[0:1]
	s_cbranch_vccnz .LBB23_938
; %bb.928:
	v_mov_b32_e32 v1, 6
	v_cmp_lt_i16_sdwa s[0:1], v12, v1 src0_sel:BYTE_0 src1_sel:DWORD
	s_and_b64 vcc, exec, s[0:1]
	s_cbranch_vccnz .LBB23_931
; %bb.929:
	v_cmp_gt_i16_sdwa s[0:1], v12, v1 src0_sel:BYTE_0 src1_sel:DWORD
	s_and_b64 vcc, exec, s[0:1]
	s_cbranch_vccz .LBB23_932
; %bb.930:
	global_load_dwordx2 v[4:5], v[6:7], off
	s_mov_b64 s[0:1], 0
	s_branch .LBB23_933
.LBB23_931:
	s_mov_b64 s[0:1], -1
                                        ; implicit-def: $vgpr4_vgpr5
	s_branch .LBB23_936
.LBB23_932:
	s_mov_b64 s[0:1], -1
                                        ; implicit-def: $vgpr4_vgpr5
.LBB23_933:
	s_andn2_b64 vcc, exec, s[0:1]
	s_cbranch_vccnz .LBB23_935
; %bb.934:
	global_load_dword v1, v[6:7], off
	s_waitcnt vmcnt(0)
	v_cvt_f64_f32_e32 v[4:5], v1
.LBB23_935:
	s_mov_b64 s[0:1], 0
.LBB23_936:
	s_andn2_b64 vcc, exec, s[0:1]
	s_cbranch_vccnz .LBB23_938
; %bb.937:
	global_load_ushort v1, v[6:7], off
	s_waitcnt vmcnt(0)
	v_cvt_f32_f16_e32 v1, v1
	v_cvt_f64_f32_e32 v[4:5], v1
.LBB23_938:
	s_mov_b64 s[0:1], 0
.LBB23_939:
	s_andn2_b64 vcc, exec, s[0:1]
	s_cbranch_vccnz .LBB23_959
; %bb.940:
	v_mov_b32_e32 v1, 2
	v_cmp_lt_i16_sdwa s[0:1], v12, v1 src0_sel:BYTE_0 src1_sel:DWORD
	s_and_b64 vcc, exec, s[0:1]
	s_cbranch_vccnz .LBB23_944
; %bb.941:
	v_mov_b32_e32 v1, 3
	v_cmp_lt_i16_sdwa s[0:1], v12, v1 src0_sel:BYTE_0 src1_sel:DWORD
	s_and_b64 vcc, exec, s[0:1]
	s_cbranch_vccnz .LBB23_945
; %bb.942:
	v_cmp_gt_i16_sdwa s[0:1], v12, v1 src0_sel:BYTE_0 src1_sel:DWORD
	s_and_b64 vcc, exec, s[0:1]
	s_cbranch_vccz .LBB23_946
; %bb.943:
	global_load_dwordx2 v[4:5], v[6:7], off
	s_mov_b64 s[0:1], 0
	s_waitcnt vmcnt(0)
	v_cvt_f64_i32_e32 v[8:9], v5
	v_cvt_f64_u32_e32 v[4:5], v4
	v_ldexp_f64 v[8:9], v[8:9], 32
	v_add_f64 v[4:5], v[8:9], v[4:5]
	s_branch .LBB23_947
.LBB23_944:
	s_mov_b64 s[0:1], -1
                                        ; implicit-def: $vgpr4_vgpr5
	s_branch .LBB23_953
.LBB23_945:
	s_mov_b64 s[0:1], -1
                                        ; implicit-def: $vgpr4_vgpr5
	s_branch .LBB23_950
.LBB23_946:
	s_mov_b64 s[0:1], -1
                                        ; implicit-def: $vgpr4_vgpr5
.LBB23_947:
	s_andn2_b64 vcc, exec, s[0:1]
	s_cbranch_vccnz .LBB23_949
; %bb.948:
	global_load_dword v1, v[6:7], off
	s_waitcnt vmcnt(0)
	v_cvt_f64_i32_e32 v[4:5], v1
.LBB23_949:
	s_mov_b64 s[0:1], 0
.LBB23_950:
	s_andn2_b64 vcc, exec, s[0:1]
	s_cbranch_vccnz .LBB23_952
; %bb.951:
	global_load_sshort v1, v[6:7], off
	s_waitcnt vmcnt(0)
	v_cvt_f64_i32_e32 v[4:5], v1
.LBB23_952:
	s_mov_b64 s[0:1], 0
.LBB23_953:
	s_andn2_b64 vcc, exec, s[0:1]
	s_cbranch_vccnz .LBB23_959
; %bb.954:
	v_mov_b32_e32 v1, 0
	v_cmp_gt_i16_sdwa s[0:1], v12, v1 src0_sel:BYTE_0 src1_sel:DWORD
	s_and_b64 vcc, exec, s[0:1]
	s_cbranch_vccz .LBB23_956
; %bb.955:
	global_load_sbyte v1, v[6:7], off
	s_mov_b64 s[0:1], 0
	s_waitcnt vmcnt(0)
	v_cvt_f64_i32_e32 v[4:5], v1
	s_branch .LBB23_957
.LBB23_956:
	s_mov_b64 s[0:1], -1
                                        ; implicit-def: $vgpr4_vgpr5
.LBB23_957:
	s_andn2_b64 vcc, exec, s[0:1]
	s_cbranch_vccnz .LBB23_959
; %bb.958:
	global_load_ubyte v1, v[6:7], off
	s_waitcnt vmcnt(0)
	v_cvt_f64_u32_e32 v[4:5], v1
.LBB23_959:
	s_mov_b64 s[0:1], -1
.LBB23_960:
	s_andn2_b64 vcc, exec, s[0:1]
	s_cbranch_vccnz .LBB23_968
; %bb.961:
	v_mov_b32_e32 v1, s25
	v_add_co_u32_e32 v0, vcc, s24, v0
	v_mov_b32_e32 v3, 11
	v_addc_co_u32_e32 v1, vcc, 0, v1, vcc
	v_cmp_lt_i16_sdwa s[0:1], v11, v3 src0_sel:BYTE_0 src1_sel:DWORD
	s_and_b64 vcc, exec, s[0:1]
	s_cbranch_vccnz .LBB23_970
; %bb.962:
	v_mov_b32_e32 v3, 25
	v_cmp_gt_i16_sdwa s[0:1], v11, v3 src0_sel:BYTE_0 src1_sel:DWORD
	s_and_b64 vcc, exec, s[0:1]
	s_cbranch_vccz .LBB23_971
; %bb.963:
	v_mov_b32_e32 v3, 28
	v_cmp_gt_i16_sdwa s[0:1], v11, v3 src0_sel:BYTE_0 src1_sel:DWORD
	s_and_b64 vcc, exec, s[0:1]
	s_cbranch_vccz .LBB23_972
	;; [unrolled: 5-line block ×4, first 2 shown]
; %bb.966:
	v_mov_b32_e32 v3, 46
	v_cmp_eq_u16_sdwa s[0:1], v11, v3 src0_sel:BYTE_0 src1_sel:DWORD
	s_mov_b64 s[58:59], 0
	s_and_b64 vcc, exec, s[0:1]
	s_cbranch_vccz .LBB23_977
; %bb.967:
	global_load_dword v3, v[0:1], off
	s_mov_b64 s[0:1], -1
	s_mov_b64 s[56:57], 0
	s_waitcnt vmcnt(0)
	v_lshlrev_b32_e32 v3, 16, v3
	v_cvt_f64_f32_e32 v[6:7], v3
	s_branch .LBB23_978
.LBB23_968:
	s_mov_b64 s[60:61], 0
	s_mov_b64 s[0:1], s[48:49]
	;; [unrolled: 1-line block ×3, first 2 shown]
.LBB23_969:
                                        ; implicit-def: $vgpr14
	s_branch .LBB23_1228
.LBB23_970:
	s_mov_b64 s[58:59], -1
	s_mov_b64 s[0:1], 0
                                        ; implicit-def: $vgpr6_vgpr7
	s_mov_b64 s[56:57], s[46:47]
	s_branch .LBB23_1043
.LBB23_971:
	s_mov_b64 s[58:59], -1
	s_mov_b64 s[0:1], 0
	s_mov_b64 s[56:57], s[46:47]
                                        ; implicit-def: $vgpr6_vgpr7
	s_branch .LBB23_1007
.LBB23_972:
	s_mov_b64 s[58:59], -1
	s_mov_b64 s[0:1], 0
	s_mov_b64 s[56:57], s[46:47]
                                        ; implicit-def: $vgpr6_vgpr7
	s_branch .LBB23_988
.LBB23_973:
	s_mov_b64 s[58:59], -1
	s_mov_b64 s[0:1], 0
	s_mov_b64 s[56:57], s[46:47]
                                        ; implicit-def: $vgpr6_vgpr7
	s_branch .LBB23_983
.LBB23_974:
	s_mov_b64 s[58:59], -1
	s_mov_b64 s[0:1], 0
	s_mov_b64 s[56:57], s[46:47]
                                        ; implicit-def: $vgpr6_vgpr7
	s_branch .LBB23_978
.LBB23_975:
	s_or_saveexec_b64 s[54:55], s[54:55]
                                        ; implicit-def: $sgpr56
	s_xor_b64 exec, exec, s[54:55]
	s_cbranch_execz .LBB23_740
.LBB23_976:
	s_mov_b32 s56, 0x42800000
	v_add_f32_e64 v3, |v2|, s56
	v_and_b32_e32 v3, 0xff, v3
	v_cmp_ne_u32_e32 vcc, 0, v3
	s_andn2_b64 s[52:53], s[52:53], exec
	s_and_b64 s[58:59], vcc, exec
	s_mov_b32 s56, 0
	s_or_b64 s[52:53], s[52:53], s[58:59]
	s_or_b64 exec, exec, s[54:55]
	v_mov_b32_e32 v6, s56
	s_and_saveexec_b64 s[54:55], s[52:53]
	s_cbranch_execnz .LBB23_741
	s_branch .LBB23_742
.LBB23_977:
	s_mov_b64 s[56:57], -1
                                        ; implicit-def: $vgpr6_vgpr7
	s_mov_b64 s[0:1], 0
.LBB23_978:
	s_and_b64 vcc, exec, s[58:59]
	s_cbranch_vccz .LBB23_982
; %bb.979:
	v_mov_b32_e32 v3, 44
	v_cmp_eq_u16_sdwa s[56:57], v11, v3 src0_sel:BYTE_0 src1_sel:DWORD
	s_and_b64 vcc, exec, s[56:57]
	s_cbranch_vccz .LBB23_981
; %bb.980:
	global_load_ubyte v3, v[0:1], off
	s_movk_i32 s56, 0xff
	v_bfrev_b32_e32 v8, 4
	v_mov_b32_e32 v9, 0x7ff80000
	v_bfrev_b32_e32 v13, 28
	s_mov_b64 s[0:1], -1
	s_waitcnt vmcnt(0)
	v_lshlrev_b32_e32 v6, 23, v3
	v_cvt_f64_f32_e32 v[6:7], v6
	v_cmp_ne_u32_e32 vcc, s56, v3
	v_cndmask_b32_e32 v6, v8, v6, vcc
	v_cndmask_b32_e32 v7, v9, v7, vcc
	v_cmp_ne_u32_e32 vcc, 0, v3
	v_cndmask_b32_e32 v7, v13, v7, vcc
	v_cndmask_b32_e32 v6, 0, v6, vcc
	s_mov_b64 s[56:57], 0
	s_branch .LBB23_982
.LBB23_981:
	s_mov_b64 s[56:57], -1
                                        ; implicit-def: $vgpr6_vgpr7
.LBB23_982:
	s_mov_b64 s[58:59], 0
.LBB23_983:
	s_and_b64 vcc, exec, s[58:59]
	s_cbranch_vccz .LBB23_987
; %bb.984:
	v_mov_b32_e32 v3, 29
	v_cmp_eq_u16_sdwa s[56:57], v11, v3 src0_sel:BYTE_0 src1_sel:DWORD
	s_and_b64 vcc, exec, s[56:57]
	s_cbranch_vccz .LBB23_986
; %bb.985:
	global_load_dwordx2 v[6:7], v[0:1], off
	s_mov_b64 s[0:1], -1
	s_mov_b64 s[56:57], 0
	s_mov_b64 s[58:59], 0
	s_waitcnt vmcnt(0)
	v_cvt_f64_u32_e32 v[8:9], v7
	v_cvt_f64_u32_e32 v[6:7], v6
	v_ldexp_f64 v[8:9], v[8:9], 32
	v_add_f64 v[6:7], v[8:9], v[6:7]
	s_branch .LBB23_988
.LBB23_986:
	s_mov_b64 s[56:57], -1
                                        ; implicit-def: $vgpr6_vgpr7
.LBB23_987:
	s_mov_b64 s[58:59], 0
.LBB23_988:
	s_and_b64 vcc, exec, s[58:59]
	s_cbranch_vccz .LBB23_1006
; %bb.989:
	v_mov_b32_e32 v3, 27
	v_cmp_lt_i16_sdwa s[0:1], v11, v3 src0_sel:BYTE_0 src1_sel:DWORD
	s_and_b64 vcc, exec, s[0:1]
	s_cbranch_vccnz .LBB23_992
; %bb.990:
	v_cmp_gt_i16_sdwa s[0:1], v11, v3 src0_sel:BYTE_0 src1_sel:DWORD
	s_and_b64 vcc, exec, s[0:1]
	s_cbranch_vccz .LBB23_993
; %bb.991:
	global_load_dword v3, v[0:1], off
	s_mov_b64 s[0:1], 0
	s_waitcnt vmcnt(0)
	v_cvt_f64_u32_e32 v[6:7], v3
	s_branch .LBB23_994
.LBB23_992:
	s_mov_b64 s[0:1], -1
                                        ; implicit-def: $vgpr6_vgpr7
	s_branch .LBB23_997
.LBB23_993:
	s_mov_b64 s[0:1], -1
                                        ; implicit-def: $vgpr6_vgpr7
.LBB23_994:
	s_andn2_b64 vcc, exec, s[0:1]
	s_cbranch_vccnz .LBB23_996
; %bb.995:
	global_load_ushort v3, v[0:1], off
	s_waitcnt vmcnt(0)
	v_cvt_f64_u32_e32 v[6:7], v3
.LBB23_996:
	s_mov_b64 s[0:1], 0
.LBB23_997:
	s_andn2_b64 vcc, exec, s[0:1]
	s_cbranch_vccnz .LBB23_1005
; %bb.998:
	global_load_ubyte v3, v[0:1], off
	s_movk_i32 s0, 0x7f
                                        ; implicit-def: $sgpr58_sgpr59
	s_waitcnt vmcnt(0)
	v_cmp_lt_i16_e32 vcc, s0, v3
	s_mov_b64 s[0:1], 0
	s_and_saveexec_b64 s[60:61], vcc
	s_xor_b64 s[60:61], exec, s[60:61]
	s_cbranch_execz .LBB23_1019
; %bb.999:
	s_movk_i32 s0, 0x80
	v_cmp_eq_u16_e32 vcc, s0, v3
	s_mov_b64 s[62:63], -1
                                        ; implicit-def: $sgpr58_sgpr59
	s_and_saveexec_b64 s[0:1], vcc
; %bb.1000:
	s_mov_b32 s59, 0x7ff80000
	s_brev_b32 s58, 4
	s_xor_b64 s[62:63], exec, -1
; %bb.1001:
	s_or_b64 exec, exec, s[0:1]
	s_and_b64 s[0:1], s[62:63], exec
	s_or_saveexec_b64 s[60:61], s[60:61]
	v_pk_mov_b32 v[6:7], s[58:59], s[58:59] op_sel:[0,1]
	s_xor_b64 exec, exec, s[60:61]
	s_cbranch_execnz .LBB23_1020
.LBB23_1002:
	s_or_b64 exec, exec, s[60:61]
	s_and_saveexec_b64 s[58:59], s[0:1]
	s_cbranch_execz .LBB23_1004
.LBB23_1003:
	v_lshlrev_b32_e32 v6, 24, v3
	v_and_b32_e32 v3, 0xffff, v3
	v_and_b32_e32 v7, 7, v3
	v_ffbh_u32_e32 v9, v7
	v_min_u32_e32 v9, 32, v9
	v_subrev_u32_e32 v13, 28, v9
	v_bfe_u32 v8, v3, 3, 4
	v_lshlrev_b32_e32 v3, v13, v3
	v_sub_u32_e32 v9, 29, v9
	v_and_b32_e32 v3, 7, v3
	v_cmp_eq_u32_e32 vcc, 0, v8
	v_cndmask_b32_e32 v8, v8, v9, vcc
	v_cndmask_b32_e32 v3, v7, v3, vcc
	v_mov_b32_e32 v7, 0x3b800000
	v_lshlrev_b32_e32 v3, 20, v3
	v_and_b32_e32 v6, 0x80000000, v6
	v_lshl_add_u32 v7, v8, 23, v7
	v_or3_b32 v3, v6, v7, v3
	v_cvt_f64_f32_e32 v[6:7], v3
.LBB23_1004:
	s_or_b64 exec, exec, s[58:59]
.LBB23_1005:
	s_mov_b64 s[0:1], -1
.LBB23_1006:
	s_mov_b64 s[58:59], 0
.LBB23_1007:
	s_and_b64 vcc, exec, s[58:59]
	s_cbranch_vccz .LBB23_1042
; %bb.1008:
	v_mov_b32_e32 v3, 22
	v_cmp_gt_i16_sdwa s[58:59], v11, v3 src0_sel:BYTE_0 src1_sel:DWORD
	s_and_b64 vcc, exec, s[58:59]
	s_cbranch_vccz .LBB23_1018
; %bb.1009:
	v_mov_b32_e32 v3, 24
	v_cmp_lt_i16_sdwa s[0:1], v11, v3 src0_sel:BYTE_0 src1_sel:DWORD
	s_and_b64 vcc, exec, s[0:1]
	s_cbranch_vccnz .LBB23_1021
; %bb.1010:
	v_cmp_gt_i16_sdwa s[0:1], v11, v3 src0_sel:BYTE_0 src1_sel:DWORD
	s_and_b64 vcc, exec, s[0:1]
	s_cbranch_vccz .LBB23_1022
; %bb.1011:
	global_load_ubyte v3, v[0:1], off
	s_movk_i32 s0, 0x7f
                                        ; implicit-def: $sgpr58_sgpr59
	s_waitcnt vmcnt(0)
	v_cmp_lt_i16_e32 vcc, s0, v3
	s_mov_b64 s[0:1], 0
	s_and_saveexec_b64 s[60:61], vcc
	s_xor_b64 s[60:61], exec, s[60:61]
	s_cbranch_execz .LBB23_1034
; %bb.1012:
	s_movk_i32 s0, 0x80
	v_cmp_eq_u16_e32 vcc, s0, v3
	s_mov_b64 s[62:63], -1
                                        ; implicit-def: $sgpr58_sgpr59
	s_and_saveexec_b64 s[0:1], vcc
; %bb.1013:
	s_mov_b32 s59, 0x7ff80000
	s_brev_b32 s58, 4
	s_xor_b64 s[62:63], exec, -1
; %bb.1014:
	s_or_b64 exec, exec, s[0:1]
	s_and_b64 s[0:1], s[62:63], exec
	s_or_saveexec_b64 s[60:61], s[60:61]
	v_pk_mov_b32 v[6:7], s[58:59], s[58:59] op_sel:[0,1]
	s_xor_b64 exec, exec, s[60:61]
	s_cbranch_execnz .LBB23_1035
.LBB23_1015:
	s_or_b64 exec, exec, s[60:61]
	s_and_saveexec_b64 s[58:59], s[0:1]
	s_cbranch_execz .LBB23_1017
.LBB23_1016:
	v_lshlrev_b32_e32 v6, 24, v3
	v_and_b32_e32 v3, 0xffff, v3
	v_and_b32_e32 v7, 3, v3
	v_ffbh_u32_e32 v9, v7
	v_min_u32_e32 v9, 32, v9
	v_subrev_u32_e32 v13, 29, v9
	v_bfe_u32 v8, v3, 2, 5
	v_lshlrev_b32_e32 v3, v13, v3
	v_sub_u32_e32 v9, 30, v9
	v_and_b32_e32 v3, 3, v3
	v_cmp_eq_u32_e32 vcc, 0, v8
	v_cndmask_b32_e32 v8, v8, v9, vcc
	v_cndmask_b32_e32 v3, v7, v3, vcc
	v_mov_b32_e32 v7, 0x37800000
	v_lshlrev_b32_e32 v3, 21, v3
	v_and_b32_e32 v6, 0x80000000, v6
	v_lshl_add_u32 v7, v8, 23, v7
	v_or3_b32 v3, v6, v7, v3
	v_cvt_f64_f32_e32 v[6:7], v3
.LBB23_1017:
	s_or_b64 exec, exec, s[58:59]
	s_mov_b64 s[0:1], 0
	s_branch .LBB23_1023
.LBB23_1018:
	s_mov_b64 s[58:59], -1
                                        ; implicit-def: $vgpr6_vgpr7
	s_branch .LBB23_1029
.LBB23_1019:
	s_or_saveexec_b64 s[60:61], s[60:61]
	v_pk_mov_b32 v[6:7], s[58:59], s[58:59] op_sel:[0,1]
	s_xor_b64 exec, exec, s[60:61]
	s_cbranch_execz .LBB23_1002
.LBB23_1020:
	v_cmp_ne_u16_e32 vcc, 0, v3
	s_andn2_b64 s[0:1], s[0:1], exec
	s_and_b64 s[58:59], vcc, exec
	v_pk_mov_b32 v[6:7], 0, 0
	s_or_b64 s[0:1], s[0:1], s[58:59]
	s_or_b64 exec, exec, s[60:61]
	s_and_saveexec_b64 s[58:59], s[0:1]
	s_cbranch_execnz .LBB23_1003
	s_branch .LBB23_1004
.LBB23_1021:
	s_mov_b64 s[0:1], -1
                                        ; implicit-def: $vgpr6_vgpr7
	s_branch .LBB23_1026
.LBB23_1022:
	s_mov_b64 s[0:1], -1
                                        ; implicit-def: $vgpr6_vgpr7
.LBB23_1023:
	s_and_b64 vcc, exec, s[0:1]
	s_cbranch_vccz .LBB23_1025
; %bb.1024:
	global_load_ubyte v3, v[0:1], off
	s_mov_b32 s0, 0x7f800000
	s_waitcnt vmcnt(0)
	v_lshlrev_b32_e32 v3, 24, v3
	v_and_b32_e32 v6, 0x7f000000, v3
	v_ffbh_u32_e32 v7, v6
	v_min_u32_e32 v7, 32, v7
	v_sub_u32_e64 v7, v7, 4 clamp
	v_lshlrev_b32_e32 v9, v7, v6
	v_lshlrev_b32_e32 v7, 23, v7
	v_lshrrev_b32_e32 v9, 4, v9
	v_add_u32_e32 v8, 0x1000000, v6
	v_sub_u32_e32 v7, v9, v7
	v_ashrrev_i32_e32 v8, 8, v8
	v_add_u32_e32 v7, 0x3c000000, v7
	v_and_or_b32 v7, v8, s0, v7
	v_cmp_ne_u32_e32 vcc, 0, v6
	v_cndmask_b32_e32 v6, 0, v7, vcc
	s_brev_b32 s0, 1
	v_and_or_b32 v3, v3, s0, v6
	v_cvt_f64_f32_e32 v[6:7], v3
.LBB23_1025:
	s_mov_b64 s[0:1], 0
.LBB23_1026:
	s_andn2_b64 vcc, exec, s[0:1]
	s_cbranch_vccnz .LBB23_1028
; %bb.1027:
	global_load_ubyte v3, v[0:1], off
	s_movk_i32 s0, 0x7f00
	s_brev_b32 s1, 16
	s_waitcnt vmcnt(0)
	v_lshlrev_b16_e32 v6, 8, v3
	v_lshlrev_b32_e32 v3, 25, v3
	v_lshrrev_b32_e32 v7, 4, v3
	v_and_or_b32 v8, v6, s0, 0.5
	v_or_b32_e32 v7, 0x70000000, v7
	v_add_f32_e32 v8, -0.5, v8
	v_mul_f32_e32 v7, 0x7800000, v7
	v_cmp_gt_u32_e32 vcc, s1, v3
	v_bfe_i32 v6, v6, 0, 16
	v_cndmask_b32_e32 v3, v7, v8, vcc
	s_brev_b32 s0, 1
	v_and_or_b32 v3, v6, s0, v3
	v_cvt_f64_f32_e32 v[6:7], v3
.LBB23_1028:
	s_mov_b64 s[58:59], 0
	s_mov_b64 s[0:1], -1
.LBB23_1029:
	s_andn2_b64 vcc, exec, s[58:59]
	s_cbranch_vccnz .LBB23_1042
; %bb.1030:
	v_mov_b32_e32 v3, 14
	v_cmp_gt_i16_sdwa s[58:59], v11, v3 src0_sel:BYTE_0 src1_sel:DWORD
	s_and_b64 vcc, exec, s[58:59]
	s_cbranch_vccz .LBB23_1033
; %bb.1031:
	v_mov_b32_e32 v3, 15
	v_cmp_eq_u16_sdwa s[56:57], v11, v3 src0_sel:BYTE_0 src1_sel:DWORD
	s_and_b64 vcc, exec, s[56:57]
	s_cbranch_vccz .LBB23_1036
; %bb.1032:
	global_load_ushort v3, v[0:1], off
	s_mov_b64 s[0:1], -1
	s_mov_b64 s[56:57], 0
	s_waitcnt vmcnt(0)
	v_lshlrev_b32_e32 v3, 16, v3
	v_cvt_f64_f32_e32 v[6:7], v3
	s_branch .LBB23_1037
.LBB23_1033:
	s_mov_b64 s[58:59], -1
                                        ; implicit-def: $vgpr6_vgpr7
	s_branch .LBB23_1038
.LBB23_1034:
	s_or_saveexec_b64 s[60:61], s[60:61]
	v_pk_mov_b32 v[6:7], s[58:59], s[58:59] op_sel:[0,1]
	s_xor_b64 exec, exec, s[60:61]
	s_cbranch_execz .LBB23_1015
.LBB23_1035:
	v_cmp_ne_u16_e32 vcc, 0, v3
	s_andn2_b64 s[0:1], s[0:1], exec
	s_and_b64 s[58:59], vcc, exec
	v_pk_mov_b32 v[6:7], 0, 0
	s_or_b64 s[0:1], s[0:1], s[58:59]
	s_or_b64 exec, exec, s[60:61]
	s_and_saveexec_b64 s[58:59], s[0:1]
	s_cbranch_execnz .LBB23_1016
	s_branch .LBB23_1017
.LBB23_1036:
	s_mov_b64 s[56:57], -1
                                        ; implicit-def: $vgpr6_vgpr7
.LBB23_1037:
	s_mov_b64 s[58:59], 0
.LBB23_1038:
	s_and_b64 vcc, exec, s[58:59]
	s_cbranch_vccz .LBB23_1042
; %bb.1039:
	v_mov_b32_e32 v3, 11
	v_cmp_eq_u16_sdwa s[56:57], v11, v3 src0_sel:BYTE_0 src1_sel:DWORD
	s_and_b64 vcc, exec, s[56:57]
	s_cbranch_vccz .LBB23_1041
; %bb.1040:
	global_load_ubyte v3, v[0:1], off
	v_mov_b32_e32 v7, 0x3ff00000
	v_mov_b32_e32 v6, 0
	s_mov_b64 s[0:1], -1
	s_mov_b64 s[56:57], 0
	s_waitcnt vmcnt(0)
	v_cmp_ne_u16_e32 vcc, 0, v3
	v_cndmask_b32_e32 v7, 0, v7, vcc
	s_branch .LBB23_1042
.LBB23_1041:
	s_mov_b64 s[56:57], -1
                                        ; implicit-def: $vgpr6_vgpr7
.LBB23_1042:
	s_mov_b64 s[58:59], 0
.LBB23_1043:
	s_and_b64 vcc, exec, s[58:59]
	s_cbranch_vccz .LBB23_1092
; %bb.1044:
	v_mov_b32_e32 v3, 5
	v_cmp_lt_i16_sdwa s[0:1], v11, v3 src0_sel:BYTE_0 src1_sel:DWORD
	s_and_b64 vcc, exec, s[0:1]
	s_cbranch_vccnz .LBB23_1049
; %bb.1045:
	v_mov_b32_e32 v3, 8
	v_cmp_lt_i16_sdwa s[0:1], v11, v3 src0_sel:BYTE_0 src1_sel:DWORD
	s_and_b64 vcc, exec, s[0:1]
	s_cbranch_vccnz .LBB23_1050
	;; [unrolled: 5-line block ×3, first 2 shown]
; %bb.1047:
	v_cmp_gt_i16_sdwa s[0:1], v11, v3 src0_sel:BYTE_0 src1_sel:DWORD
	s_and_b64 vcc, exec, s[0:1]
	s_cbranch_vccz .LBB23_1052
; %bb.1048:
	global_load_dwordx2 v[6:7], v[0:1], off
	s_mov_b64 s[0:1], 0
	s_branch .LBB23_1053
.LBB23_1049:
	s_mov_b64 s[0:1], -1
                                        ; implicit-def: $vgpr6_vgpr7
	s_branch .LBB23_1071
.LBB23_1050:
	s_mov_b64 s[0:1], -1
                                        ; implicit-def: $vgpr6_vgpr7
	s_branch .LBB23_1059
.LBB23_1051:
	s_mov_b64 s[0:1], -1
                                        ; implicit-def: $vgpr6_vgpr7
	s_branch .LBB23_1056
.LBB23_1052:
	s_mov_b64 s[0:1], -1
                                        ; implicit-def: $vgpr6_vgpr7
.LBB23_1053:
	s_andn2_b64 vcc, exec, s[0:1]
	s_cbranch_vccnz .LBB23_1055
; %bb.1054:
	global_load_dword v3, v[0:1], off
	s_waitcnt vmcnt(0)
	v_cvt_f64_f32_e32 v[6:7], v3
.LBB23_1055:
	s_mov_b64 s[0:1], 0
.LBB23_1056:
	s_andn2_b64 vcc, exec, s[0:1]
	s_cbranch_vccnz .LBB23_1058
; %bb.1057:
	global_load_dword v3, v[0:1], off
	s_waitcnt vmcnt(0)
	v_cvt_f32_f16_e32 v3, v3
	v_cvt_f64_f32_e32 v[6:7], v3
.LBB23_1058:
	s_mov_b64 s[0:1], 0
.LBB23_1059:
	s_andn2_b64 vcc, exec, s[0:1]
	s_cbranch_vccnz .LBB23_1070
; %bb.1060:
	v_mov_b32_e32 v3, 6
	v_cmp_lt_i16_sdwa s[0:1], v11, v3 src0_sel:BYTE_0 src1_sel:DWORD
	s_and_b64 vcc, exec, s[0:1]
	s_cbranch_vccnz .LBB23_1063
; %bb.1061:
	v_cmp_gt_i16_sdwa s[0:1], v11, v3 src0_sel:BYTE_0 src1_sel:DWORD
	s_and_b64 vcc, exec, s[0:1]
	s_cbranch_vccz .LBB23_1064
; %bb.1062:
	global_load_dwordx2 v[6:7], v[0:1], off
	s_mov_b64 s[0:1], 0
	s_branch .LBB23_1065
.LBB23_1063:
	s_mov_b64 s[0:1], -1
                                        ; implicit-def: $vgpr6_vgpr7
	s_branch .LBB23_1068
.LBB23_1064:
	s_mov_b64 s[0:1], -1
                                        ; implicit-def: $vgpr6_vgpr7
.LBB23_1065:
	s_andn2_b64 vcc, exec, s[0:1]
	s_cbranch_vccnz .LBB23_1067
; %bb.1066:
	global_load_dword v3, v[0:1], off
	s_waitcnt vmcnt(0)
	v_cvt_f64_f32_e32 v[6:7], v3
.LBB23_1067:
	s_mov_b64 s[0:1], 0
.LBB23_1068:
	s_andn2_b64 vcc, exec, s[0:1]
	s_cbranch_vccnz .LBB23_1070
; %bb.1069:
	global_load_ushort v3, v[0:1], off
	s_waitcnt vmcnt(0)
	v_cvt_f32_f16_e32 v3, v3
	v_cvt_f64_f32_e32 v[6:7], v3
.LBB23_1070:
	s_mov_b64 s[0:1], 0
.LBB23_1071:
	s_andn2_b64 vcc, exec, s[0:1]
	s_cbranch_vccnz .LBB23_1091
; %bb.1072:
	v_mov_b32_e32 v3, 2
	v_cmp_lt_i16_sdwa s[0:1], v11, v3 src0_sel:BYTE_0 src1_sel:DWORD
	s_and_b64 vcc, exec, s[0:1]
	s_cbranch_vccnz .LBB23_1076
; %bb.1073:
	v_mov_b32_e32 v3, 3
	v_cmp_lt_i16_sdwa s[0:1], v11, v3 src0_sel:BYTE_0 src1_sel:DWORD
	s_and_b64 vcc, exec, s[0:1]
	s_cbranch_vccnz .LBB23_1077
; %bb.1074:
	v_cmp_gt_i16_sdwa s[0:1], v11, v3 src0_sel:BYTE_0 src1_sel:DWORD
	s_and_b64 vcc, exec, s[0:1]
	s_cbranch_vccz .LBB23_1078
; %bb.1075:
	global_load_dwordx2 v[6:7], v[0:1], off
	s_mov_b64 s[0:1], 0
	s_waitcnt vmcnt(0)
	v_cvt_f64_i32_e32 v[8:9], v7
	v_cvt_f64_u32_e32 v[6:7], v6
	v_ldexp_f64 v[8:9], v[8:9], 32
	v_add_f64 v[6:7], v[8:9], v[6:7]
	s_branch .LBB23_1079
.LBB23_1076:
	s_mov_b64 s[0:1], -1
                                        ; implicit-def: $vgpr6_vgpr7
	s_branch .LBB23_1085
.LBB23_1077:
	s_mov_b64 s[0:1], -1
                                        ; implicit-def: $vgpr6_vgpr7
	s_branch .LBB23_1082
.LBB23_1078:
	s_mov_b64 s[0:1], -1
                                        ; implicit-def: $vgpr6_vgpr7
.LBB23_1079:
	s_andn2_b64 vcc, exec, s[0:1]
	s_cbranch_vccnz .LBB23_1081
; %bb.1080:
	global_load_dword v3, v[0:1], off
	s_waitcnt vmcnt(0)
	v_cvt_f64_i32_e32 v[6:7], v3
.LBB23_1081:
	s_mov_b64 s[0:1], 0
.LBB23_1082:
	s_andn2_b64 vcc, exec, s[0:1]
	s_cbranch_vccnz .LBB23_1084
; %bb.1083:
	global_load_sshort v3, v[0:1], off
	s_waitcnt vmcnt(0)
	v_cvt_f64_i32_e32 v[6:7], v3
.LBB23_1084:
	s_mov_b64 s[0:1], 0
.LBB23_1085:
	s_andn2_b64 vcc, exec, s[0:1]
	s_cbranch_vccnz .LBB23_1091
; %bb.1086:
	v_mov_b32_e32 v3, 0
	v_cmp_gt_i16_sdwa s[0:1], v11, v3 src0_sel:BYTE_0 src1_sel:DWORD
	s_and_b64 vcc, exec, s[0:1]
	s_cbranch_vccz .LBB23_1088
; %bb.1087:
	global_load_sbyte v3, v[0:1], off
	s_mov_b64 s[0:1], 0
	s_waitcnt vmcnt(0)
	v_cvt_f64_i32_e32 v[6:7], v3
	s_branch .LBB23_1089
.LBB23_1088:
	s_mov_b64 s[0:1], -1
                                        ; implicit-def: $vgpr6_vgpr7
.LBB23_1089:
	s_andn2_b64 vcc, exec, s[0:1]
	s_cbranch_vccnz .LBB23_1091
; %bb.1090:
	global_load_ubyte v0, v[0:1], off
	s_waitcnt vmcnt(0)
	v_cvt_f64_u32_e32 v[6:7], v0
.LBB23_1091:
	s_mov_b64 s[0:1], -1
.LBB23_1092:
	s_andn2_b64 vcc, exec, s[0:1]
	s_cbranch_vccnz .LBB23_1112
; %bb.1093:
	s_waitcnt vmcnt(0)
	v_trunc_f64_e32 v[0:1], v[6:7]
	s_movk_i32 s0, 0xffe0
	v_ldexp_f64 v[6:7], v[0:1], s0
	v_floor_f64_e32 v[8:9], v[6:7]
	v_fmac_f64_e32 v[0:1], 0xc1f00000, v[8:9]
	v_cvt_i32_f64_e32 v7, v[8:9]
	v_cvt_u32_f64_e32 v6, v[0:1]
	v_cmp_lt_i64_e32 vcc, -1, v[6:7]
	v_pk_mov_b32 v[0:1], 0, 0
	s_and_saveexec_b64 s[0:1], vcc
	s_cbranch_execz .LBB23_1105
; %bb.1094:
	v_mov_b32_e32 v0, 0
	v_cmp_lt_i64_e32 vcc, 0, v[6:7]
	v_mov_b32_e32 v1, 0x3ff00000
	s_and_saveexec_b64 s[58:59], vcc
	s_cbranch_execz .LBB23_1104
; %bb.1095:
	v_cmp_ne_u64_e32 vcc, 1, v[6:7]
                                        ; implicit-def: $vgpr0_vgpr1
	s_and_saveexec_b64 s[60:61], vcc
	s_xor_b64 s[60:61], exec, s[60:61]
	s_cbranch_execz .LBB23_1101
; %bb.1096:
	s_mov_b64 s[62:63], 0x201
	v_mov_b32_e32 v0, 0
	v_cmp_gt_u64_e32 vcc, s[62:63], v[6:7]
	v_mov_b32_e32 v1, 0x7ff80000
	s_and_saveexec_b64 s[62:63], vcc
	s_cbranch_execz .LBB23_1100
; %bb.1097:
	v_mov_b32_e32 v8, 0
	s_mov_b64 s[66:67], 1
	s_mov_b64 s[64:65], 0
	v_mov_b32_e32 v9, 0x3ff00000
	v_pk_mov_b32 v[0:1], v[4:5], v[4:5] op_sel:[0,1]
.LBB23_1098:                            ; =>This Inner Loop Header: Depth=1
	v_cvt_f64_u32_e32 v[16:17], s67
	v_cvt_f64_u32_e32 v[18:19], s66
	s_add_u32 s66, s66, 1
	v_ldexp_f64 v[16:17], v[16:17], 32
	s_addc_u32 s67, s67, 0
	v_add_f64 v[16:17], v[16:17], v[18:19]
	v_cmp_eq_u64_e32 vcc, s[66:67], v[6:7]
	v_mul_f64 v[16:17], v[8:9], v[16:17]
	s_or_b64 s[64:65], vcc, s[64:65]
	v_pk_mov_b32 v[8:9], v[0:1], v[0:1] op_sel:[0,1]
	v_fma_f64 v[0:1], v[4:5], v[0:1], -v[16:17]
	s_andn2_b64 exec, exec, s[64:65]
	s_cbranch_execnz .LBB23_1098
; %bb.1099:
	s_or_b64 exec, exec, s[64:65]
.LBB23_1100:
	s_or_b64 exec, exec, s[62:63]
                                        ; implicit-def: $vgpr4_vgpr5
.LBB23_1101:
	s_andn2_saveexec_b64 s[60:61], s[60:61]
; %bb.1102:
	v_pk_mov_b32 v[0:1], v[4:5], v[4:5] op_sel:[0,1]
; %bb.1103:
	s_or_b64 exec, exec, s[60:61]
.LBB23_1104:
	s_or_b64 exec, exec, s[58:59]
.LBB23_1105:
	s_or_b64 exec, exec, s[0:1]
	v_mov_b32_e32 v3, s9
	v_add_co_u32_e32 v4, vcc, s8, v2
	v_mov_b32_e32 v2, 11
	v_addc_co_u32_e32 v5, vcc, 0, v3, vcc
	v_cmp_lt_i16_sdwa s[0:1], v10, v2 src0_sel:BYTE_0 src1_sel:DWORD
	s_and_b64 vcc, exec, s[0:1]
	s_cbranch_vccnz .LBB23_1113
; %bb.1106:
	v_mov_b32_e32 v2, 25
	v_cmp_gt_i16_sdwa s[0:1], v10, v2 src0_sel:BYTE_0 src1_sel:DWORD
	s_and_b64 vcc, exec, s[0:1]
	s_cbranch_vccz .LBB23_1114
; %bb.1107:
	v_mov_b32_e32 v2, 28
	v_cmp_gt_i16_sdwa s[0:1], v10, v2 src0_sel:BYTE_0 src1_sel:DWORD
	s_and_b64 vcc, exec, s[0:1]
	s_cbranch_vccz .LBB23_1115
	;; [unrolled: 5-line block ×4, first 2 shown]
; %bb.1110:
	v_mov_b32_e32 v2, 46
	v_cmp_eq_u16_sdwa s[58:59], v10, v2 src0_sel:BYTE_0 src1_sel:DWORD
	s_mov_b64 s[60:61], 0
	s_mov_b64 s[0:1], -1
	s_and_b64 vcc, exec, s[58:59]
	s_mov_b64 s[58:59], 0
	s_cbranch_vccz .LBB23_1118
; %bb.1111:
	v_cvt_f32_f64_e32 v2, v[0:1]
	v_bfe_u32 v3, v2, 16, 1
	s_movk_i32 s0, 0x7fff
	v_add3_u32 v3, v2, v3, s0
	v_lshrrev_b32_e32 v3, 16, v3
	v_mov_b32_e32 v6, 0x7fc0
	v_cmp_o_f32_e32 vcc, v2, v2
	v_cndmask_b32_e32 v2, v6, v3, vcc
	global_store_dword v[4:5], v2, off
	s_mov_b64 s[58:59], -1
	s_mov_b64 s[0:1], 0
	s_branch .LBB23_1118
.LBB23_1112:
	s_mov_b64 s[60:61], 0
                                        ; implicit-def: $vgpr14
	s_mov_b64 s[0:1], s[48:49]
	s_branch .LBB23_1228
.LBB23_1113:
	s_mov_b64 s[60:61], -1
	s_mov_b64 s[58:59], 0
	s_mov_b64 s[0:1], s[48:49]
	s_branch .LBB23_1187
.LBB23_1114:
	s_mov_b64 s[60:61], -1
	s_mov_b64 s[58:59], 0
	s_mov_b64 s[0:1], s[48:49]
	s_branch .LBB23_1145
.LBB23_1115:
	s_mov_b64 s[60:61], -1
	s_mov_b64 s[58:59], 0
	s_mov_b64 s[0:1], s[48:49]
	s_branch .LBB23_1128
.LBB23_1116:
	s_mov_b64 s[60:61], -1
	s_mov_b64 s[58:59], 0
	s_mov_b64 s[0:1], s[48:49]
	s_branch .LBB23_1124
.LBB23_1117:
	s_mov_b64 s[60:61], -1
	s_mov_b64 s[58:59], 0
	s_mov_b64 s[0:1], s[48:49]
.LBB23_1118:
	s_and_b64 vcc, exec, s[60:61]
	s_cbranch_vccz .LBB23_1123
; %bb.1119:
	v_mov_b32_e32 v2, 44
	v_cmp_eq_u16_sdwa s[60:61], v10, v2 src0_sel:BYTE_0 src1_sel:DWORD
	s_mov_b64 s[0:1], -1
	s_and_b64 vcc, exec, s[60:61]
	s_cbranch_vccz .LBB23_1123
; %bb.1120:
	v_cvt_f32_f64_e32 v2, v[0:1]
	v_bfe_u32 v3, v2, 23, 8
	s_movk_i32 s0, 0xff
	v_cmp_ne_u32_e32 vcc, s0, v3
	v_mov_b32_e32 v6, 0xff
	s_and_saveexec_b64 s[58:59], vcc
; %bb.1121:
	s_mov_b32 s0, 0x3fffff
	v_lshrrev_b32_e32 v6, 23, v2
	v_and_b32_e32 v7, 0x400000, v2
	v_and_or_b32 v2, v2, s0, v3
	v_cmp_ne_u32_e32 vcc, 0, v7
	v_cmp_ne_u32_e64 s[0:1], 0, v2
	s_and_b64 s[0:1], vcc, s[0:1]
	v_cndmask_b32_e64 v2, 0, 1, s[0:1]
	v_add_u32_e32 v6, v6, v2
; %bb.1122:
	s_or_b64 exec, exec, s[58:59]
	s_mov_b64 s[58:59], -1
	s_mov_b64 s[0:1], 0
	global_store_byte v[4:5], v6, off
.LBB23_1123:
	s_mov_b64 s[60:61], 0
.LBB23_1124:
	s_and_b64 vcc, exec, s[60:61]
	s_cbranch_vccz .LBB23_1127
; %bb.1125:
	v_mov_b32_e32 v2, 29
	v_cmp_eq_u16_sdwa s[60:61], v10, v2 src0_sel:BYTE_0 src1_sel:DWORD
	s_mov_b64 s[0:1], -1
	s_and_b64 vcc, exec, s[60:61]
	s_cbranch_vccz .LBB23_1127
; %bb.1126:
	v_trunc_f64_e32 v[2:3], v[0:1]
	s_movk_i32 s0, 0xffe0
	v_ldexp_f64 v[6:7], v[2:3], s0
	v_floor_f64_e32 v[6:7], v[6:7]
	v_fmac_f64_e32 v[2:3], 0xc1f00000, v[6:7]
	v_cvt_u32_f64_e32 v9, v[6:7]
	v_cvt_u32_f64_e32 v8, v[2:3]
	global_store_dwordx2 v[4:5], v[8:9], off
	s_mov_b64 s[58:59], -1
	s_mov_b64 s[0:1], 0
.LBB23_1127:
	s_mov_b64 s[60:61], 0
.LBB23_1128:
	s_and_b64 vcc, exec, s[60:61]
	s_cbranch_vccz .LBB23_1144
; %bb.1129:
	v_mov_b32_e32 v2, 27
	v_cmp_lt_i16_sdwa s[60:61], v10, v2 src0_sel:BYTE_0 src1_sel:DWORD
	s_mov_b64 s[58:59], -1
	s_and_b64 vcc, exec, s[60:61]
	s_cbranch_vccnz .LBB23_1135
; %bb.1130:
	v_cmp_gt_i16_sdwa s[60:61], v10, v2 src0_sel:BYTE_0 src1_sel:DWORD
	s_and_b64 vcc, exec, s[60:61]
	s_cbranch_vccz .LBB23_1132
; %bb.1131:
	v_cvt_u32_f64_e32 v2, v[0:1]
	s_mov_b64 s[58:59], 0
	global_store_dword v[4:5], v2, off
.LBB23_1132:
	s_andn2_b64 vcc, exec, s[58:59]
	s_cbranch_vccnz .LBB23_1134
; %bb.1133:
	v_cvt_u32_f64_e32 v2, v[0:1]
	global_store_short v[4:5], v2, off
.LBB23_1134:
	s_mov_b64 s[58:59], 0
.LBB23_1135:
	s_andn2_b64 vcc, exec, s[58:59]
	s_cbranch_vccnz .LBB23_1143
; %bb.1136:
	v_cvt_f32_f64_e32 v2, v[0:1]
	v_and_b32_e32 v3, 0x7fffffff, v2
	s_mov_b32 s58, 0x43800000
	v_cmp_gt_u32_e32 vcc, s58, v3
	v_mov_b32_e32 v6, 0x80
	s_and_saveexec_b64 s[58:59], vcc
	s_cbranch_execz .LBB23_1142
; %bb.1137:
	s_mov_b32 s60, 0x3bffffff
	v_cmp_lt_u32_e32 vcc, s60, v3
	s_mov_b64 s[60:61], 0
                                        ; implicit-def: $vgpr3
	s_and_saveexec_b64 s[62:63], vcc
	s_xor_b64 s[62:63], exec, s[62:63]
	s_cbranch_execz .LBB23_1255
; %bb.1138:
	v_bfe_u32 v3, v2, 20, 1
	s_mov_b32 s64, 0x487ffff
	v_add3_u32 v3, v2, v3, s64
	s_mov_b64 s[60:61], exec
	v_lshrrev_b32_e32 v3, 20, v3
	s_or_saveexec_b64 s[62:63], s[62:63]
                                        ; implicit-def: $sgpr64
	s_xor_b64 exec, exec, s[62:63]
	s_cbranch_execnz .LBB23_1256
.LBB23_1139:
	s_or_b64 exec, exec, s[62:63]
	v_mov_b32_e32 v6, s64
	s_and_saveexec_b64 s[62:63], s[60:61]
.LBB23_1140:
	v_lshrrev_b32_e32 v2, 24, v2
	s_movk_i32 s60, 0x80
	v_and_or_b32 v6, v2, s60, v3
.LBB23_1141:
	s_or_b64 exec, exec, s[62:63]
.LBB23_1142:
	s_or_b64 exec, exec, s[58:59]
	global_store_byte v[4:5], v6, off
.LBB23_1143:
	s_mov_b64 s[58:59], -1
.LBB23_1144:
	s_mov_b64 s[60:61], 0
.LBB23_1145:
	s_and_b64 vcc, exec, s[60:61]
	s_cbranch_vccz .LBB23_1186
; %bb.1146:
	v_mov_b32_e32 v2, 22
	v_cmp_gt_i16_sdwa s[62:63], v10, v2 src0_sel:BYTE_0 src1_sel:DWORD
	s_mov_b64 s[60:61], -1
	s_and_b64 vcc, exec, s[62:63]
	s_cbranch_vccz .LBB23_1178
; %bb.1147:
	v_mov_b32_e32 v2, 24
	v_cmp_lt_i16_sdwa s[60:61], v10, v2 src0_sel:BYTE_0 src1_sel:DWORD
	s_mov_b64 s[58:59], -1
	s_and_b64 vcc, exec, s[60:61]
	s_cbranch_vccnz .LBB23_1167
; %bb.1148:
	v_cmp_gt_i16_sdwa s[60:61], v10, v2 src0_sel:BYTE_0 src1_sel:DWORD
	s_and_b64 vcc, exec, s[60:61]
	s_cbranch_vccz .LBB23_1156
; %bb.1149:
	v_cvt_f32_f64_e32 v2, v[0:1]
	v_and_b32_e32 v3, 0x7fffffff, v2
	s_mov_b32 s58, 0x47800000
	v_cmp_gt_u32_e32 vcc, s58, v3
	v_mov_b32_e32 v6, 0x80
	s_and_saveexec_b64 s[58:59], vcc
	s_cbranch_execz .LBB23_1155
; %bb.1150:
	s_mov_b32 s60, 0x37ffffff
	v_cmp_lt_u32_e32 vcc, s60, v3
	s_mov_b64 s[60:61], 0
                                        ; implicit-def: $vgpr3
	s_and_saveexec_b64 s[62:63], vcc
	s_xor_b64 s[62:63], exec, s[62:63]
	s_cbranch_execz .LBB23_2353
; %bb.1151:
	v_bfe_u32 v3, v2, 21, 1
	s_mov_b32 s64, 0x88fffff
	v_add3_u32 v3, v2, v3, s64
	s_mov_b64 s[60:61], exec
	v_lshrrev_b32_e32 v3, 21, v3
	s_or_saveexec_b64 s[62:63], s[62:63]
                                        ; implicit-def: $sgpr64
	s_xor_b64 exec, exec, s[62:63]
	s_cbranch_execnz .LBB23_2354
.LBB23_1152:
	s_or_b64 exec, exec, s[62:63]
	v_mov_b32_e32 v6, s64
	s_and_saveexec_b64 s[62:63], s[60:61]
.LBB23_1153:
	v_lshrrev_b32_e32 v2, 24, v2
	s_movk_i32 s60, 0x80
	v_and_or_b32 v6, v2, s60, v3
.LBB23_1154:
	s_or_b64 exec, exec, s[62:63]
.LBB23_1155:
	s_or_b64 exec, exec, s[58:59]
	s_mov_b64 s[58:59], 0
	global_store_byte v[4:5], v6, off
.LBB23_1156:
	s_and_b64 vcc, exec, s[58:59]
	s_cbranch_vccz .LBB23_1166
; %bb.1157:
	v_cvt_f32_f64_e32 v2, v[0:1]
	v_and_b32_e32 v6, 0x7fffffff, v2
	s_mov_b32 s58, 0x43f00000
	v_cmp_gt_u32_e32 vcc, s58, v6
                                        ; implicit-def: $vgpr3
	s_and_saveexec_b64 s[58:59], vcc
	s_xor_b64 s[58:59], exec, s[58:59]
	s_cbranch_execz .LBB23_1163
; %bb.1158:
	s_mov_b32 s60, 0x3c7fffff
	v_cmp_lt_u32_e32 vcc, s60, v6
                                        ; implicit-def: $vgpr3
	s_and_saveexec_b64 s[60:61], vcc
	s_xor_b64 s[60:61], exec, s[60:61]
; %bb.1159:
	v_bfe_u32 v3, v2, 20, 1
	s_mov_b32 s62, 0x407ffff
	v_add3_u32 v3, v2, v3, s62
	v_lshrrev_b32_e32 v6, 20, v3
	v_and_b32_e32 v3, 0xff00000, v3
	s_mov_b32 s62, 0x7f00000
	v_mov_b32_e32 v7, 0x7e
	v_cmp_ne_u32_e32 vcc, s62, v3
	v_cndmask_b32_e32 v3, v7, v6, vcc
; %bb.1160:
	s_andn2_saveexec_b64 s[60:61], s[60:61]
; %bb.1161:
	s_mov_b32 s62, 0x46800000
	v_add_f32_e64 v3, |v2|, s62
; %bb.1162:
	s_or_b64 exec, exec, s[60:61]
                                        ; implicit-def: $vgpr6
.LBB23_1163:
	s_andn2_saveexec_b64 s[58:59], s[58:59]
; %bb.1164:
	s_mov_b32 s60, 0x7f800000
	v_mov_b32_e32 v3, 0x7e
	v_mov_b32_e32 v7, 0x7f
	v_cmp_lt_u32_e32 vcc, s60, v6
	v_cndmask_b32_e32 v3, v3, v7, vcc
; %bb.1165:
	s_or_b64 exec, exec, s[58:59]
	v_lshrrev_b32_e32 v2, 24, v2
	s_movk_i32 s58, 0x80
	v_and_or_b32 v2, v2, s58, v3
	global_store_byte v[4:5], v2, off
.LBB23_1166:
	s_mov_b64 s[58:59], 0
.LBB23_1167:
	s_andn2_b64 vcc, exec, s[58:59]
	s_cbranch_vccnz .LBB23_1177
; %bb.1168:
	v_cvt_f32_f64_e32 v2, v[0:1]
	v_and_b32_e32 v6, 0x7fffffff, v2
	s_mov_b32 s58, 0x47800000
	v_cmp_gt_u32_e32 vcc, s58, v6
                                        ; implicit-def: $vgpr3
	s_and_saveexec_b64 s[58:59], vcc
	s_xor_b64 s[58:59], exec, s[58:59]
	s_cbranch_execz .LBB23_1174
; %bb.1169:
	s_mov_b32 s60, 0x387fffff
	v_cmp_lt_u32_e32 vcc, s60, v6
                                        ; implicit-def: $vgpr3
	s_and_saveexec_b64 s[60:61], vcc
	s_xor_b64 s[60:61], exec, s[60:61]
; %bb.1170:
	v_bfe_u32 v3, v2, 21, 1
	s_mov_b32 s62, 0x80fffff
	v_add3_u32 v3, v2, v3, s62
	v_lshrrev_b32_e32 v3, 21, v3
; %bb.1171:
	s_andn2_saveexec_b64 s[60:61], s[60:61]
; %bb.1172:
	s_mov_b32 s62, 0x43000000
	v_add_f32_e64 v3, |v2|, s62
; %bb.1173:
	s_or_b64 exec, exec, s[60:61]
                                        ; implicit-def: $vgpr6
.LBB23_1174:
	s_andn2_saveexec_b64 s[58:59], s[58:59]
; %bb.1175:
	s_mov_b32 s60, 0x7f800000
	v_mov_b32_e32 v3, 0x7c
	v_mov_b32_e32 v7, 0x7f
	v_cmp_lt_u32_e32 vcc, s60, v6
	v_cndmask_b32_e32 v3, v3, v7, vcc
; %bb.1176:
	s_or_b64 exec, exec, s[58:59]
	v_lshrrev_b32_e32 v2, 24, v2
	s_movk_i32 s58, 0x80
	v_and_or_b32 v2, v2, s58, v3
	global_store_byte v[4:5], v2, off
.LBB23_1177:
	s_mov_b64 s[60:61], 0
	s_mov_b64 s[58:59], -1
.LBB23_1178:
	s_andn2_b64 vcc, exec, s[60:61]
	s_cbranch_vccnz .LBB23_1186
; %bb.1179:
	v_mov_b32_e32 v2, 14
	v_cmp_gt_i16_sdwa s[62:63], v10, v2 src0_sel:BYTE_0 src1_sel:DWORD
	s_mov_b64 s[60:61], -1
	s_and_b64 vcc, exec, s[62:63]
	s_cbranch_vccz .LBB23_1183
; %bb.1180:
	v_mov_b32_e32 v2, 15
	v_cmp_eq_u16_sdwa s[60:61], v10, v2 src0_sel:BYTE_0 src1_sel:DWORD
	s_mov_b64 s[0:1], -1
	s_and_b64 vcc, exec, s[60:61]
	s_cbranch_vccz .LBB23_1182
; %bb.1181:
	v_cvt_f32_f64_e32 v2, v[0:1]
	v_bfe_u32 v3, v2, 16, 1
	s_movk_i32 s0, 0x7fff
	v_add3_u32 v3, v2, v3, s0
	v_lshrrev_b32_e32 v3, 16, v3
	v_mov_b32_e32 v6, 0x7fc0
	v_cmp_o_f32_e32 vcc, v2, v2
	v_cndmask_b32_e32 v2, v6, v3, vcc
	global_store_short v[4:5], v2, off
	s_mov_b64 s[58:59], -1
	s_mov_b64 s[0:1], 0
.LBB23_1182:
	s_mov_b64 s[60:61], 0
.LBB23_1183:
	s_and_b64 vcc, exec, s[60:61]
	s_cbranch_vccz .LBB23_1186
; %bb.1184:
	v_mov_b32_e32 v2, 11
	v_cmp_eq_u16_sdwa s[60:61], v10, v2 src0_sel:BYTE_0 src1_sel:DWORD
	s_mov_b64 s[0:1], -1
	s_and_b64 vcc, exec, s[60:61]
	s_cbranch_vccz .LBB23_1186
; %bb.1185:
	v_cmp_neq_f64_e32 vcc, 0, v[0:1]
	s_mov_b64 s[0:1], 0
	v_cndmask_b32_e64 v2, 0, 1, vcc
	s_mov_b64 s[58:59], -1
	global_store_byte v[4:5], v2, off
.LBB23_1186:
	s_mov_b64 s[60:61], 0
.LBB23_1187:
	s_and_b64 vcc, exec, s[60:61]
	s_cbranch_vccz .LBB23_1226
; %bb.1188:
	v_mov_b32_e32 v2, 5
	v_cmp_lt_i16_sdwa s[60:61], v10, v2 src0_sel:BYTE_0 src1_sel:DWORD
	s_mov_b64 s[58:59], -1
	s_and_b64 vcc, exec, s[60:61]
	s_cbranch_vccnz .LBB23_1209
; %bb.1189:
	v_mov_b32_e32 v2, 8
	v_cmp_lt_i16_sdwa s[60:61], v10, v2 src0_sel:BYTE_0 src1_sel:DWORD
	s_and_b64 vcc, exec, s[60:61]
	s_cbranch_vccnz .LBB23_1199
; %bb.1190:
	v_mov_b32_e32 v2, 9
	v_cmp_lt_i16_sdwa s[60:61], v10, v2 src0_sel:BYTE_0 src1_sel:DWORD
	s_and_b64 vcc, exec, s[60:61]
	s_cbranch_vccnz .LBB23_1196
; %bb.1191:
	v_cmp_gt_i16_sdwa s[60:61], v10, v2 src0_sel:BYTE_0 src1_sel:DWORD
	s_and_b64 vcc, exec, s[60:61]
	s_cbranch_vccz .LBB23_1193
; %bb.1192:
	v_mov_b32_e32 v2, 0
	v_mov_b32_e32 v3, v2
	s_mov_b64 s[58:59], 0
	global_store_dwordx4 v[4:5], v[0:3], off
.LBB23_1193:
	s_andn2_b64 vcc, exec, s[58:59]
	s_cbranch_vccnz .LBB23_1195
; %bb.1194:
	v_cvt_f32_f64_e32 v2, v[0:1]
	v_mov_b32_e32 v3, 0
	global_store_dwordx2 v[4:5], v[2:3], off
.LBB23_1195:
	s_mov_b64 s[58:59], 0
.LBB23_1196:
	s_andn2_b64 vcc, exec, s[58:59]
	s_cbranch_vccnz .LBB23_1198
; %bb.1197:
	v_cvt_f32_f64_e32 v2, v[0:1]
	v_cvt_f16_f32_e32 v2, v2
	global_store_dword v[4:5], v2, off
.LBB23_1198:
	s_mov_b64 s[58:59], 0
.LBB23_1199:
	s_andn2_b64 vcc, exec, s[58:59]
	s_cbranch_vccnz .LBB23_1208
; %bb.1200:
	v_mov_b32_e32 v2, 6
	v_cmp_lt_i16_sdwa s[60:61], v10, v2 src0_sel:BYTE_0 src1_sel:DWORD
	s_mov_b64 s[58:59], -1
	s_and_b64 vcc, exec, s[60:61]
	s_cbranch_vccnz .LBB23_1206
; %bb.1201:
	v_cmp_gt_i16_sdwa s[60:61], v10, v2 src0_sel:BYTE_0 src1_sel:DWORD
	s_and_b64 vcc, exec, s[60:61]
	s_cbranch_vccz .LBB23_1203
; %bb.1202:
	s_mov_b64 s[58:59], 0
	global_store_dwordx2 v[4:5], v[0:1], off
.LBB23_1203:
	s_andn2_b64 vcc, exec, s[58:59]
	s_cbranch_vccnz .LBB23_1205
; %bb.1204:
	v_cvt_f32_f64_e32 v2, v[0:1]
	global_store_dword v[4:5], v2, off
.LBB23_1205:
	s_mov_b64 s[58:59], 0
.LBB23_1206:
	s_andn2_b64 vcc, exec, s[58:59]
	s_cbranch_vccnz .LBB23_1208
; %bb.1207:
	v_cvt_f32_f64_e32 v2, v[0:1]
	v_cvt_f16_f32_e32 v2, v2
	global_store_short v[4:5], v2, off
.LBB23_1208:
	s_mov_b64 s[58:59], 0
.LBB23_1209:
	s_andn2_b64 vcc, exec, s[58:59]
	s_cbranch_vccnz .LBB23_1225
; %bb.1210:
	v_mov_b32_e32 v2, 2
	v_cmp_lt_i16_sdwa s[60:61], v10, v2 src0_sel:BYTE_0 src1_sel:DWORD
	s_mov_b64 s[58:59], -1
	s_and_b64 vcc, exec, s[60:61]
	s_cbranch_vccnz .LBB23_1220
; %bb.1211:
	v_mov_b32_e32 v2, 3
	v_cmp_lt_i16_sdwa s[60:61], v10, v2 src0_sel:BYTE_0 src1_sel:DWORD
	s_and_b64 vcc, exec, s[60:61]
	s_cbranch_vccnz .LBB23_1217
; %bb.1212:
	v_cmp_gt_i16_sdwa s[60:61], v10, v2 src0_sel:BYTE_0 src1_sel:DWORD
	s_and_b64 vcc, exec, s[60:61]
	s_cbranch_vccz .LBB23_1214
; %bb.1213:
	v_trunc_f64_e32 v[2:3], v[0:1]
	s_movk_i32 s58, 0xffe0
	v_ldexp_f64 v[6:7], v[2:3], s58
	v_floor_f64_e32 v[6:7], v[6:7]
	v_fmac_f64_e32 v[2:3], 0xc1f00000, v[6:7]
	v_cvt_i32_f64_e32 v9, v[6:7]
	v_cvt_u32_f64_e32 v8, v[2:3]
	s_mov_b64 s[58:59], 0
	global_store_dwordx2 v[4:5], v[8:9], off
.LBB23_1214:
	s_andn2_b64 vcc, exec, s[58:59]
	s_cbranch_vccnz .LBB23_1216
; %bb.1215:
	v_cvt_i32_f64_e32 v2, v[0:1]
	global_store_dword v[4:5], v2, off
.LBB23_1216:
	s_mov_b64 s[58:59], 0
.LBB23_1217:
	s_andn2_b64 vcc, exec, s[58:59]
	s_cbranch_vccnz .LBB23_1219
; %bb.1218:
	v_cvt_i32_f64_e32 v2, v[0:1]
	global_store_short v[4:5], v2, off
.LBB23_1219:
	s_mov_b64 s[58:59], 0
.LBB23_1220:
	s_andn2_b64 vcc, exec, s[58:59]
	s_cbranch_vccnz .LBB23_1225
; %bb.1221:
	v_mov_b32_e32 v2, 0
	v_cmp_gt_i16_sdwa s[60:61], v10, v2 src0_sel:BYTE_0 src1_sel:DWORD
	s_mov_b64 s[58:59], -1
	s_and_b64 vcc, exec, s[60:61]
	s_cbranch_vccz .LBB23_1223
; %bb.1222:
	v_cvt_i32_f64_e32 v2, v[0:1]
	s_mov_b64 s[58:59], 0
	global_store_byte v[4:5], v2, off
.LBB23_1223:
	s_andn2_b64 vcc, exec, s[58:59]
	s_cbranch_vccnz .LBB23_1225
; %bb.1224:
	v_trunc_f64_e32 v[0:1], v[0:1]
	s_movk_i32 s58, 0xffe0
	v_ldexp_f64 v[2:3], v[0:1], s58
	v_floor_f64_e32 v[2:3], v[2:3]
	v_fmac_f64_e32 v[0:1], 0xc1f00000, v[2:3]
	v_cvt_u32_f64_e32 v0, v[0:1]
	global_store_byte v[4:5], v0, off
.LBB23_1225:
	s_mov_b64 s[58:59], -1
.LBB23_1226:
	s_andn2_b64 vcc, exec, s[58:59]
	s_cbranch_vccnz .LBB23_1250
; %bb.1227:
	v_add_u32_e32 v14, 0x80, v14
	s_mov_b64 s[60:61], -1
.LBB23_1228:
	s_andn2_b64 s[58:59], s[48:49], exec
	s_and_b64 s[0:1], s[0:1], exec
	s_or_b64 s[58:59], s[58:59], s[0:1]
	s_andn2_b64 s[0:1], s[46:47], exec
	s_and_b64 s[56:57], s[56:57], exec
	s_or_b64 s[56:57], s[0:1], s[56:57]
	;; [unrolled: 3-line block ×3, first 2 shown]
	s_orn2_b64 s[64:65], s[60:61], exec
.LBB23_1229:
	s_or_b64 exec, exec, s[52:53]
	s_mov_b64 s[60:61], 0
	s_mov_b64 s[54:55], 0
	;; [unrolled: 1-line block ×3, first 2 shown]
                                        ; implicit-def: $vgpr1
                                        ; implicit-def: $vgpr6_vgpr7
                                        ; implicit-def: $vgpr0
                                        ; implicit-def: $vgpr2
                                        ; implicit-def: $vgpr4_vgpr5
	s_and_saveexec_b64 s[52:53], s[64:65]
	s_cbranch_execz .LBB23_1323
; %bb.1230:
	v_cmp_gt_i32_e32 vcc, s70, v14
	s_mov_b64 s[64:65], s[0:1]
	s_mov_b64 s[66:67], 0
                                        ; implicit-def: $vgpr1
                                        ; implicit-def: $vgpr6_vgpr7
                                        ; implicit-def: $vgpr0
                                        ; implicit-def: $vgpr2
                                        ; implicit-def: $vgpr4_vgpr5
	s_and_saveexec_b64 s[54:55], vcc
	s_cbranch_execz .LBB23_1322
; %bb.1231:
	s_andn2_b64 vcc, exec, s[20:21]
	s_cbranch_vccnz .LBB23_1238
; %bb.1232:
	s_andn2_b64 vcc, exec, s[34:35]
	v_mov_b32_e32 v0, 0
	s_waitcnt vmcnt(0)
	v_mov_b32_e32 v4, 0
	v_mov_b32_e32 v2, 0
	s_cbranch_vccnz .LBB23_1237
; %bb.1233:
	s_add_i32 s34, s69, 1
	s_and_b32 s60, s34, 30
	s_add_u32 s34, s2, 0xffffffec
	s_addc_u32 s35, s3, -1
	v_mov_b32_e32 v2, 0
	v_mov_b32_e32 v1, v14
	;; [unrolled: 1-line block ×4, first 2 shown]
.LBB23_1234:                            ; =>This Inner Loop Header: Depth=1
	s_mov_b64 s[62:63], s[34:35]
	s_load_dwordx4 s[64:67], s[62:63], 0x18
	s_load_dwordx2 s[70:71], s[62:63], 0x28
	s_load_dwordx2 s[76:77], s[62:63], 0xe8
	s_load_dwordx4 s[72:75], s[62:63], 0xd8
	s_add_u32 s34, s62, 24
	s_waitcnt lgkmcnt(0)
	v_mul_hi_u32 v3, s65, v1
	v_add_u32_e32 v3, v1, v3
	v_lshrrev_b32_e32 v3, s66, v3
	v_mul_lo_u32 v5, v3, s64
	v_mul_hi_u32 v6, s70, v3
	v_sub_u32_e32 v1, v1, v5
	v_add_u32_e32 v5, v3, v6
	v_mul_lo_u32 v6, v1, s72
	v_mul_lo_u32 v7, v1, s73
	;; [unrolled: 1-line block ×3, first 2 shown]
	v_lshrrev_b32_e32 v1, s71, v5
	v_mul_lo_u32 v5, v1, s67
	v_sub_u32_e32 v3, v3, v5
	s_addc_u32 s35, s63, 0
	s_add_i32 s60, s60, -2
	v_mul_lo_u32 v5, v3, s75
	v_mul_lo_u32 v9, v3, s76
	;; [unrolled: 1-line block ×3, first 2 shown]
	s_cmp_eq_u32 s60, 0
	v_add3_u32 v2, v6, v2, v5
	v_add3_u32 v0, v8, v0, v3
	;; [unrolled: 1-line block ×3, first 2 shown]
	s_cbranch_scc0 .LBB23_1234
; %bb.1235:
	s_bitcmp1_b32 s69, 0
	s_cselect_b64 s[60:61], -1, 0
	s_and_b64 vcc, exec, s[60:61]
	s_cbranch_vccnz .LBB23_1237
; %bb.1236:
	s_load_dwordx2 s[60:61], s[34:35], 0x18
	s_load_dword s62, s[34:35], 0x20
	s_load_dword s63, s[34:35], 0xe0
	s_nop 0
	s_load_dwordx2 s[34:35], s[34:35], 0xd8
	s_waitcnt lgkmcnt(0)
	v_mul_hi_u32 v3, s61, v1
	v_add_u32_e32 v3, v1, v3
	v_lshrrev_b32_e32 v3, s62, v3
	v_mul_lo_u32 v3, v3, s60
	v_sub_u32_e32 v1, v1, v3
	v_mad_u64_u32 v[2:3], s[60:61], v1, s34, v[2:3]
	v_mad_u64_u32 v[4:5], s[34:35], v1, s35, v[4:5]
	;; [unrolled: 1-line block ×3, first 2 shown]
.LBB23_1237:
	s_mov_b64 s[34:35], 0
	s_branch .LBB23_1239
.LBB23_1238:
	s_mov_b64 s[34:35], -1
                                        ; implicit-def: $vgpr0
                                        ; implicit-def: $vgpr4
                                        ; implicit-def: $vgpr2
.LBB23_1239:
	s_andn2_b64 vcc, exec, s[34:35]
	s_cbranch_vccnz .LBB23_1242
; %bb.1240:
	s_waitcnt lgkmcnt(0)
	v_mul_hi_u32 v0, s17, v14
	v_add_u32_e32 v0, v14, v0
	v_lshrrev_b32_e32 v1, s18, v0
	v_mul_lo_u32 v0, v1, s16
	v_sub_u32_e32 v3, v14, v0
	v_mul_lo_u32 v2, v3, s12
	v_mul_lo_u32 v0, v3, s14
	s_andn2_b64 vcc, exec, s[30:31]
	s_waitcnt vmcnt(0)
	v_mul_lo_u32 v4, v3, s13
	s_cbranch_vccnz .LBB23_1242
; %bb.1241:
	v_mul_hi_u32 v3, s28, v1
	v_add_u32_e32 v3, v1, v3
	v_lshrrev_b32_e32 v3, s29, v3
	v_mul_lo_u32 v3, v3, s19
	v_sub_u32_e32 v1, v1, v3
	v_mad_u64_u32 v[2:3], s[12:13], v1, s15, v[2:3]
	v_mad_u64_u32 v[4:5], s[12:13], v1, s26, v[4:5]
	;; [unrolled: 1-line block ×3, first 2 shown]
.LBB23_1242:
	s_waitcnt lgkmcnt(0)
	v_mov_b32_e32 v1, s11
	s_waitcnt vmcnt(0)
	v_add_co_u32_e32 v6, vcc, s10, v4
	v_addc_co_u32_e32 v7, vcc, 0, v1, vcc
	v_and_b32_e32 v1, 0xff, v12
	v_cmp_gt_i16_e32 vcc, 11, v1
	s_cbranch_vccnz .LBB23_1249
; %bb.1243:
	v_cmp_lt_i16_e32 vcc, 25, v1
	s_mov_b64 s[12:13], 0
	s_cbranch_vccz .LBB23_1251
; %bb.1244:
	v_cmp_lt_i16_e32 vcc, 28, v1
	s_cbranch_vccz .LBB23_1252
; %bb.1245:
	v_cmp_lt_i16_e32 vcc, 43, v1
	;; [unrolled: 3-line block ×3, first 2 shown]
	s_cbranch_vccz .LBB23_1254
; %bb.1247:
	v_cmp_eq_u16_e32 vcc, 46, v1
	s_mov_b64 s[16:17], 0
	s_cbranch_vccz .LBB23_1257
; %bb.1248:
	global_load_dword v3, v[6:7], off
	s_mov_b64 s[10:11], 0
	s_mov_b64 s[14:15], -1
	s_waitcnt vmcnt(0)
	v_lshlrev_b32_e32 v3, 16, v3
	v_cvt_f64_f32_e32 v[4:5], v3
	s_branch .LBB23_1258
.LBB23_1249:
	s_mov_b64 s[16:17], -1
	s_mov_b64 s[14:15], 0
	s_mov_b64 s[12:13], 0
	s_mov_b64 s[10:11], s[0:1]
                                        ; implicit-def: $vgpr4_vgpr5
	s_branch .LBB23_1321
.LBB23_1250:
	s_mov_b64 s[60:61], 0
	s_branch .LBB23_969
.LBB23_1251:
	s_mov_b64 s[16:17], -1
	s_mov_b64 s[14:15], 0
	s_mov_b64 s[10:11], s[0:1]
                                        ; implicit-def: $vgpr4_vgpr5
	s_branch .LBB23_1287
.LBB23_1252:
	s_mov_b64 s[16:17], -1
	s_mov_b64 s[14:15], 0
	s_mov_b64 s[10:11], s[0:1]
                                        ; implicit-def: $vgpr4_vgpr5
	s_branch .LBB23_1268
.LBB23_1253:
	s_mov_b64 s[16:17], -1
	s_mov_b64 s[14:15], 0
	s_mov_b64 s[10:11], s[0:1]
                                        ; implicit-def: $vgpr4_vgpr5
	s_branch .LBB23_1263
.LBB23_1254:
	s_mov_b64 s[16:17], -1
	s_mov_b64 s[14:15], 0
	s_mov_b64 s[10:11], s[0:1]
                                        ; implicit-def: $vgpr4_vgpr5
	s_branch .LBB23_1258
.LBB23_1255:
	s_or_saveexec_b64 s[62:63], s[62:63]
                                        ; implicit-def: $sgpr64
	s_xor_b64 exec, exec, s[62:63]
	s_cbranch_execz .LBB23_1139
.LBB23_1256:
	s_mov_b32 s64, 0x46000000
	v_add_f32_e64 v3, |v2|, s64
	v_and_b32_e32 v3, 0xff, v3
	v_cmp_ne_u32_e32 vcc, 0, v3
	s_andn2_b64 s[60:61], s[60:61], exec
	s_and_b64 s[66:67], vcc, exec
	s_mov_b32 s64, 0
	s_or_b64 s[60:61], s[60:61], s[66:67]
	s_or_b64 exec, exec, s[62:63]
	v_mov_b32_e32 v6, s64
	s_and_saveexec_b64 s[62:63], s[60:61]
	s_cbranch_execnz .LBB23_1140
	s_branch .LBB23_1141
.LBB23_1257:
	s_mov_b64 s[10:11], -1
                                        ; implicit-def: $vgpr4_vgpr5
	s_mov_b64 s[14:15], 0
.LBB23_1258:
	s_and_b64 vcc, exec, s[16:17]
	s_cbranch_vccz .LBB23_1262
; %bb.1259:
	v_cmp_eq_u16_e32 vcc, 44, v1
	s_cbranch_vccz .LBB23_1261
; %bb.1260:
	global_load_ubyte v3, v[6:7], off
	s_movk_i32 s14, 0xff
	v_bfrev_b32_e32 v8, 4
	v_mov_b32_e32 v9, 0x7ff80000
	v_bfrev_b32_e32 v12, 28
	s_mov_b64 s[10:11], 0
	s_waitcnt vmcnt(0)
	v_lshlrev_b32_e32 v4, 23, v3
	v_cvt_f64_f32_e32 v[4:5], v4
	v_cmp_ne_u32_e32 vcc, s14, v3
	v_cndmask_b32_e32 v4, v8, v4, vcc
	v_cndmask_b32_e32 v5, v9, v5, vcc
	v_cmp_ne_u32_e32 vcc, 0, v3
	v_cndmask_b32_e32 v5, v12, v5, vcc
	v_cndmask_b32_e32 v4, 0, v4, vcc
	s_mov_b64 s[14:15], -1
	s_branch .LBB23_1262
.LBB23_1261:
	s_mov_b64 s[10:11], -1
                                        ; implicit-def: $vgpr4_vgpr5
.LBB23_1262:
	s_mov_b64 s[16:17], 0
.LBB23_1263:
	s_and_b64 vcc, exec, s[16:17]
	s_cbranch_vccz .LBB23_1267
; %bb.1264:
	v_cmp_eq_u16_e32 vcc, 29, v1
	s_cbranch_vccz .LBB23_1266
; %bb.1265:
	global_load_dwordx2 v[4:5], v[6:7], off
	s_mov_b64 s[10:11], 0
	s_mov_b64 s[14:15], -1
	s_mov_b64 s[16:17], 0
	s_waitcnt vmcnt(0)
	v_cvt_f64_u32_e32 v[8:9], v5
	v_cvt_f64_u32_e32 v[4:5], v4
	v_ldexp_f64 v[8:9], v[8:9], 32
	v_add_f64 v[4:5], v[8:9], v[4:5]
	s_branch .LBB23_1268
.LBB23_1266:
	s_mov_b64 s[10:11], -1
                                        ; implicit-def: $vgpr4_vgpr5
.LBB23_1267:
	s_mov_b64 s[16:17], 0
.LBB23_1268:
	s_and_b64 vcc, exec, s[16:17]
	s_cbranch_vccz .LBB23_1286
; %bb.1269:
	v_cmp_gt_i16_e32 vcc, 27, v1
	s_cbranch_vccnz .LBB23_1272
; %bb.1270:
	v_cmp_lt_i16_e32 vcc, 27, v1
	s_cbranch_vccz .LBB23_1273
; %bb.1271:
	global_load_dword v3, v[6:7], off
	s_mov_b64 s[14:15], 0
	s_waitcnt vmcnt(0)
	v_cvt_f64_u32_e32 v[4:5], v3
	s_branch .LBB23_1274
.LBB23_1272:
	s_mov_b64 s[14:15], -1
                                        ; implicit-def: $vgpr4_vgpr5
	s_branch .LBB23_1277
.LBB23_1273:
	s_mov_b64 s[14:15], -1
                                        ; implicit-def: $vgpr4_vgpr5
.LBB23_1274:
	s_andn2_b64 vcc, exec, s[14:15]
	s_cbranch_vccnz .LBB23_1276
; %bb.1275:
	global_load_ushort v3, v[6:7], off
	s_waitcnt vmcnt(0)
	v_cvt_f64_u32_e32 v[4:5], v3
.LBB23_1276:
	s_mov_b64 s[14:15], 0
.LBB23_1277:
	s_andn2_b64 vcc, exec, s[14:15]
	s_cbranch_vccnz .LBB23_1285
; %bb.1278:
	global_load_ubyte v3, v[6:7], off
	s_movk_i32 s14, 0x7f
                                        ; implicit-def: $sgpr16_sgpr17
	s_waitcnt vmcnt(0)
	v_cmp_lt_i16_e32 vcc, s14, v3
	s_mov_b64 s[14:15], 0
	s_and_saveexec_b64 s[18:19], vcc
	s_xor_b64 s[18:19], exec, s[18:19]
	s_cbranch_execz .LBB23_1299
; %bb.1279:
	s_movk_i32 s14, 0x80
	v_cmp_eq_u16_e32 vcc, s14, v3
	s_mov_b64 s[26:27], -1
                                        ; implicit-def: $sgpr16_sgpr17
	s_and_saveexec_b64 s[14:15], vcc
; %bb.1280:
	s_mov_b32 s17, 0x7ff80000
	s_brev_b32 s16, 4
	s_xor_b64 s[26:27], exec, -1
; %bb.1281:
	s_or_b64 exec, exec, s[14:15]
	s_and_b64 s[14:15], s[26:27], exec
	s_or_saveexec_b64 s[18:19], s[18:19]
	v_pk_mov_b32 v[4:5], s[16:17], s[16:17] op_sel:[0,1]
	s_xor_b64 exec, exec, s[18:19]
	s_cbranch_execnz .LBB23_1300
.LBB23_1282:
	s_or_b64 exec, exec, s[18:19]
	s_and_saveexec_b64 s[16:17], s[14:15]
	s_cbranch_execz .LBB23_1284
.LBB23_1283:
	v_lshlrev_b32_e32 v4, 24, v3
	v_and_b32_e32 v3, 0xffff, v3
	v_and_b32_e32 v5, 7, v3
	v_ffbh_u32_e32 v9, v5
	v_min_u32_e32 v9, 32, v9
	v_subrev_u32_e32 v12, 28, v9
	v_bfe_u32 v8, v3, 3, 4
	v_lshlrev_b32_e32 v3, v12, v3
	v_sub_u32_e32 v9, 29, v9
	v_and_b32_e32 v3, 7, v3
	v_cmp_eq_u32_e32 vcc, 0, v8
	v_cndmask_b32_e32 v8, v8, v9, vcc
	v_cndmask_b32_e32 v3, v5, v3, vcc
	v_mov_b32_e32 v5, 0x3b800000
	v_lshlrev_b32_e32 v3, 20, v3
	v_and_b32_e32 v4, 0x80000000, v4
	v_lshl_add_u32 v5, v8, 23, v5
	v_or3_b32 v3, v4, v5, v3
	v_cvt_f64_f32_e32 v[4:5], v3
.LBB23_1284:
	s_or_b64 exec, exec, s[16:17]
.LBB23_1285:
	s_mov_b64 s[14:15], -1
.LBB23_1286:
	s_mov_b64 s[16:17], 0
.LBB23_1287:
	s_and_b64 vcc, exec, s[16:17]
	s_cbranch_vccz .LBB23_1320
; %bb.1288:
	v_cmp_lt_i16_e32 vcc, 22, v1
	s_cbranch_vccz .LBB23_1298
; %bb.1289:
	v_cmp_gt_i16_e32 vcc, 24, v1
	s_cbranch_vccnz .LBB23_1301
; %bb.1290:
	v_cmp_lt_i16_e32 vcc, 24, v1
	s_cbranch_vccz .LBB23_1302
; %bb.1291:
	global_load_ubyte v3, v[6:7], off
	s_movk_i32 s12, 0x7f
                                        ; implicit-def: $sgpr14_sgpr15
	s_waitcnt vmcnt(0)
	v_cmp_lt_i16_e32 vcc, s12, v3
	s_mov_b64 s[12:13], 0
	s_and_saveexec_b64 s[16:17], vcc
	s_xor_b64 s[16:17], exec, s[16:17]
	s_cbranch_execz .LBB23_1314
; %bb.1292:
	s_movk_i32 s12, 0x80
	v_cmp_eq_u16_e32 vcc, s12, v3
	s_mov_b64 s[18:19], -1
                                        ; implicit-def: $sgpr14_sgpr15
	s_and_saveexec_b64 s[12:13], vcc
; %bb.1293:
	s_mov_b32 s15, 0x7ff80000
	s_brev_b32 s14, 4
	s_xor_b64 s[18:19], exec, -1
; %bb.1294:
	s_or_b64 exec, exec, s[12:13]
	s_and_b64 s[12:13], s[18:19], exec
	s_or_saveexec_b64 s[16:17], s[16:17]
	v_pk_mov_b32 v[4:5], s[14:15], s[14:15] op_sel:[0,1]
	s_xor_b64 exec, exec, s[16:17]
	s_cbranch_execnz .LBB23_1315
.LBB23_1295:
	s_or_b64 exec, exec, s[16:17]
	s_and_saveexec_b64 s[14:15], s[12:13]
	s_cbranch_execz .LBB23_1297
.LBB23_1296:
	v_lshlrev_b32_e32 v4, 24, v3
	v_and_b32_e32 v3, 0xffff, v3
	v_and_b32_e32 v5, 3, v3
	v_ffbh_u32_e32 v9, v5
	v_min_u32_e32 v9, 32, v9
	v_subrev_u32_e32 v12, 29, v9
	v_bfe_u32 v8, v3, 2, 5
	v_lshlrev_b32_e32 v3, v12, v3
	v_sub_u32_e32 v9, 30, v9
	v_and_b32_e32 v3, 3, v3
	v_cmp_eq_u32_e32 vcc, 0, v8
	v_cndmask_b32_e32 v8, v8, v9, vcc
	v_cndmask_b32_e32 v3, v5, v3, vcc
	v_mov_b32_e32 v5, 0x37800000
	v_lshlrev_b32_e32 v3, 21, v3
	v_and_b32_e32 v4, 0x80000000, v4
	v_lshl_add_u32 v5, v8, 23, v5
	v_or3_b32 v3, v4, v5, v3
	v_cvt_f64_f32_e32 v[4:5], v3
.LBB23_1297:
	s_or_b64 exec, exec, s[14:15]
	s_mov_b64 s[12:13], 0
	s_branch .LBB23_1303
.LBB23_1298:
	s_mov_b64 s[12:13], -1
                                        ; implicit-def: $vgpr4_vgpr5
	s_branch .LBB23_1309
.LBB23_1299:
	s_or_saveexec_b64 s[18:19], s[18:19]
	v_pk_mov_b32 v[4:5], s[16:17], s[16:17] op_sel:[0,1]
	s_xor_b64 exec, exec, s[18:19]
	s_cbranch_execz .LBB23_1282
.LBB23_1300:
	v_cmp_ne_u16_e32 vcc, 0, v3
	s_andn2_b64 s[14:15], s[14:15], exec
	s_and_b64 s[16:17], vcc, exec
	v_pk_mov_b32 v[4:5], 0, 0
	s_or_b64 s[14:15], s[14:15], s[16:17]
	s_or_b64 exec, exec, s[18:19]
	s_and_saveexec_b64 s[16:17], s[14:15]
	s_cbranch_execnz .LBB23_1283
	s_branch .LBB23_1284
.LBB23_1301:
	s_mov_b64 s[12:13], -1
                                        ; implicit-def: $vgpr4_vgpr5
	s_branch .LBB23_1306
.LBB23_1302:
	s_mov_b64 s[12:13], -1
                                        ; implicit-def: $vgpr4_vgpr5
.LBB23_1303:
	s_and_b64 vcc, exec, s[12:13]
	s_cbranch_vccz .LBB23_1305
; %bb.1304:
	global_load_ubyte v3, v[6:7], off
	s_mov_b32 s12, 0x7f800000
	s_waitcnt vmcnt(0)
	v_lshlrev_b32_e32 v3, 24, v3
	v_and_b32_e32 v4, 0x7f000000, v3
	v_ffbh_u32_e32 v5, v4
	v_min_u32_e32 v5, 32, v5
	v_sub_u32_e64 v5, v5, 4 clamp
	v_lshlrev_b32_e32 v9, v5, v4
	v_lshlrev_b32_e32 v5, 23, v5
	v_lshrrev_b32_e32 v9, 4, v9
	v_add_u32_e32 v8, 0x1000000, v4
	v_sub_u32_e32 v5, v9, v5
	v_ashrrev_i32_e32 v8, 8, v8
	v_add_u32_e32 v5, 0x3c000000, v5
	v_and_or_b32 v5, v8, s12, v5
	v_cmp_ne_u32_e32 vcc, 0, v4
	v_cndmask_b32_e32 v4, 0, v5, vcc
	s_brev_b32 s12, 1
	v_and_or_b32 v3, v3, s12, v4
	v_cvt_f64_f32_e32 v[4:5], v3
.LBB23_1305:
	s_mov_b64 s[12:13], 0
.LBB23_1306:
	s_andn2_b64 vcc, exec, s[12:13]
	s_cbranch_vccnz .LBB23_1308
; %bb.1307:
	global_load_ubyte v3, v[6:7], off
	s_movk_i32 s12, 0x7f00
	s_brev_b32 s13, 16
	s_waitcnt vmcnt(0)
	v_lshlrev_b16_e32 v4, 8, v3
	v_lshlrev_b32_e32 v3, 25, v3
	v_lshrrev_b32_e32 v5, 4, v3
	v_and_or_b32 v8, v4, s12, 0.5
	v_or_b32_e32 v5, 0x70000000, v5
	v_add_f32_e32 v8, -0.5, v8
	v_mul_f32_e32 v5, 0x7800000, v5
	v_cmp_gt_u32_e32 vcc, s13, v3
	v_bfe_i32 v4, v4, 0, 16
	v_cndmask_b32_e32 v3, v5, v8, vcc
	s_brev_b32 s12, 1
	v_and_or_b32 v3, v4, s12, v3
	v_cvt_f64_f32_e32 v[4:5], v3
.LBB23_1308:
	s_mov_b64 s[12:13], 0
	s_mov_b64 s[14:15], -1
.LBB23_1309:
	s_andn2_b64 vcc, exec, s[12:13]
	s_mov_b64 s[12:13], 0
	s_cbranch_vccnz .LBB23_1320
; %bb.1310:
	v_cmp_lt_i16_e32 vcc, 14, v1
	s_cbranch_vccz .LBB23_1313
; %bb.1311:
	v_cmp_eq_u16_e32 vcc, 15, v1
	s_cbranch_vccz .LBB23_1316
; %bb.1312:
	global_load_ushort v3, v[6:7], off
	s_mov_b64 s[10:11], 0
	s_mov_b64 s[14:15], -1
	s_waitcnt vmcnt(0)
	v_lshlrev_b32_e32 v3, 16, v3
	v_cvt_f64_f32_e32 v[4:5], v3
	s_branch .LBB23_1317
.LBB23_1313:
	s_mov_b64 s[16:17], -1
                                        ; implicit-def: $vgpr4_vgpr5
	s_branch .LBB23_1318
.LBB23_1314:
	s_or_saveexec_b64 s[16:17], s[16:17]
	v_pk_mov_b32 v[4:5], s[14:15], s[14:15] op_sel:[0,1]
	s_xor_b64 exec, exec, s[16:17]
	s_cbranch_execz .LBB23_1295
.LBB23_1315:
	v_cmp_ne_u16_e32 vcc, 0, v3
	s_andn2_b64 s[12:13], s[12:13], exec
	s_and_b64 s[14:15], vcc, exec
	v_pk_mov_b32 v[4:5], 0, 0
	s_or_b64 s[12:13], s[12:13], s[14:15]
	s_or_b64 exec, exec, s[16:17]
	s_and_saveexec_b64 s[14:15], s[12:13]
	s_cbranch_execnz .LBB23_1296
	s_branch .LBB23_1297
.LBB23_1316:
	s_mov_b64 s[10:11], -1
                                        ; implicit-def: $vgpr4_vgpr5
.LBB23_1317:
	s_mov_b64 s[16:17], 0
.LBB23_1318:
	s_and_b64 vcc, exec, s[16:17]
	s_cbranch_vccz .LBB23_1320
; %bb.1319:
	v_cmp_ne_u16_e32 vcc, 11, v1
	s_andn2_b64 s[10:11], s[10:11], exec
	s_and_b64 s[16:17], vcc, exec
	s_mov_b64 s[12:13], -1
	s_or_b64 s[10:11], s[10:11], s[16:17]
                                        ; implicit-def: $vgpr4_vgpr5
.LBB23_1320:
	s_mov_b64 s[16:17], 0
.LBB23_1321:
	s_and_b64 s[60:61], s[12:13], exec
	s_andn2_b64 s[12:13], s[0:1], exec
	s_and_b64 s[10:11], s[10:11], exec
	s_and_b64 s[62:63], s[14:15], exec
	;; [unrolled: 1-line block ×3, first 2 shown]
	s_or_b64 s[64:65], s[12:13], s[10:11]
.LBB23_1322:
	s_or_b64 exec, exec, s[54:55]
	s_andn2_b64 s[0:1], s[0:1], exec
	s_waitcnt lgkmcnt(0)
	s_and_b64 s[10:11], s[64:65], exec
	s_and_b64 s[62:63], s[62:63], exec
	;; [unrolled: 1-line block ×4, first 2 shown]
	s_or_b64 s[0:1], s[0:1], s[10:11]
.LBB23_1323:
	s_or_b64 exec, exec, s[52:53]
	s_waitcnt lgkmcnt(0)
	s_andn2_b64 s[10:11], s[48:49], exec
	s_and_b64 s[12:13], s[58:59], exec
	s_or_b64 s[48:49], s[10:11], s[12:13]
	s_andn2_b64 s[10:11], s[46:47], exec
	s_and_b64 s[12:13], s[56:57], exec
	s_or_b64 s[46:47], s[10:11], s[12:13]
	s_andn2_b64 s[10:11], s[44:45], exec
	s_and_b64 s[0:1], s[0:1], exec
	s_and_b64 s[56:57], s[62:63], exec
	;; [unrolled: 1-line block ×4, first 2 shown]
	s_or_b64 s[44:45], s[10:11], s[0:1]
.LBB23_1324:
	s_or_b64 exec, exec, s[50:51]
	s_andn2_b64 s[0:1], s[36:37], exec
	s_waitcnt lgkmcnt(0)
	s_and_b64 s[10:11], s[48:49], exec
	s_or_b64 s[36:37], s[0:1], s[10:11]
	s_andn2_b64 s[0:1], s[38:39], exec
	s_and_b64 s[10:11], s[46:47], exec
	s_or_b64 s[38:39], s[0:1], s[10:11]
	s_andn2_b64 s[0:1], s[40:41], exec
	s_and_b64 s[10:11], s[44:45], exec
	s_and_b64 s[48:49], s[56:57], exec
	s_and_b64 s[50:51], s[54:55], exec
	s_and_b64 s[46:47], s[52:53], exec
	s_or_b64 s[40:41], s[0:1], s[10:11]
	s_or_b64 exec, exec, s[42:43]
	s_mov_b64 s[10:11], 0
	s_and_saveexec_b64 s[0:1], s[40:41]
	s_cbranch_execz .LBB23_415
.LBB23_1325:
	s_mov_b64 s[10:11], exec
	s_andn2_b64 s[46:47], s[46:47], exec
	s_trap 2
                                        ; implicit-def: $vgpr4_vgpr5
	s_or_b64 exec, exec, s[0:1]
	s_and_saveexec_b64 s[0:1], s[46:47]
	s_xor_b64 s[0:1], exec, s[0:1]
	s_cbranch_execnz .LBB23_416
.LBB23_1326:
	s_or_b64 exec, exec, s[0:1]
	s_and_saveexec_b64 s[0:1], s[50:51]
	s_cbranch_execz .LBB23_1372
.LBB23_1327:
	v_cmp_gt_i16_e32 vcc, 5, v1
	s_cbranch_vccnz .LBB23_1332
; %bb.1328:
	v_cmp_gt_i16_e32 vcc, 8, v1
	s_cbranch_vccnz .LBB23_1333
; %bb.1329:
	;; [unrolled: 3-line block ×3, first 2 shown]
	v_cmp_lt_i16_e32 vcc, 9, v1
	s_cbranch_vccz .LBB23_1335
; %bb.1331:
	s_waitcnt vmcnt(0)
	global_load_dwordx2 v[4:5], v[6:7], off
	s_mov_b64 s[12:13], 0
	s_branch .LBB23_1336
.LBB23_1332:
                                        ; implicit-def: $vgpr4_vgpr5
	s_branch .LBB23_1353
.LBB23_1333:
                                        ; implicit-def: $vgpr4_vgpr5
	s_branch .LBB23_1342
.LBB23_1334:
	s_mov_b64 s[12:13], -1
                                        ; implicit-def: $vgpr4_vgpr5
	s_branch .LBB23_1339
.LBB23_1335:
	s_mov_b64 s[12:13], -1
                                        ; implicit-def: $vgpr4_vgpr5
.LBB23_1336:
	s_andn2_b64 vcc, exec, s[12:13]
	s_cbranch_vccnz .LBB23_1338
; %bb.1337:
	s_waitcnt vmcnt(0)
	global_load_dword v3, v[6:7], off
	s_waitcnt vmcnt(0)
	v_cvt_f64_f32_e32 v[4:5], v3
.LBB23_1338:
	s_mov_b64 s[12:13], 0
.LBB23_1339:
	s_andn2_b64 vcc, exec, s[12:13]
	s_cbranch_vccnz .LBB23_1341
; %bb.1340:
	s_waitcnt vmcnt(0)
	global_load_dword v3, v[6:7], off
	s_waitcnt vmcnt(0)
	v_cvt_f32_f16_e32 v3, v3
	v_cvt_f64_f32_e32 v[4:5], v3
.LBB23_1341:
	s_cbranch_execnz .LBB23_1352
.LBB23_1342:
	v_cmp_gt_i16_e32 vcc, 6, v1
	s_cbranch_vccnz .LBB23_1345
; %bb.1343:
	v_cmp_lt_i16_e32 vcc, 6, v1
	s_cbranch_vccz .LBB23_1346
; %bb.1344:
	s_waitcnt vmcnt(0)
	global_load_dwordx2 v[4:5], v[6:7], off
	s_mov_b64 s[12:13], 0
	s_branch .LBB23_1347
.LBB23_1345:
	s_mov_b64 s[12:13], -1
                                        ; implicit-def: $vgpr4_vgpr5
	s_branch .LBB23_1350
.LBB23_1346:
	s_mov_b64 s[12:13], -1
                                        ; implicit-def: $vgpr4_vgpr5
.LBB23_1347:
	s_andn2_b64 vcc, exec, s[12:13]
	s_cbranch_vccnz .LBB23_1349
; %bb.1348:
	s_waitcnt vmcnt(0)
	global_load_dword v3, v[6:7], off
	s_waitcnt vmcnt(0)
	v_cvt_f64_f32_e32 v[4:5], v3
.LBB23_1349:
	s_mov_b64 s[12:13], 0
.LBB23_1350:
	s_andn2_b64 vcc, exec, s[12:13]
	s_cbranch_vccnz .LBB23_1352
; %bb.1351:
	s_waitcnt vmcnt(0)
	global_load_ushort v3, v[6:7], off
	s_waitcnt vmcnt(0)
	v_cvt_f32_f16_e32 v3, v3
	v_cvt_f64_f32_e32 v[4:5], v3
.LBB23_1352:
	s_cbranch_execnz .LBB23_1371
.LBB23_1353:
	v_cmp_gt_i16_e32 vcc, 2, v1
	s_cbranch_vccnz .LBB23_1357
; %bb.1354:
	v_cmp_gt_i16_e32 vcc, 3, v1
	s_cbranch_vccnz .LBB23_1358
; %bb.1355:
	v_cmp_lt_i16_e32 vcc, 3, v1
	s_cbranch_vccz .LBB23_1359
; %bb.1356:
	s_waitcnt vmcnt(0)
	global_load_dwordx2 v[4:5], v[6:7], off
	s_mov_b64 s[12:13], 0
	s_waitcnt vmcnt(0)
	v_cvt_f64_i32_e32 v[8:9], v5
	v_cvt_f64_u32_e32 v[4:5], v4
	v_ldexp_f64 v[8:9], v[8:9], 32
	v_add_f64 v[4:5], v[8:9], v[4:5]
	s_branch .LBB23_1360
.LBB23_1357:
                                        ; implicit-def: $vgpr4_vgpr5
	s_branch .LBB23_1366
.LBB23_1358:
	s_mov_b64 s[12:13], -1
                                        ; implicit-def: $vgpr4_vgpr5
	s_branch .LBB23_1363
.LBB23_1359:
	s_mov_b64 s[12:13], -1
                                        ; implicit-def: $vgpr4_vgpr5
.LBB23_1360:
	s_andn2_b64 vcc, exec, s[12:13]
	s_cbranch_vccnz .LBB23_1362
; %bb.1361:
	s_waitcnt vmcnt(0)
	global_load_dword v3, v[6:7], off
	s_waitcnt vmcnt(0)
	v_cvt_f64_i32_e32 v[4:5], v3
.LBB23_1362:
	s_mov_b64 s[12:13], 0
.LBB23_1363:
	s_andn2_b64 vcc, exec, s[12:13]
	s_cbranch_vccnz .LBB23_1365
; %bb.1364:
	s_waitcnt vmcnt(0)
	global_load_sshort v3, v[6:7], off
	s_waitcnt vmcnt(0)
	v_cvt_f64_i32_e32 v[4:5], v3
.LBB23_1365:
	s_cbranch_execnz .LBB23_1371
.LBB23_1366:
	v_cmp_lt_i16_e32 vcc, 0, v1
	s_cbranch_vccz .LBB23_1368
; %bb.1367:
	s_waitcnt vmcnt(0)
	global_load_sbyte v1, v[6:7], off
	s_mov_b64 s[12:13], 0
	s_waitcnt vmcnt(0)
	v_cvt_f64_i32_e32 v[4:5], v1
	s_branch .LBB23_1369
.LBB23_1368:
	s_mov_b64 s[12:13], -1
                                        ; implicit-def: $vgpr4_vgpr5
.LBB23_1369:
	s_andn2_b64 vcc, exec, s[12:13]
	s_cbranch_vccnz .LBB23_1371
; %bb.1370:
	s_waitcnt vmcnt(0)
	global_load_ubyte v1, v[6:7], off
	s_waitcnt vmcnt(0)
	v_cvt_f64_u32_e32 v[4:5], v1
.LBB23_1371:
	s_or_b64 s[48:49], s[48:49], exec
.LBB23_1372:
	s_or_b64 exec, exec, s[0:1]
	s_mov_b64 s[14:15], 0
	s_mov_b64 s[18:19], 0
	;; [unrolled: 1-line block ×3, first 2 shown]
                                        ; implicit-def: $vgpr1
                                        ; implicit-def: $vgpr6_vgpr7
                                        ; implicit-def: $vgpr8_vgpr9
	s_and_saveexec_b64 s[0:1], s[48:49]
	s_cbranch_execz .LBB23_1380
; %bb.1373:
	v_mov_b32_e32 v1, s25
	s_waitcnt vmcnt(0)
	v_add_co_u32_e32 v6, vcc, s24, v0
	v_addc_co_u32_e32 v7, vcc, 0, v1, vcc
	v_and_b32_e32 v1, 0xff, v11
	v_cmp_gt_i16_e32 vcc, 11, v1
	s_cbranch_vccnz .LBB23_1383
; %bb.1374:
	v_cmp_lt_i16_e32 vcc, 25, v1
	s_cbranch_vccz .LBB23_1384
; %bb.1375:
	v_cmp_lt_i16_e32 vcc, 28, v1
	s_cbranch_vccz .LBB23_1385
	;; [unrolled: 3-line block ×4, first 2 shown]
; %bb.1378:
	v_cmp_eq_u16_e32 vcc, 46, v1
	s_cbranch_vccz .LBB23_1388
; %bb.1379:
	global_load_dword v0, v[6:7], off
	s_mov_b64 s[12:13], 0
	s_mov_b64 s[16:17], -1
	s_waitcnt vmcnt(0)
	v_lshlrev_b32_e32 v0, 16, v0
	v_cvt_f64_f32_e32 v[8:9], v0
	s_branch .LBB23_1390
.LBB23_1380:
	s_or_b64 exec, exec, s[0:1]
	s_and_saveexec_b64 s[0:1], s[38:39]
	s_cbranch_execnz .LBB23_1453
.LBB23_1381:
	s_or_b64 exec, exec, s[0:1]
	s_and_saveexec_b64 s[0:1], s[14:15]
	s_xor_b64 s[0:1], exec, s[0:1]
	s_cbranch_execz .LBB23_1454
.LBB23_1382:
	s_waitcnt vmcnt(0)
	global_load_ubyte v0, v[6:7], off
	v_mov_b32_e32 v3, 0x3ff00000
	v_mov_b32_e32 v8, 0
	s_or_b64 s[16:17], s[16:17], exec
	s_waitcnt vmcnt(0)
	v_cmp_ne_u16_e32 vcc, 0, v0
	v_cndmask_b32_e32 v9, 0, v3, vcc
	s_or_b64 exec, exec, s[0:1]
	s_and_saveexec_b64 s[0:1], s[18:19]
	s_cbranch_execz .LBB23_1500
	s_branch .LBB23_1455
.LBB23_1383:
	s_mov_b64 s[18:19], -1
                                        ; implicit-def: $vgpr8_vgpr9
	s_mov_b64 s[12:13], s[38:39]
	s_branch .LBB23_1452
.LBB23_1384:
	s_mov_b64 s[12:13], s[38:39]
                                        ; implicit-def: $vgpr8_vgpr9
	s_cbranch_execnz .LBB23_1419
	s_branch .LBB23_1451
.LBB23_1385:
	s_mov_b64 s[18:19], -1
	s_mov_b64 s[12:13], s[38:39]
                                        ; implicit-def: $vgpr8_vgpr9
	s_branch .LBB23_1400
.LBB23_1386:
	s_mov_b64 s[18:19], -1
	s_mov_b64 s[12:13], s[38:39]
                                        ; implicit-def: $vgpr8_vgpr9
	s_branch .LBB23_1395
.LBB23_1387:
	s_mov_b64 s[18:19], -1
	s_mov_b64 s[12:13], s[38:39]
	s_branch .LBB23_1389
.LBB23_1388:
	s_mov_b64 s[12:13], -1
.LBB23_1389:
                                        ; implicit-def: $vgpr8_vgpr9
.LBB23_1390:
	s_and_b64 vcc, exec, s[18:19]
	s_cbranch_vccz .LBB23_1394
; %bb.1391:
	v_cmp_eq_u16_e32 vcc, 44, v1
	s_cbranch_vccz .LBB23_1393
; %bb.1392:
	global_load_ubyte v0, v[6:7], off
	s_movk_i32 s16, 0xff
	v_bfrev_b32_e32 v3, 4
	v_mov_b32_e32 v11, 0x7ff80000
	v_bfrev_b32_e32 v12, 28
	s_mov_b64 s[12:13], 0
	s_waitcnt vmcnt(0)
	v_lshlrev_b32_e32 v8, 23, v0
	v_cvt_f64_f32_e32 v[8:9], v8
	v_cmp_ne_u32_e32 vcc, s16, v0
	v_cndmask_b32_e32 v3, v3, v8, vcc
	v_cndmask_b32_e32 v8, v11, v9, vcc
	v_cmp_ne_u32_e32 vcc, 0, v0
	v_cndmask_b32_e32 v9, v12, v8, vcc
	v_cndmask_b32_e32 v8, 0, v3, vcc
	s_mov_b64 s[16:17], -1
	s_branch .LBB23_1394
.LBB23_1393:
	s_mov_b64 s[12:13], -1
                                        ; implicit-def: $vgpr8_vgpr9
.LBB23_1394:
	s_mov_b64 s[18:19], 0
.LBB23_1395:
	s_and_b64 vcc, exec, s[18:19]
	s_cbranch_vccz .LBB23_1399
; %bb.1396:
	v_cmp_eq_u16_e32 vcc, 29, v1
	s_cbranch_vccz .LBB23_1398
; %bb.1397:
	global_load_dwordx2 v[8:9], v[6:7], off
	s_mov_b64 s[12:13], 0
	s_mov_b64 s[16:17], -1
	s_mov_b64 s[18:19], 0
	s_waitcnt vmcnt(0)
	v_cvt_f64_u32_e32 v[12:13], v9
	v_cvt_f64_u32_e32 v[8:9], v8
	v_ldexp_f64 v[12:13], v[12:13], 32
	v_add_f64 v[8:9], v[12:13], v[8:9]
	s_branch .LBB23_1400
.LBB23_1398:
	s_mov_b64 s[12:13], -1
                                        ; implicit-def: $vgpr8_vgpr9
.LBB23_1399:
	s_mov_b64 s[18:19], 0
.LBB23_1400:
	s_and_b64 vcc, exec, s[18:19]
	s_cbranch_vccz .LBB23_1418
; %bb.1401:
	v_cmp_gt_i16_e32 vcc, 27, v1
	s_cbranch_vccnz .LBB23_1404
; %bb.1402:
	v_cmp_lt_i16_e32 vcc, 27, v1
	s_cbranch_vccz .LBB23_1405
; %bb.1403:
	global_load_dword v0, v[6:7], off
	s_mov_b64 s[16:17], 0
	s_waitcnt vmcnt(0)
	v_cvt_f64_u32_e32 v[8:9], v0
	s_branch .LBB23_1406
.LBB23_1404:
	s_mov_b64 s[16:17], -1
                                        ; implicit-def: $vgpr8_vgpr9
	s_branch .LBB23_1409
.LBB23_1405:
	s_mov_b64 s[16:17], -1
                                        ; implicit-def: $vgpr8_vgpr9
.LBB23_1406:
	s_andn2_b64 vcc, exec, s[16:17]
	s_cbranch_vccnz .LBB23_1408
; %bb.1407:
	global_load_ushort v0, v[6:7], off
	s_waitcnt vmcnt(0)
	v_cvt_f64_u32_e32 v[8:9], v0
.LBB23_1408:
	s_mov_b64 s[16:17], 0
.LBB23_1409:
	s_andn2_b64 vcc, exec, s[16:17]
	s_cbranch_vccnz .LBB23_1417
; %bb.1410:
	global_load_ubyte v0, v[6:7], off
	s_movk_i32 s16, 0x7f
                                        ; implicit-def: $sgpr18_sgpr19
	s_waitcnt vmcnt(0)
	v_cmp_lt_i16_e32 vcc, s16, v0
	s_mov_b64 s[16:17], 0
	s_and_saveexec_b64 s[24:25], vcc
	s_xor_b64 s[24:25], exec, s[24:25]
	s_cbranch_execz .LBB23_1430
; %bb.1411:
	s_movk_i32 s16, 0x80
	v_cmp_eq_u16_e32 vcc, s16, v0
	s_mov_b64 s[26:27], -1
                                        ; implicit-def: $sgpr18_sgpr19
	s_and_saveexec_b64 s[16:17], vcc
; %bb.1412:
	s_mov_b32 s19, 0x7ff80000
	s_brev_b32 s18, 4
	s_xor_b64 s[26:27], exec, -1
; %bb.1413:
	s_or_b64 exec, exec, s[16:17]
	s_and_b64 s[16:17], s[26:27], exec
	s_or_saveexec_b64 s[24:25], s[24:25]
	v_pk_mov_b32 v[8:9], s[18:19], s[18:19] op_sel:[0,1]
	s_xor_b64 exec, exec, s[24:25]
	s_cbranch_execnz .LBB23_1431
.LBB23_1414:
	s_or_b64 exec, exec, s[24:25]
	s_and_saveexec_b64 s[18:19], s[16:17]
	s_cbranch_execz .LBB23_1416
.LBB23_1415:
	v_lshlrev_b32_e32 v3, 24, v0
	v_and_b32_e32 v0, 0xffff, v0
	v_and_b32_e32 v8, 7, v0
	v_ffbh_u32_e32 v11, v8
	v_min_u32_e32 v11, 32, v11
	v_subrev_u32_e32 v12, 28, v11
	v_bfe_u32 v9, v0, 3, 4
	v_lshlrev_b32_e32 v0, v12, v0
	v_sub_u32_e32 v11, 29, v11
	v_and_b32_e32 v0, 7, v0
	v_cmp_eq_u32_e32 vcc, 0, v9
	v_cndmask_b32_e32 v9, v9, v11, vcc
	v_cndmask_b32_e32 v0, v8, v0, vcc
	v_mov_b32_e32 v8, 0x3b800000
	v_lshlrev_b32_e32 v0, 20, v0
	v_and_b32_e32 v3, 0x80000000, v3
	v_lshl_add_u32 v8, v9, 23, v8
	v_or3_b32 v0, v3, v8, v0
	v_cvt_f64_f32_e32 v[8:9], v0
.LBB23_1416:
	s_or_b64 exec, exec, s[18:19]
.LBB23_1417:
	s_mov_b64 s[16:17], -1
.LBB23_1418:
	s_branch .LBB23_1451
.LBB23_1419:
	v_cmp_lt_i16_e32 vcc, 22, v1
	s_cbranch_vccz .LBB23_1429
; %bb.1420:
	v_cmp_gt_i16_e32 vcc, 24, v1
	s_cbranch_vccnz .LBB23_1432
; %bb.1421:
	v_cmp_lt_i16_e32 vcc, 24, v1
	s_cbranch_vccz .LBB23_1433
; %bb.1422:
	global_load_ubyte v0, v[6:7], off
	s_movk_i32 s14, 0x7f
                                        ; implicit-def: $sgpr16_sgpr17
	s_waitcnt vmcnt(0)
	v_cmp_lt_i16_e32 vcc, s14, v0
	s_mov_b64 s[14:15], 0
	s_and_saveexec_b64 s[18:19], vcc
	s_xor_b64 s[18:19], exec, s[18:19]
	s_cbranch_execz .LBB23_1445
; %bb.1423:
	s_movk_i32 s14, 0x80
	v_cmp_eq_u16_e32 vcc, s14, v0
	s_mov_b64 s[24:25], -1
                                        ; implicit-def: $sgpr16_sgpr17
	s_and_saveexec_b64 s[14:15], vcc
; %bb.1424:
	s_mov_b32 s17, 0x7ff80000
	s_brev_b32 s16, 4
	s_xor_b64 s[24:25], exec, -1
; %bb.1425:
	s_or_b64 exec, exec, s[14:15]
	s_and_b64 s[14:15], s[24:25], exec
	s_or_saveexec_b64 s[18:19], s[18:19]
	v_pk_mov_b32 v[8:9], s[16:17], s[16:17] op_sel:[0,1]
	s_xor_b64 exec, exec, s[18:19]
	s_cbranch_execnz .LBB23_1446
.LBB23_1426:
	s_or_b64 exec, exec, s[18:19]
	s_and_saveexec_b64 s[16:17], s[14:15]
	s_cbranch_execz .LBB23_1428
.LBB23_1427:
	v_lshlrev_b32_e32 v3, 24, v0
	v_and_b32_e32 v0, 0xffff, v0
	v_and_b32_e32 v8, 3, v0
	v_ffbh_u32_e32 v11, v8
	v_min_u32_e32 v11, 32, v11
	v_subrev_u32_e32 v12, 29, v11
	v_bfe_u32 v9, v0, 2, 5
	v_lshlrev_b32_e32 v0, v12, v0
	v_sub_u32_e32 v11, 30, v11
	v_and_b32_e32 v0, 3, v0
	v_cmp_eq_u32_e32 vcc, 0, v9
	v_cndmask_b32_e32 v9, v9, v11, vcc
	v_cndmask_b32_e32 v0, v8, v0, vcc
	v_mov_b32_e32 v8, 0x37800000
	v_lshlrev_b32_e32 v0, 21, v0
	v_and_b32_e32 v3, 0x80000000, v3
	v_lshl_add_u32 v8, v9, 23, v8
	v_or3_b32 v0, v3, v8, v0
	v_cvt_f64_f32_e32 v[8:9], v0
.LBB23_1428:
	s_or_b64 exec, exec, s[16:17]
	s_mov_b64 s[14:15], 0
	s_branch .LBB23_1434
.LBB23_1429:
	s_mov_b64 s[14:15], -1
                                        ; implicit-def: $vgpr8_vgpr9
	s_branch .LBB23_1440
.LBB23_1430:
	s_or_saveexec_b64 s[24:25], s[24:25]
	v_pk_mov_b32 v[8:9], s[18:19], s[18:19] op_sel:[0,1]
	s_xor_b64 exec, exec, s[24:25]
	s_cbranch_execz .LBB23_1414
.LBB23_1431:
	v_cmp_ne_u16_e32 vcc, 0, v0
	s_andn2_b64 s[16:17], s[16:17], exec
	s_and_b64 s[18:19], vcc, exec
	v_pk_mov_b32 v[8:9], 0, 0
	s_or_b64 s[16:17], s[16:17], s[18:19]
	s_or_b64 exec, exec, s[24:25]
	s_and_saveexec_b64 s[18:19], s[16:17]
	s_cbranch_execnz .LBB23_1415
	s_branch .LBB23_1416
.LBB23_1432:
	s_mov_b64 s[14:15], -1
                                        ; implicit-def: $vgpr8_vgpr9
	s_branch .LBB23_1437
.LBB23_1433:
	s_mov_b64 s[14:15], -1
                                        ; implicit-def: $vgpr8_vgpr9
.LBB23_1434:
	s_and_b64 vcc, exec, s[14:15]
	s_cbranch_vccz .LBB23_1436
; %bb.1435:
	global_load_ubyte v0, v[6:7], off
	s_mov_b32 s14, 0x7f800000
	s_waitcnt vmcnt(0)
	v_lshlrev_b32_e32 v0, 24, v0
	v_and_b32_e32 v3, 0x7f000000, v0
	v_ffbh_u32_e32 v8, v3
	v_min_u32_e32 v8, 32, v8
	v_sub_u32_e64 v8, v8, 4 clamp
	v_lshlrev_b32_e32 v11, v8, v3
	v_lshlrev_b32_e32 v8, 23, v8
	v_lshrrev_b32_e32 v11, 4, v11
	v_add_u32_e32 v9, 0x1000000, v3
	v_sub_u32_e32 v8, v11, v8
	v_ashrrev_i32_e32 v9, 8, v9
	v_add_u32_e32 v8, 0x3c000000, v8
	v_and_or_b32 v8, v9, s14, v8
	v_cmp_ne_u32_e32 vcc, 0, v3
	v_cndmask_b32_e32 v3, 0, v8, vcc
	s_brev_b32 s14, 1
	v_and_or_b32 v0, v0, s14, v3
	v_cvt_f64_f32_e32 v[8:9], v0
.LBB23_1436:
	s_mov_b64 s[14:15], 0
.LBB23_1437:
	s_andn2_b64 vcc, exec, s[14:15]
	s_cbranch_vccnz .LBB23_1439
; %bb.1438:
	global_load_ubyte v0, v[6:7], off
	s_movk_i32 s14, 0x7f00
	s_brev_b32 s15, 16
	s_waitcnt vmcnt(0)
	v_lshlrev_b16_e32 v3, 8, v0
	v_lshlrev_b32_e32 v0, 25, v0
	v_lshrrev_b32_e32 v8, 4, v0
	v_and_or_b32 v9, v3, s14, 0.5
	v_or_b32_e32 v8, 0x70000000, v8
	v_add_f32_e32 v9, -0.5, v9
	v_mul_f32_e32 v8, 0x7800000, v8
	v_cmp_gt_u32_e32 vcc, s15, v0
	v_bfe_i32 v3, v3, 0, 16
	v_cndmask_b32_e32 v0, v8, v9, vcc
	s_brev_b32 s14, 1
	v_and_or_b32 v0, v3, s14, v0
	v_cvt_f64_f32_e32 v[8:9], v0
.LBB23_1439:
	s_mov_b64 s[14:15], 0
	s_mov_b64 s[16:17], -1
.LBB23_1440:
	s_andn2_b64 vcc, exec, s[14:15]
	s_mov_b64 s[14:15], 0
	s_cbranch_vccnz .LBB23_1451
; %bb.1441:
	v_cmp_lt_i16_e32 vcc, 14, v1
	s_cbranch_vccz .LBB23_1444
; %bb.1442:
	v_cmp_eq_u16_e32 vcc, 15, v1
	s_cbranch_vccz .LBB23_1447
; %bb.1443:
	global_load_ushort v0, v[6:7], off
	s_mov_b64 s[12:13], 0
	s_mov_b64 s[16:17], -1
	s_waitcnt vmcnt(0)
	v_lshlrev_b32_e32 v0, 16, v0
	v_cvt_f64_f32_e32 v[8:9], v0
	s_branch .LBB23_1448
.LBB23_1444:
	s_mov_b64 s[18:19], -1
                                        ; implicit-def: $vgpr8_vgpr9
	s_branch .LBB23_1449
.LBB23_1445:
	s_or_saveexec_b64 s[18:19], s[18:19]
	v_pk_mov_b32 v[8:9], s[16:17], s[16:17] op_sel:[0,1]
	s_xor_b64 exec, exec, s[18:19]
	s_cbranch_execz .LBB23_1426
.LBB23_1446:
	v_cmp_ne_u16_e32 vcc, 0, v0
	s_andn2_b64 s[14:15], s[14:15], exec
	s_and_b64 s[16:17], vcc, exec
	v_pk_mov_b32 v[8:9], 0, 0
	s_or_b64 s[14:15], s[14:15], s[16:17]
	s_or_b64 exec, exec, s[18:19]
	s_and_saveexec_b64 s[16:17], s[14:15]
	s_cbranch_execnz .LBB23_1427
	s_branch .LBB23_1428
.LBB23_1447:
	s_mov_b64 s[12:13], -1
                                        ; implicit-def: $vgpr8_vgpr9
.LBB23_1448:
	s_mov_b64 s[18:19], 0
.LBB23_1449:
	s_and_b64 vcc, exec, s[18:19]
	s_cbranch_vccz .LBB23_1451
; %bb.1450:
	v_cmp_ne_u16_e32 vcc, 11, v1
	s_andn2_b64 s[12:13], s[12:13], exec
	s_and_b64 s[18:19], vcc, exec
	s_mov_b64 s[14:15], -1
	s_or_b64 s[12:13], s[12:13], s[18:19]
                                        ; implicit-def: $vgpr8_vgpr9
.LBB23_1451:
	s_mov_b64 s[18:19], 0
.LBB23_1452:
	s_andn2_b64 s[24:25], s[38:39], exec
	s_and_b64 s[12:13], s[12:13], exec
	s_and_b64 s[16:17], s[16:17], exec
	;; [unrolled: 1-line block ×4, first 2 shown]
	s_or_b64 s[38:39], s[24:25], s[12:13]
	s_or_b64 exec, exec, s[0:1]
	s_and_saveexec_b64 s[0:1], s[38:39]
	s_cbranch_execz .LBB23_1381
.LBB23_1453:
	s_or_b64 s[10:11], s[10:11], exec
	s_andn2_b64 s[14:15], s[14:15], exec
	s_trap 2
                                        ; implicit-def: $vgpr8_vgpr9
	s_or_b64 exec, exec, s[0:1]
	s_and_saveexec_b64 s[0:1], s[14:15]
	s_xor_b64 s[0:1], exec, s[0:1]
	s_cbranch_execnz .LBB23_1382
.LBB23_1454:
	s_or_b64 exec, exec, s[0:1]
	s_and_saveexec_b64 s[0:1], s[18:19]
	s_cbranch_execz .LBB23_1500
.LBB23_1455:
	v_cmp_gt_i16_e32 vcc, 5, v1
	s_cbranch_vccnz .LBB23_1460
; %bb.1456:
	v_cmp_gt_i16_e32 vcc, 8, v1
	s_cbranch_vccnz .LBB23_1461
; %bb.1457:
	;; [unrolled: 3-line block ×3, first 2 shown]
	v_cmp_lt_i16_e32 vcc, 9, v1
	s_cbranch_vccz .LBB23_1463
; %bb.1459:
	s_waitcnt vmcnt(0)
	global_load_dwordx2 v[8:9], v[6:7], off
	s_mov_b64 s[12:13], 0
	s_branch .LBB23_1464
.LBB23_1460:
                                        ; implicit-def: $vgpr8_vgpr9
	s_branch .LBB23_1481
.LBB23_1461:
                                        ; implicit-def: $vgpr8_vgpr9
	s_branch .LBB23_1470
.LBB23_1462:
	s_mov_b64 s[12:13], -1
                                        ; implicit-def: $vgpr8_vgpr9
	s_branch .LBB23_1467
.LBB23_1463:
	s_mov_b64 s[12:13], -1
                                        ; implicit-def: $vgpr8_vgpr9
.LBB23_1464:
	s_andn2_b64 vcc, exec, s[12:13]
	s_cbranch_vccnz .LBB23_1466
; %bb.1465:
	s_waitcnt vmcnt(0)
	global_load_dword v0, v[6:7], off
	s_waitcnt vmcnt(0)
	v_cvt_f64_f32_e32 v[8:9], v0
.LBB23_1466:
	s_mov_b64 s[12:13], 0
.LBB23_1467:
	s_andn2_b64 vcc, exec, s[12:13]
	s_cbranch_vccnz .LBB23_1469
; %bb.1468:
	s_waitcnt vmcnt(0)
	global_load_dword v0, v[6:7], off
	s_waitcnt vmcnt(0)
	v_cvt_f32_f16_e32 v0, v0
	v_cvt_f64_f32_e32 v[8:9], v0
.LBB23_1469:
	s_cbranch_execnz .LBB23_1480
.LBB23_1470:
	v_cmp_gt_i16_e32 vcc, 6, v1
	s_cbranch_vccnz .LBB23_1473
; %bb.1471:
	v_cmp_lt_i16_e32 vcc, 6, v1
	s_cbranch_vccz .LBB23_1474
; %bb.1472:
	s_waitcnt vmcnt(0)
	global_load_dwordx2 v[8:9], v[6:7], off
	s_mov_b64 s[12:13], 0
	s_branch .LBB23_1475
.LBB23_1473:
	s_mov_b64 s[12:13], -1
                                        ; implicit-def: $vgpr8_vgpr9
	s_branch .LBB23_1478
.LBB23_1474:
	s_mov_b64 s[12:13], -1
                                        ; implicit-def: $vgpr8_vgpr9
.LBB23_1475:
	s_andn2_b64 vcc, exec, s[12:13]
	s_cbranch_vccnz .LBB23_1477
; %bb.1476:
	s_waitcnt vmcnt(0)
	global_load_dword v0, v[6:7], off
	s_waitcnt vmcnt(0)
	v_cvt_f64_f32_e32 v[8:9], v0
.LBB23_1477:
	s_mov_b64 s[12:13], 0
.LBB23_1478:
	s_andn2_b64 vcc, exec, s[12:13]
	s_cbranch_vccnz .LBB23_1480
; %bb.1479:
	s_waitcnt vmcnt(0)
	global_load_ushort v0, v[6:7], off
	s_waitcnt vmcnt(0)
	v_cvt_f32_f16_e32 v0, v0
	v_cvt_f64_f32_e32 v[8:9], v0
.LBB23_1480:
	s_cbranch_execnz .LBB23_1499
.LBB23_1481:
	v_cmp_gt_i16_e32 vcc, 2, v1
	s_cbranch_vccnz .LBB23_1485
; %bb.1482:
	v_cmp_gt_i16_e32 vcc, 3, v1
	s_cbranch_vccnz .LBB23_1486
; %bb.1483:
	v_cmp_lt_i16_e32 vcc, 3, v1
	s_cbranch_vccz .LBB23_1487
; %bb.1484:
	s_waitcnt vmcnt(0)
	global_load_dwordx2 v[8:9], v[6:7], off
	s_mov_b64 s[12:13], 0
	s_waitcnt vmcnt(0)
	v_cvt_f64_i32_e32 v[12:13], v9
	v_cvt_f64_u32_e32 v[8:9], v8
	v_ldexp_f64 v[12:13], v[12:13], 32
	v_add_f64 v[8:9], v[12:13], v[8:9]
	s_branch .LBB23_1488
.LBB23_1485:
                                        ; implicit-def: $vgpr8_vgpr9
	s_branch .LBB23_1494
.LBB23_1486:
	s_mov_b64 s[12:13], -1
                                        ; implicit-def: $vgpr8_vgpr9
	s_branch .LBB23_1491
.LBB23_1487:
	s_mov_b64 s[12:13], -1
                                        ; implicit-def: $vgpr8_vgpr9
.LBB23_1488:
	s_andn2_b64 vcc, exec, s[12:13]
	s_cbranch_vccnz .LBB23_1490
; %bb.1489:
	s_waitcnt vmcnt(0)
	global_load_dword v0, v[6:7], off
	s_waitcnt vmcnt(0)
	v_cvt_f64_i32_e32 v[8:9], v0
.LBB23_1490:
	s_mov_b64 s[12:13], 0
.LBB23_1491:
	s_andn2_b64 vcc, exec, s[12:13]
	s_cbranch_vccnz .LBB23_1493
; %bb.1492:
	s_waitcnt vmcnt(0)
	global_load_sshort v0, v[6:7], off
	s_waitcnt vmcnt(0)
	v_cvt_f64_i32_e32 v[8:9], v0
.LBB23_1493:
	s_cbranch_execnz .LBB23_1499
.LBB23_1494:
	v_cmp_lt_i16_e32 vcc, 0, v1
	s_cbranch_vccz .LBB23_1496
; %bb.1495:
	s_waitcnt vmcnt(0)
	global_load_sbyte v0, v[6:7], off
	s_mov_b64 s[12:13], 0
	s_waitcnt vmcnt(0)
	v_cvt_f64_i32_e32 v[8:9], v0
	s_branch .LBB23_1497
.LBB23_1496:
	s_mov_b64 s[12:13], -1
                                        ; implicit-def: $vgpr8_vgpr9
.LBB23_1497:
	s_andn2_b64 vcc, exec, s[12:13]
	s_cbranch_vccnz .LBB23_1499
; %bb.1498:
	s_waitcnt vmcnt(0)
	global_load_ubyte v0, v[6:7], off
	s_waitcnt vmcnt(0)
	v_cvt_f64_u32_e32 v[8:9], v0
.LBB23_1499:
	s_or_b64 s[16:17], s[16:17], exec
.LBB23_1500:
	s_or_b64 exec, exec, s[0:1]
	s_mov_b64 s[18:19], 0
	s_mov_b64 s[14:15], 0
                                        ; implicit-def: $vgpr11
                                        ; implicit-def: $vgpr6_vgpr7
                                        ; implicit-def: $vgpr0_vgpr1
	s_and_saveexec_b64 s[12:13], s[16:17]
	s_cbranch_execz .LBB23_1587
; %bb.1501:
	s_waitcnt vmcnt(0)
	v_trunc_f64_e32 v[0:1], v[8:9]
	s_movk_i32 s0, 0xffe0
	v_ldexp_f64 v[6:7], v[0:1], s0
	v_floor_f64_e32 v[8:9], v[6:7]
	v_fmac_f64_e32 v[0:1], 0xc1f00000, v[8:9]
	v_cvt_i32_f64_e32 v7, v[8:9]
	v_cvt_u32_f64_e32 v6, v[0:1]
	v_cmp_lt_i64_e32 vcc, -1, v[6:7]
	v_pk_mov_b32 v[0:1], 0, 0
	s_and_saveexec_b64 s[0:1], vcc
	s_cbranch_execz .LBB23_1513
; %bb.1502:
	v_mov_b32_e32 v0, 0
	v_cmp_lt_i64_e32 vcc, 0, v[6:7]
	v_mov_b32_e32 v1, 0x3ff00000
	s_and_saveexec_b64 s[14:15], vcc
	s_cbranch_execz .LBB23_1512
; %bb.1503:
	v_cmp_ne_u64_e32 vcc, 1, v[6:7]
                                        ; implicit-def: $vgpr0_vgpr1
	s_and_saveexec_b64 s[16:17], vcc
	s_xor_b64 s[16:17], exec, s[16:17]
	s_cbranch_execz .LBB23_1509
; %bb.1504:
	s_mov_b64 s[18:19], 0x201
	v_mov_b32_e32 v0, 0
	v_cmp_gt_u64_e32 vcc, s[18:19], v[6:7]
	v_mov_b32_e32 v1, 0x7ff80000
	s_and_saveexec_b64 s[18:19], vcc
	s_cbranch_execz .LBB23_1508
; %bb.1505:
	v_mov_b32_e32 v8, 0
	s_mov_b64 s[26:27], 1
	s_mov_b64 s[24:25], 0
	v_mov_b32_e32 v9, 0x3ff00000
	v_pk_mov_b32 v[0:1], v[4:5], v[4:5] op_sel:[0,1]
.LBB23_1506:                            ; =>This Inner Loop Header: Depth=1
	v_cvt_f64_u32_e32 v[12:13], s27
	v_cvt_f64_u32_e32 v[14:15], s26
	s_add_u32 s26, s26, 1
	v_ldexp_f64 v[12:13], v[12:13], 32
	s_addc_u32 s27, s27, 0
	v_add_f64 v[12:13], v[12:13], v[14:15]
	v_cmp_eq_u64_e32 vcc, s[26:27], v[6:7]
	v_mul_f64 v[12:13], v[8:9], v[12:13]
	s_or_b64 s[24:25], vcc, s[24:25]
	v_pk_mov_b32 v[8:9], v[0:1], v[0:1] op_sel:[0,1]
	v_fma_f64 v[0:1], v[4:5], v[0:1], -v[12:13]
	s_andn2_b64 exec, exec, s[24:25]
	s_cbranch_execnz .LBB23_1506
; %bb.1507:
	s_or_b64 exec, exec, s[24:25]
.LBB23_1508:
	s_or_b64 exec, exec, s[18:19]
                                        ; implicit-def: $vgpr4_vgpr5
.LBB23_1509:
	s_andn2_saveexec_b64 s[16:17], s[16:17]
; %bb.1510:
	v_pk_mov_b32 v[0:1], v[4:5], v[4:5] op_sel:[0,1]
; %bb.1511:
	s_or_b64 exec, exec, s[16:17]
.LBB23_1512:
	s_or_b64 exec, exec, s[14:15]
.LBB23_1513:
	s_or_b64 exec, exec, s[0:1]
	v_mov_b32_e32 v3, s9
	v_add_co_u32_e32 v6, vcc, s8, v2
	v_addc_co_u32_e32 v7, vcc, 0, v3, vcc
	v_and_b32_e32 v11, 0xff, v10
	v_cmp_gt_i16_e32 vcc, 11, v11
	s_cbranch_vccnz .LBB23_1590
; %bb.1514:
	v_cmp_lt_i16_e32 vcc, 25, v11
	s_mov_b64 s[14:15], -1
	s_mov_b64 s[0:1], s[36:37]
	s_cbranch_vccz .LBB23_1547
; %bb.1515:
	v_cmp_lt_i16_e32 vcc, 28, v11
	s_mov_b64 s[8:9], -1
	s_mov_b64 s[0:1], s[36:37]
	s_cbranch_vccz .LBB23_1531
; %bb.1516:
	v_cmp_lt_i16_e32 vcc, 43, v11
	s_mov_b64 s[0:1], s[36:37]
	s_cbranch_vccz .LBB23_1527
; %bb.1517:
	v_cmp_lt_i16_e32 vcc, 45, v11
	s_mov_b64 s[0:1], s[36:37]
	s_cbranch_vccz .LBB23_1521
; %bb.1518:
	v_cmp_eq_u16_e32 vcc, 46, v11
	s_mov_b64 s[0:1], -1
	s_cbranch_vccz .LBB23_1520
; %bb.1519:
	v_cvt_f32_f64_e32 v2, v[0:1]
	v_bfe_u32 v3, v2, 16, 1
	s_movk_i32 s0, 0x7fff
	v_add3_u32 v3, v2, v3, s0
	v_lshrrev_b32_e32 v3, 16, v3
	v_mov_b32_e32 v4, 0x7fc0
	v_cmp_o_f32_e32 vcc, v2, v2
	v_cndmask_b32_e32 v2, v4, v3, vcc
	global_store_dword v[6:7], v2, off
	s_mov_b64 s[0:1], 0
.LBB23_1520:
	s_mov_b64 s[8:9], 0
.LBB23_1521:
	s_and_b64 vcc, exec, s[8:9]
	s_cbranch_vccz .LBB23_1526
; %bb.1522:
	v_cmp_eq_u16_e32 vcc, 44, v11
	s_mov_b64 s[0:1], -1
	s_cbranch_vccz .LBB23_1526
; %bb.1523:
	v_cvt_f32_f64_e32 v2, v[0:1]
	v_bfe_u32 v3, v2, 23, 8
	s_movk_i32 s0, 0xff
	v_cmp_ne_u32_e32 vcc, s0, v3
	v_mov_b32_e32 v4, 0xff
	s_and_saveexec_b64 s[8:9], vcc
; %bb.1524:
	s_mov_b32 s0, 0x3fffff
	v_lshrrev_b32_e32 v4, 23, v2
	v_and_b32_e32 v5, 0x400000, v2
	v_and_or_b32 v2, v2, s0, v3
	v_cmp_ne_u32_e32 vcc, 0, v5
	v_cmp_ne_u32_e64 s[0:1], 0, v2
	s_and_b64 s[0:1], vcc, s[0:1]
	v_cndmask_b32_e64 v2, 0, 1, s[0:1]
	v_add_u32_e32 v4, v4, v2
; %bb.1525:
	s_or_b64 exec, exec, s[8:9]
	s_mov_b64 s[0:1], 0
	global_store_byte v[6:7], v4, off
.LBB23_1526:
	s_mov_b64 s[8:9], 0
.LBB23_1527:
	s_and_b64 vcc, exec, s[8:9]
	s_cbranch_vccz .LBB23_1530
; %bb.1528:
	v_cmp_eq_u16_e32 vcc, 29, v11
	s_mov_b64 s[0:1], -1
	s_cbranch_vccz .LBB23_1530
; %bb.1529:
	v_trunc_f64_e32 v[2:3], v[0:1]
	s_movk_i32 s0, 0xffe0
	v_ldexp_f64 v[4:5], v[2:3], s0
	v_floor_f64_e32 v[4:5], v[4:5]
	v_fmac_f64_e32 v[2:3], 0xc1f00000, v[4:5]
	v_cvt_u32_f64_e32 v9, v[4:5]
	v_cvt_u32_f64_e32 v8, v[2:3]
	global_store_dwordx2 v[6:7], v[8:9], off
	s_mov_b64 s[0:1], 0
.LBB23_1530:
	s_mov_b64 s[8:9], 0
.LBB23_1531:
	s_and_b64 vcc, exec, s[8:9]
	s_cbranch_vccz .LBB23_1546
; %bb.1532:
	v_cmp_gt_i16_e32 vcc, 27, v11
	s_mov_b64 s[8:9], -1
	s_cbranch_vccnz .LBB23_1538
; %bb.1533:
	v_cmp_lt_i16_e32 vcc, 27, v11
	s_cbranch_vccz .LBB23_1535
; %bb.1534:
	v_cvt_u32_f64_e32 v2, v[0:1]
	s_mov_b64 s[8:9], 0
	global_store_dword v[6:7], v2, off
.LBB23_1535:
	s_andn2_b64 vcc, exec, s[8:9]
	s_cbranch_vccnz .LBB23_1537
; %bb.1536:
	v_cvt_u32_f64_e32 v2, v[0:1]
	global_store_short v[6:7], v2, off
.LBB23_1537:
	s_mov_b64 s[8:9], 0
.LBB23_1538:
	s_andn2_b64 vcc, exec, s[8:9]
	s_cbranch_vccnz .LBB23_1546
; %bb.1539:
	v_cvt_f32_f64_e32 v2, v[0:1]
	v_and_b32_e32 v3, 0x7fffffff, v2
	s_mov_b32 s8, 0x43800000
	v_cmp_gt_u32_e32 vcc, s8, v3
	v_mov_b32_e32 v4, 0x80
	s_and_saveexec_b64 s[8:9], vcc
	s_cbranch_execz .LBB23_1545
; %bb.1540:
	s_mov_b32 s14, 0x3bffffff
	v_cmp_lt_u32_e32 vcc, s14, v3
	s_mov_b64 s[14:15], 0
                                        ; implicit-def: $vgpr3
	s_and_saveexec_b64 s[16:17], vcc
	s_xor_b64 s[16:17], exec, s[16:17]
	s_cbranch_execz .LBB23_1687
; %bb.1541:
	v_bfe_u32 v3, v2, 20, 1
	s_mov_b32 s18, 0x487ffff
	v_add3_u32 v3, v2, v3, s18
	s_mov_b64 s[14:15], exec
	v_lshrrev_b32_e32 v3, 20, v3
	s_or_saveexec_b64 s[16:17], s[16:17]
                                        ; implicit-def: $sgpr18
	s_xor_b64 exec, exec, s[16:17]
	s_cbranch_execnz .LBB23_1688
.LBB23_1542:
	s_or_b64 exec, exec, s[16:17]
	v_mov_b32_e32 v4, s18
	s_and_saveexec_b64 s[16:17], s[14:15]
.LBB23_1543:
	v_lshrrev_b32_e32 v2, 24, v2
	s_movk_i32 s14, 0x80
	v_and_or_b32 v4, v2, s14, v3
.LBB23_1544:
	s_or_b64 exec, exec, s[16:17]
.LBB23_1545:
	s_or_b64 exec, exec, s[8:9]
	global_store_byte v[6:7], v4, off
.LBB23_1546:
	s_mov_b64 s[14:15], 0
.LBB23_1547:
	s_mov_b64 s[8:9], 0
	s_and_b64 vcc, exec, s[14:15]
	s_cbranch_vccz .LBB23_1591
; %bb.1548:
	v_cmp_lt_i16_e32 vcc, 22, v11
	s_mov_b64 s[14:15], -1
	s_cbranch_vccz .LBB23_1580
; %bb.1549:
	v_cmp_gt_i16_e32 vcc, 24, v11
	s_cbranch_vccnz .LBB23_1569
; %bb.1550:
	v_cmp_lt_i16_e32 vcc, 24, v11
	s_cbranch_vccz .LBB23_1558
; %bb.1551:
	v_cvt_f32_f64_e32 v2, v[0:1]
	v_and_b32_e32 v3, 0x7fffffff, v2
	s_mov_b32 s14, 0x47800000
	v_cmp_gt_u32_e32 vcc, s14, v3
	v_mov_b32_e32 v4, 0x80
	s_and_saveexec_b64 s[14:15], vcc
	s_cbranch_execz .LBB23_1557
; %bb.1552:
	s_mov_b32 s16, 0x37ffffff
	v_cmp_lt_u32_e32 vcc, s16, v3
	s_mov_b64 s[16:17], 0
                                        ; implicit-def: $vgpr3
	s_and_saveexec_b64 s[18:19], vcc
	s_xor_b64 s[18:19], exec, s[18:19]
	s_cbranch_execz .LBB23_1812
; %bb.1553:
	v_bfe_u32 v3, v2, 21, 1
	s_mov_b32 s24, 0x88fffff
	v_add3_u32 v3, v2, v3, s24
	s_mov_b64 s[16:17], exec
	v_lshrrev_b32_e32 v3, 21, v3
	s_or_saveexec_b64 s[18:19], s[18:19]
                                        ; implicit-def: $sgpr24
	s_xor_b64 exec, exec, s[18:19]
	s_cbranch_execnz .LBB23_1813
.LBB23_1554:
	s_or_b64 exec, exec, s[18:19]
	v_mov_b32_e32 v4, s24
	s_and_saveexec_b64 s[18:19], s[16:17]
.LBB23_1555:
	v_lshrrev_b32_e32 v2, 24, v2
	s_movk_i32 s16, 0x80
	v_and_or_b32 v4, v2, s16, v3
.LBB23_1556:
	s_or_b64 exec, exec, s[18:19]
.LBB23_1557:
	s_or_b64 exec, exec, s[14:15]
	s_mov_b64 s[14:15], 0
	global_store_byte v[6:7], v4, off
.LBB23_1558:
	s_and_b64 vcc, exec, s[14:15]
	s_cbranch_vccz .LBB23_1568
; %bb.1559:
	v_cvt_f32_f64_e32 v2, v[0:1]
	v_and_b32_e32 v4, 0x7fffffff, v2
	s_mov_b32 s14, 0x43f00000
	v_cmp_gt_u32_e32 vcc, s14, v4
                                        ; implicit-def: $vgpr3
	s_and_saveexec_b64 s[14:15], vcc
	s_xor_b64 s[14:15], exec, s[14:15]
	s_cbranch_execz .LBB23_1565
; %bb.1560:
	s_mov_b32 s16, 0x3c7fffff
	v_cmp_lt_u32_e32 vcc, s16, v4
                                        ; implicit-def: $vgpr3
	s_and_saveexec_b64 s[16:17], vcc
	s_xor_b64 s[16:17], exec, s[16:17]
; %bb.1561:
	v_bfe_u32 v3, v2, 20, 1
	s_mov_b32 s18, 0x407ffff
	v_add3_u32 v3, v2, v3, s18
	v_lshrrev_b32_e32 v4, 20, v3
	v_and_b32_e32 v3, 0xff00000, v3
	s_mov_b32 s18, 0x7f00000
	v_mov_b32_e32 v5, 0x7e
	v_cmp_ne_u32_e32 vcc, s18, v3
	v_cndmask_b32_e32 v3, v5, v4, vcc
; %bb.1562:
	s_andn2_saveexec_b64 s[16:17], s[16:17]
; %bb.1563:
	s_mov_b32 s18, 0x46800000
	v_add_f32_e64 v3, |v2|, s18
; %bb.1564:
	s_or_b64 exec, exec, s[16:17]
                                        ; implicit-def: $vgpr4
.LBB23_1565:
	s_andn2_saveexec_b64 s[14:15], s[14:15]
; %bb.1566:
	s_mov_b32 s16, 0x7f800000
	v_mov_b32_e32 v3, 0x7e
	v_mov_b32_e32 v5, 0x7f
	v_cmp_lt_u32_e32 vcc, s16, v4
	v_cndmask_b32_e32 v3, v3, v5, vcc
; %bb.1567:
	s_or_b64 exec, exec, s[14:15]
	v_lshrrev_b32_e32 v2, 24, v2
	s_movk_i32 s14, 0x80
	v_and_or_b32 v2, v2, s14, v3
	global_store_byte v[6:7], v2, off
.LBB23_1568:
	s_mov_b64 s[14:15], 0
.LBB23_1569:
	s_andn2_b64 vcc, exec, s[14:15]
	s_cbranch_vccnz .LBB23_1579
; %bb.1570:
	v_cvt_f32_f64_e32 v2, v[0:1]
	v_and_b32_e32 v4, 0x7fffffff, v2
	s_mov_b32 s14, 0x47800000
	v_cmp_gt_u32_e32 vcc, s14, v4
                                        ; implicit-def: $vgpr3
	s_and_saveexec_b64 s[14:15], vcc
	s_xor_b64 s[14:15], exec, s[14:15]
	s_cbranch_execz .LBB23_1576
; %bb.1571:
	s_mov_b32 s16, 0x387fffff
	v_cmp_lt_u32_e32 vcc, s16, v4
                                        ; implicit-def: $vgpr3
	s_and_saveexec_b64 s[16:17], vcc
	s_xor_b64 s[16:17], exec, s[16:17]
; %bb.1572:
	v_bfe_u32 v3, v2, 21, 1
	s_mov_b32 s18, 0x80fffff
	v_add3_u32 v3, v2, v3, s18
	v_lshrrev_b32_e32 v3, 21, v3
; %bb.1573:
	s_andn2_saveexec_b64 s[16:17], s[16:17]
; %bb.1574:
	s_mov_b32 s18, 0x43000000
	v_add_f32_e64 v3, |v2|, s18
; %bb.1575:
	s_or_b64 exec, exec, s[16:17]
                                        ; implicit-def: $vgpr4
.LBB23_1576:
	s_andn2_saveexec_b64 s[14:15], s[14:15]
; %bb.1577:
	s_mov_b32 s16, 0x7f800000
	v_mov_b32_e32 v3, 0x7c
	v_mov_b32_e32 v5, 0x7f
	v_cmp_lt_u32_e32 vcc, s16, v4
	v_cndmask_b32_e32 v3, v3, v5, vcc
; %bb.1578:
	s_or_b64 exec, exec, s[14:15]
	v_lshrrev_b32_e32 v2, 24, v2
	s_movk_i32 s14, 0x80
	v_and_or_b32 v2, v2, s14, v3
	global_store_byte v[6:7], v2, off
.LBB23_1579:
	s_mov_b64 s[14:15], 0
.LBB23_1580:
	s_andn2_b64 vcc, exec, s[14:15]
	s_mov_b64 s[16:17], 0
	s_cbranch_vccnz .LBB23_1592
; %bb.1581:
	v_cmp_lt_i16_e32 vcc, 14, v11
	s_mov_b64 s[14:15], -1
	s_cbranch_vccz .LBB23_1585
; %bb.1582:
	v_cmp_eq_u16_e32 vcc, 15, v11
	s_mov_b64 s[0:1], -1
	s_cbranch_vccz .LBB23_1584
; %bb.1583:
	v_cvt_f32_f64_e32 v2, v[0:1]
	v_bfe_u32 v3, v2, 16, 1
	s_movk_i32 s0, 0x7fff
	v_add3_u32 v3, v2, v3, s0
	v_lshrrev_b32_e32 v3, 16, v3
	v_mov_b32_e32 v4, 0x7fc0
	v_cmp_o_f32_e32 vcc, v2, v2
	v_cndmask_b32_e32 v2, v4, v3, vcc
	global_store_short v[6:7], v2, off
	s_mov_b64 s[0:1], 0
.LBB23_1584:
	s_mov_b64 s[14:15], 0
.LBB23_1585:
	s_and_b64 vcc, exec, s[14:15]
	s_cbranch_vccz .LBB23_1592
; %bb.1586:
	v_cmp_ne_u16_e32 vcc, 11, v11
	s_andn2_b64 s[0:1], s[0:1], exec
	s_and_b64 s[14:15], vcc, exec
	s_mov_b64 s[16:17], -1
	s_or_b64 s[0:1], s[0:1], s[14:15]
	s_branch .LBB23_1592
.LBB23_1587:
	s_or_b64 exec, exec, s[12:13]
	s_and_saveexec_b64 s[0:1], s[36:37]
	s_cbranch_execnz .LBB23_1593
.LBB23_1588:
	s_or_b64 exec, exec, s[0:1]
	s_and_saveexec_b64 s[0:1], s[18:19]
	s_xor_b64 s[0:1], exec, s[0:1]
	s_cbranch_execz .LBB23_1594
.LBB23_1589:
	v_cmp_neq_f64_e32 vcc, 0, v[0:1]
	v_cndmask_b32_e64 v2, 0, 1, vcc
	s_waitcnt vmcnt(0)
	global_store_byte v[6:7], v2, off
	s_or_b64 exec, exec, s[0:1]
	s_and_saveexec_b64 s[0:1], s[14:15]
	s_xor_b64 s[0:1], exec, s[0:1]
	s_cbranch_execz .LBB23_1632
	s_branch .LBB23_1595
.LBB23_1590:
	s_mov_b64 s[16:17], 0
	s_mov_b64 s[8:9], -1
	s_mov_b64 s[0:1], s[36:37]
	s_branch .LBB23_1592
.LBB23_1591:
	s_mov_b64 s[16:17], 0
.LBB23_1592:
	s_and_b64 s[14:15], s[8:9], exec
	s_andn2_b64 s[8:9], s[36:37], exec
	s_and_b64 s[0:1], s[0:1], exec
	s_and_b64 s[18:19], s[16:17], exec
	s_or_b64 s[36:37], s[8:9], s[0:1]
	s_or_b64 exec, exec, s[12:13]
	s_and_saveexec_b64 s[0:1], s[36:37]
	s_cbranch_execz .LBB23_1588
.LBB23_1593:
	s_or_b64 s[10:11], s[10:11], exec
	s_andn2_b64 s[18:19], s[18:19], exec
	s_trap 2
	s_or_b64 exec, exec, s[0:1]
	s_and_saveexec_b64 s[0:1], s[18:19]
	s_xor_b64 s[0:1], exec, s[0:1]
	s_cbranch_execnz .LBB23_1589
.LBB23_1594:
	s_or_b64 exec, exec, s[0:1]
	s_and_saveexec_b64 s[0:1], s[14:15]
	s_xor_b64 s[0:1], exec, s[0:1]
	s_cbranch_execz .LBB23_1632
.LBB23_1595:
	s_waitcnt vmcnt(0)
	v_cmp_gt_i16_e32 vcc, 5, v11
	s_mov_b64 s[8:9], -1
	s_cbranch_vccnz .LBB23_1616
; %bb.1596:
	v_cmp_gt_i16_e32 vcc, 8, v11
	s_cbranch_vccnz .LBB23_1606
; %bb.1597:
	v_cmp_gt_i16_e32 vcc, 9, v11
	s_cbranch_vccnz .LBB23_1603
; %bb.1598:
	v_cmp_lt_i16_e32 vcc, 9, v11
	s_cbranch_vccz .LBB23_1600
; %bb.1599:
	v_mov_b32_e32 v2, 0
	v_mov_b32_e32 v3, v2
	s_mov_b64 s[8:9], 0
	global_store_dwordx4 v[6:7], v[0:3], off
.LBB23_1600:
	s_andn2_b64 vcc, exec, s[8:9]
	s_cbranch_vccnz .LBB23_1602
; %bb.1601:
	v_cvt_f32_f64_e32 v2, v[0:1]
	v_mov_b32_e32 v3, 0
	global_store_dwordx2 v[6:7], v[2:3], off
.LBB23_1602:
	s_mov_b64 s[8:9], 0
.LBB23_1603:
	s_andn2_b64 vcc, exec, s[8:9]
	s_cbranch_vccnz .LBB23_1605
; %bb.1604:
	v_cvt_f32_f64_e32 v2, v[0:1]
	v_cvt_f16_f32_e32 v2, v2
	global_store_dword v[6:7], v2, off
.LBB23_1605:
	s_mov_b64 s[8:9], 0
.LBB23_1606:
	s_andn2_b64 vcc, exec, s[8:9]
	s_cbranch_vccnz .LBB23_1615
; %bb.1607:
	v_cmp_gt_i16_e32 vcc, 6, v11
	s_mov_b64 s[8:9], -1
	s_cbranch_vccnz .LBB23_1613
; %bb.1608:
	v_cmp_lt_i16_e32 vcc, 6, v11
	s_cbranch_vccz .LBB23_1610
; %bb.1609:
	s_mov_b64 s[8:9], 0
	global_store_dwordx2 v[6:7], v[0:1], off
.LBB23_1610:
	s_andn2_b64 vcc, exec, s[8:9]
	s_cbranch_vccnz .LBB23_1612
; %bb.1611:
	v_cvt_f32_f64_e32 v2, v[0:1]
	global_store_dword v[6:7], v2, off
.LBB23_1612:
	s_mov_b64 s[8:9], 0
.LBB23_1613:
	s_andn2_b64 vcc, exec, s[8:9]
	s_cbranch_vccnz .LBB23_1615
; %bb.1614:
	v_cvt_f32_f64_e32 v2, v[0:1]
	v_cvt_f16_f32_e32 v2, v2
	global_store_short v[6:7], v2, off
.LBB23_1615:
	s_mov_b64 s[8:9], 0
.LBB23_1616:
	s_andn2_b64 vcc, exec, s[8:9]
	s_cbranch_vccnz .LBB23_1632
; %bb.1617:
	v_cmp_gt_i16_e32 vcc, 2, v11
	s_mov_b64 s[8:9], -1
	s_cbranch_vccnz .LBB23_1627
; %bb.1618:
	v_cmp_gt_i16_e32 vcc, 3, v11
	s_cbranch_vccnz .LBB23_1624
; %bb.1619:
	v_cmp_lt_i16_e32 vcc, 3, v11
	s_cbranch_vccz .LBB23_1621
; %bb.1620:
	v_trunc_f64_e32 v[2:3], v[0:1]
	s_movk_i32 s8, 0xffe0
	v_ldexp_f64 v[4:5], v[2:3], s8
	v_floor_f64_e32 v[4:5], v[4:5]
	v_fmac_f64_e32 v[2:3], 0xc1f00000, v[4:5]
	v_cvt_i32_f64_e32 v9, v[4:5]
	v_cvt_u32_f64_e32 v8, v[2:3]
	s_mov_b64 s[8:9], 0
	global_store_dwordx2 v[6:7], v[8:9], off
.LBB23_1621:
	s_andn2_b64 vcc, exec, s[8:9]
	s_cbranch_vccnz .LBB23_1623
; %bb.1622:
	v_cvt_i32_f64_e32 v2, v[0:1]
	global_store_dword v[6:7], v2, off
.LBB23_1623:
	s_mov_b64 s[8:9], 0
.LBB23_1624:
	s_andn2_b64 vcc, exec, s[8:9]
	s_cbranch_vccnz .LBB23_1626
; %bb.1625:
	v_cvt_i32_f64_e32 v2, v[0:1]
	global_store_short v[6:7], v2, off
.LBB23_1626:
	s_mov_b64 s[8:9], 0
.LBB23_1627:
	s_andn2_b64 vcc, exec, s[8:9]
	s_cbranch_vccnz .LBB23_1632
; %bb.1628:
	v_cmp_lt_i16_e32 vcc, 0, v11
	s_mov_b64 s[8:9], -1
	s_cbranch_vccz .LBB23_1630
; %bb.1629:
	v_cvt_i32_f64_e32 v2, v[0:1]
	s_mov_b64 s[8:9], 0
	global_store_byte v[6:7], v2, off
.LBB23_1630:
	s_andn2_b64 vcc, exec, s[8:9]
	s_cbranch_vccnz .LBB23_1632
; %bb.1631:
	v_trunc_f64_e32 v[0:1], v[0:1]
	s_movk_i32 s8, 0xffe0
	v_ldexp_f64 v[2:3], v[0:1], s8
	v_floor_f64_e32 v[2:3], v[2:3]
	v_fmac_f64_e32 v[0:1], 0xc1f00000, v[2:3]
	v_cvt_u32_f64_e32 v0, v[0:1]
	global_store_byte v[6:7], v0, off
.LBB23_1632:
	s_or_b64 exec, exec, s[0:1]
	s_and_b64 s[12:13], s[10:11], exec
                                        ; implicit-def: $vgpr24
                                        ; implicit-def: $vgpr14
.LBB23_1633:
	s_or_saveexec_b64 s[14:15], s[22:23]
	s_mov_b64 s[0:1], 0
                                        ; implicit-def: $vgpr0_vgpr1
                                        ; implicit-def: $vgpr2
                                        ; implicit-def: $vgpr12_vgpr13
	s_xor_b64 exec, exec, s[14:15]
	s_cbranch_execz .LBB23_2766
; %bb.1634:
	v_cndmask_b32_e64 v0, 0, 1, s[20:21]
	v_cmp_ne_u32_e64 s[0:1], 1, v0
	s_andn2_b64 vcc, exec, s[20:21]
	s_cbranch_vccnz .LBB23_1640
; %bb.1635:
	s_cmp_lg_u32 s33, 0
	v_mov_b32_e32 v0, 0
	v_mov_b32_e32 v22, 0
	;; [unrolled: 1-line block ×3, first 2 shown]
	s_cbranch_scc0 .LBB23_1641
; %bb.1636:
	s_min_u32 s8, s68, 15
	s_add_i32 s6, s8, 1
	s_and_b32 s9, s6, 30
	s_add_u32 s6, s2, 0xffffffec
	s_addc_u32 s7, s3, -1
	v_mov_b32_e32 v2, 0
	v_mov_b32_e32 v1, v14
	;; [unrolled: 1-line block ×4, first 2 shown]
.LBB23_1637:                            ; =>This Inner Loop Header: Depth=1
	s_mov_b64 s[10:11], s[6:7]
	s_load_dwordx4 s[16:19], s[10:11], 0x18
	s_load_dwordx2 s[24:25], s[10:11], 0x28
	s_load_dwordx2 s[26:27], s[10:11], 0xe8
	s_load_dwordx4 s[20:23], s[10:11], 0xd8
	s_add_u32 s6, s10, 24
	s_waitcnt lgkmcnt(0)
	v_mul_hi_u32 v3, s17, v1
	v_add_u32_e32 v3, v1, v3
	v_lshrrev_b32_e32 v3, s18, v3
	s_waitcnt vmcnt(0)
	v_mul_lo_u32 v4, v3, s16
	v_mul_hi_u32 v5, s24, v3
	v_sub_u32_e32 v1, v1, v4
	v_add_u32_e32 v4, v3, v5
	v_mul_lo_u32 v5, v1, s20
	v_mul_lo_u32 v6, v1, s21
	;; [unrolled: 1-line block ×3, first 2 shown]
	v_lshrrev_b32_e32 v1, s25, v4
	v_mul_lo_u32 v4, v1, s19
	v_sub_u32_e32 v3, v3, v4
	s_addc_u32 s7, s11, 0
	s_add_i32 s9, s9, -2
	v_mul_lo_u32 v4, v3, s23
	v_mul_lo_u32 v8, v3, s26
	;; [unrolled: 1-line block ×3, first 2 shown]
	s_cmp_lg_u32 s9, 0
	v_add3_u32 v2, v5, v2, v4
	v_add3_u32 v0, v7, v0, v3
	;; [unrolled: 1-line block ×3, first 2 shown]
	s_cbranch_scc1 .LBB23_1637
; %bb.1638:
	s_bitcmp1_b32 s8, 0
	s_cselect_b64 s[8:9], -1, 0
	s_and_b64 vcc, exec, s[8:9]
	s_cbranch_vccnz .LBB23_1641
; %bb.1639:
	s_load_dwordx2 s[8:9], s[6:7], 0x18
	s_load_dword s16, s[6:7], 0x20
	s_load_dword s17, s[6:7], 0xe0
	s_load_dwordx2 s[10:11], s[6:7], 0xd8
	s_waitcnt lgkmcnt(0)
	v_mul_hi_u32 v3, s9, v1
	v_add_u32_e32 v3, v1, v3
	v_lshrrev_b32_e32 v3, s16, v3
	v_mul_lo_u32 v3, v3, s8
	v_sub_u32_e32 v1, v1, v3
	v_mad_u64_u32 v[2:3], s[6:7], v1, s10, v[2:3]
	v_mad_u64_u32 v[22:23], s[6:7], v1, s11, v[22:23]
	;; [unrolled: 1-line block ×3, first 2 shown]
	s_cbranch_execz .LBB23_1642
	s_branch .LBB23_1644
.LBB23_1640:
                                        ; implicit-def: $vgpr0
                                        ; implicit-def: $vgpr22
                                        ; implicit-def: $vgpr2
	s_branch .LBB23_1642
.LBB23_1641:
	s_cbranch_execnz .LBB23_1644
.LBB23_1642:
	s_load_dwordx4 s[8:11], s[2:3], 0x4
	s_load_dwordx4 s[16:19], s[2:3], 0xc4
	s_cmp_lt_u32 s33, 2
	s_waitcnt lgkmcnt(0)
	v_mul_hi_u32 v0, s9, v14
	v_add_u32_e32 v0, v14, v0
	v_lshrrev_b32_e32 v1, s10, v0
	v_mul_lo_u32 v0, v1, s8
	v_sub_u32_e32 v3, v14, v0
	v_mul_lo_u32 v2, v3, s16
	v_mul_lo_u32 v0, v3, s18
	;; [unrolled: 1-line block ×3, first 2 shown]
	s_cbranch_scc1 .LBB23_1644
; %bb.1643:
	s_load_dwordx4 s[8:11], s[2:3], 0x10
	s_load_dwordx4 s[16:19], s[2:3], 0xd0
	s_waitcnt lgkmcnt(0)
	v_mul_hi_u32 v3, s9, v1
	v_add_u32_e32 v3, v1, v3
	v_lshrrev_b32_e32 v3, s10, v3
	v_mul_lo_u32 v3, v3, s8
	v_sub_u32_e32 v1, v1, v3
	v_mad_u64_u32 v[2:3], s[6:7], v1, s16, v[2:3]
	v_mad_u64_u32 v[22:23], s[6:7], v1, s17, v[22:23]
	v_mad_u64_u32 v[0:1], s[6:7], v1, s18, v[0:1]
.LBB23_1644:
	s_and_b64 vcc, exec, s[0:1]
	v_add_u32_e32 v1, 0x80, v14
	s_cbranch_vccnz .LBB23_1650
; %bb.1645:
	s_cmp_lg_u32 s33, 0
	s_waitcnt vmcnt(0)
	v_mov_b32_e32 v4, 0
	v_mov_b32_e32 v20, 0
	;; [unrolled: 1-line block ×3, first 2 shown]
	s_cbranch_scc0 .LBB23_1651
; %bb.1646:
	s_min_u32 s8, s68, 15
	s_add_i32 s6, s8, 1
	s_and_b32 s9, s6, 30
	s_add_u32 s6, s2, 0xffffffec
	s_addc_u32 s7, s3, -1
	v_mov_b32_e32 v6, 0
	v_mov_b32_e32 v3, v1
	;; [unrolled: 1-line block ×4, first 2 shown]
.LBB23_1647:                            ; =>This Inner Loop Header: Depth=1
	s_mov_b64 s[10:11], s[6:7]
	s_load_dwordx4 s[16:19], s[10:11], 0x18
	s_load_dwordx2 s[24:25], s[10:11], 0x28
	s_load_dwordx2 s[26:27], s[10:11], 0xe8
	s_load_dwordx4 s[20:23], s[10:11], 0xd8
	s_add_u32 s6, s10, 24
	s_waitcnt lgkmcnt(0)
	v_mul_hi_u32 v5, s17, v3
	v_add_u32_e32 v5, v3, v5
	v_lshrrev_b32_e32 v5, s18, v5
	v_mul_lo_u32 v7, v5, s16
	v_mul_hi_u32 v8, s24, v5
	v_sub_u32_e32 v3, v3, v7
	v_add_u32_e32 v7, v5, v8
	v_mul_lo_u32 v8, v3, s20
	v_mul_lo_u32 v9, v3, s21
	;; [unrolled: 1-line block ×3, first 2 shown]
	v_lshrrev_b32_e32 v3, s25, v7
	v_mul_lo_u32 v7, v3, s19
	v_sub_u32_e32 v5, v5, v7
	s_addc_u32 s7, s11, 0
	s_add_i32 s9, s9, -2
	v_mul_lo_u32 v7, v5, s23
	v_mul_lo_u32 v11, v5, s26
	;; [unrolled: 1-line block ×3, first 2 shown]
	s_cmp_lg_u32 s9, 0
	v_add3_u32 v6, v8, v6, v7
	v_add3_u32 v4, v10, v4, v5
	;; [unrolled: 1-line block ×3, first 2 shown]
	s_cbranch_scc1 .LBB23_1647
; %bb.1648:
	s_bitcmp1_b32 s8, 0
	s_cselect_b64 s[8:9], -1, 0
	s_and_b64 vcc, exec, s[8:9]
	s_cbranch_vccnz .LBB23_1651
; %bb.1649:
	s_load_dwordx2 s[8:9], s[6:7], 0x18
	s_load_dword s16, s[6:7], 0x20
	s_load_dword s17, s[6:7], 0xe0
	s_load_dwordx2 s[10:11], s[6:7], 0xd8
	s_waitcnt lgkmcnt(0)
	v_mul_hi_u32 v5, s9, v3
	v_add_u32_e32 v5, v3, v5
	v_lshrrev_b32_e32 v5, s16, v5
	v_mul_lo_u32 v5, v5, s8
	v_sub_u32_e32 v3, v3, v5
	v_mad_u64_u32 v[6:7], s[6:7], v3, s10, v[6:7]
	v_mad_u64_u32 v[20:21], s[6:7], v3, s11, v[20:21]
	;; [unrolled: 1-line block ×3, first 2 shown]
	s_cbranch_execz .LBB23_1652
	s_branch .LBB23_1654
.LBB23_1650:
                                        ; implicit-def: $vgpr4
                                        ; implicit-def: $vgpr20
                                        ; implicit-def: $vgpr6
	s_branch .LBB23_1652
.LBB23_1651:
	s_cbranch_execnz .LBB23_1654
.LBB23_1652:
	s_load_dwordx4 s[8:11], s[2:3], 0x4
	s_load_dwordx4 s[16:19], s[2:3], 0xc4
	s_cmp_lt_u32 s33, 2
	s_waitcnt lgkmcnt(0)
	v_mul_hi_u32 v3, s9, v1
	v_add_u32_e32 v3, v1, v3
	v_lshrrev_b32_e32 v3, s10, v3
	s_waitcnt vmcnt(0)
	v_mul_lo_u32 v4, v3, s8
	v_sub_u32_e32 v1, v1, v4
	v_mul_lo_u32 v6, v1, s16
	v_mul_lo_u32 v4, v1, s18
	v_mul_lo_u32 v20, v1, s17
	s_cbranch_scc1 .LBB23_1654
; %bb.1653:
	s_load_dwordx4 s[8:11], s[2:3], 0x10
	s_load_dwordx4 s[16:19], s[2:3], 0xd0
	s_waitcnt lgkmcnt(0)
	v_mul_hi_u32 v1, s9, v3
	v_add_u32_e32 v1, v3, v1
	v_lshrrev_b32_e32 v1, s10, v1
	v_mul_lo_u32 v1, v1, s8
	v_sub_u32_e32 v1, v3, v1
	v_mad_u64_u32 v[6:7], s[6:7], v1, s16, v[6:7]
	v_mad_u64_u32 v[20:21], s[6:7], v1, s17, v[20:21]
	;; [unrolled: 1-line block ×3, first 2 shown]
.LBB23_1654:
	s_and_b64 vcc, exec, s[0:1]
	v_add_u32_e32 v1, 0x100, v14
	s_cbranch_vccnz .LBB23_1660
; %bb.1655:
	s_cmp_lg_u32 s33, 0
	s_waitcnt vmcnt(0)
	v_mov_b32_e32 v8, 0
	v_mov_b32_e32 v18, 0
	;; [unrolled: 1-line block ×3, first 2 shown]
	s_cbranch_scc0 .LBB23_1661
; %bb.1656:
	s_min_u32 s8, s68, 15
	s_add_i32 s6, s8, 1
	s_and_b32 s9, s6, 30
	s_add_u32 s6, s2, 0xffffffec
	s_addc_u32 s7, s3, -1
	v_mov_b32_e32 v10, 0
	v_mov_b32_e32 v3, v1
	;; [unrolled: 1-line block ×4, first 2 shown]
.LBB23_1657:                            ; =>This Inner Loop Header: Depth=1
	s_mov_b64 s[10:11], s[6:7]
	s_load_dwordx4 s[16:19], s[10:11], 0x18
	s_load_dwordx2 s[24:25], s[10:11], 0x28
	s_load_dwordx2 s[26:27], s[10:11], 0xe8
	s_load_dwordx4 s[20:23], s[10:11], 0xd8
	s_add_u32 s6, s10, 24
	s_waitcnt lgkmcnt(0)
	v_mul_hi_u32 v5, s17, v3
	v_add_u32_e32 v5, v3, v5
	v_lshrrev_b32_e32 v5, s18, v5
	v_mul_lo_u32 v7, v5, s16
	v_mul_hi_u32 v9, s24, v5
	v_sub_u32_e32 v3, v3, v7
	v_add_u32_e32 v7, v5, v9
	v_mul_lo_u32 v9, v3, s20
	v_mul_lo_u32 v11, v3, s21
	;; [unrolled: 1-line block ×3, first 2 shown]
	v_lshrrev_b32_e32 v3, s25, v7
	v_mul_lo_u32 v7, v3, s19
	v_sub_u32_e32 v5, v5, v7
	s_addc_u32 s7, s11, 0
	s_add_i32 s9, s9, -2
	v_mul_lo_u32 v7, v5, s23
	v_mul_lo_u32 v13, v5, s26
	;; [unrolled: 1-line block ×3, first 2 shown]
	s_cmp_lg_u32 s9, 0
	v_add3_u32 v10, v9, v10, v7
	v_add3_u32 v8, v12, v8, v5
	;; [unrolled: 1-line block ×3, first 2 shown]
	s_cbranch_scc1 .LBB23_1657
; %bb.1658:
	s_bitcmp1_b32 s8, 0
	s_cselect_b64 s[8:9], -1, 0
	s_and_b64 vcc, exec, s[8:9]
	s_cbranch_vccnz .LBB23_1661
; %bb.1659:
	s_load_dwordx2 s[8:9], s[6:7], 0x18
	s_load_dword s16, s[6:7], 0x20
	s_load_dword s17, s[6:7], 0xe0
	s_load_dwordx2 s[10:11], s[6:7], 0xd8
	s_waitcnt lgkmcnt(0)
	v_mul_hi_u32 v5, s9, v3
	v_add_u32_e32 v5, v3, v5
	v_lshrrev_b32_e32 v5, s16, v5
	v_mul_lo_u32 v5, v5, s8
	v_sub_u32_e32 v3, v3, v5
	v_mad_u64_u32 v[10:11], s[6:7], v3, s10, v[10:11]
	v_mad_u64_u32 v[18:19], s[6:7], v3, s11, v[18:19]
	;; [unrolled: 1-line block ×3, first 2 shown]
	s_cbranch_execz .LBB23_1662
	s_branch .LBB23_1664
.LBB23_1660:
                                        ; implicit-def: $vgpr8
                                        ; implicit-def: $vgpr18
                                        ; implicit-def: $vgpr10
	s_branch .LBB23_1662
.LBB23_1661:
	s_cbranch_execnz .LBB23_1664
.LBB23_1662:
	s_load_dwordx4 s[8:11], s[2:3], 0x4
	s_load_dwordx4 s[16:19], s[2:3], 0xc4
	s_cmp_lt_u32 s33, 2
	s_waitcnt lgkmcnt(0)
	v_mul_hi_u32 v3, s9, v1
	v_add_u32_e32 v3, v1, v3
	v_lshrrev_b32_e32 v3, s10, v3
	s_waitcnt vmcnt(0)
	v_mul_lo_u32 v5, v3, s8
	v_sub_u32_e32 v1, v1, v5
	v_mul_lo_u32 v10, v1, s16
	v_mul_lo_u32 v8, v1, s18
	;; [unrolled: 1-line block ×3, first 2 shown]
	s_cbranch_scc1 .LBB23_1664
; %bb.1663:
	s_load_dwordx4 s[8:11], s[2:3], 0x10
	s_load_dwordx4 s[16:19], s[2:3], 0xd0
	s_waitcnt lgkmcnt(0)
	v_mul_hi_u32 v1, s9, v3
	v_add_u32_e32 v1, v3, v1
	v_lshrrev_b32_e32 v1, s10, v1
	v_mul_lo_u32 v1, v1, s8
	v_sub_u32_e32 v1, v3, v1
	v_mad_u64_u32 v[10:11], s[6:7], v1, s16, v[10:11]
	v_mad_u64_u32 v[18:19], s[6:7], v1, s17, v[18:19]
	;; [unrolled: 1-line block ×3, first 2 shown]
.LBB23_1664:
	s_and_b64 vcc, exec, s[0:1]
	s_cbranch_vccnz .LBB23_1670
; %bb.1665:
	s_cmp_lg_u32 s33, 0
	v_mov_b32_e32 v12, 0
	v_mov_b32_e32 v16, 0
	v_mov_b32_e32 v14, 0
	s_cbranch_scc0 .LBB23_1671
; %bb.1666:
	s_min_u32 s6, s68, 15
	s_add_i32 s0, s6, 1
	s_and_b32 s7, s0, 30
	s_add_u32 s0, s2, 0xffffffec
	s_addc_u32 s1, s3, -1
	v_mov_b32_e32 v14, 0
	v_mov_b32_e32 v1, v24
	v_mov_b32_e32 v16, 0
	v_mov_b32_e32 v12, 0
.LBB23_1667:                            ; =>This Inner Loop Header: Depth=1
	s_mov_b64 s[20:21], s[0:1]
	s_load_dwordx4 s[8:11], s[20:21], 0x18
	s_load_dwordx2 s[22:23], s[20:21], 0x28
	s_load_dwordx2 s[24:25], s[20:21], 0xe8
	s_load_dwordx4 s[16:19], s[20:21], 0xd8
	s_add_u32 s0, s20, 24
	s_waitcnt lgkmcnt(0)
	v_mul_hi_u32 v3, s9, v1
	v_add_u32_e32 v3, v1, v3
	v_lshrrev_b32_e32 v3, s10, v3
	s_waitcnt vmcnt(0)
	v_mul_lo_u32 v5, v3, s8
	v_mul_hi_u32 v7, s22, v3
	v_sub_u32_e32 v1, v1, v5
	v_add_u32_e32 v5, v3, v7
	v_mul_lo_u32 v7, v1, s16
	v_mul_lo_u32 v9, v1, s17
	;; [unrolled: 1-line block ×3, first 2 shown]
	v_lshrrev_b32_e32 v1, s23, v5
	v_mul_lo_u32 v5, v1, s11
	v_sub_u32_e32 v3, v3, v5
	s_addc_u32 s1, s21, 0
	s_add_i32 s7, s7, -2
	v_mul_lo_u32 v5, v3, s19
	v_mul_lo_u32 v13, v3, s24
	;; [unrolled: 1-line block ×3, first 2 shown]
	s_cmp_lg_u32 s7, 0
	v_add3_u32 v14, v7, v14, v5
	v_add3_u32 v12, v11, v12, v3
	;; [unrolled: 1-line block ×3, first 2 shown]
	s_cbranch_scc1 .LBB23_1667
; %bb.1668:
	s_bitcmp1_b32 s6, 0
	s_cselect_b64 s[6:7], -1, 0
	s_and_b64 vcc, exec, s[6:7]
	s_cbranch_vccnz .LBB23_1671
; %bb.1669:
	s_load_dwordx2 s[6:7], s[0:1], 0x18
	s_load_dword s10, s[0:1], 0x20
	s_load_dword s11, s[0:1], 0xe0
	s_load_dwordx2 s[8:9], s[0:1], 0xd8
	s_waitcnt lgkmcnt(0)
	v_mul_hi_u32 v3, s7, v1
	v_add_u32_e32 v3, v1, v3
	v_lshrrev_b32_e32 v3, s10, v3
	v_mul_lo_u32 v3, v3, s6
	v_sub_u32_e32 v1, v1, v3
	v_mad_u64_u32 v[14:15], s[0:1], v1, s8, v[14:15]
	v_mad_u64_u32 v[16:17], s[0:1], v1, s9, v[16:17]
	;; [unrolled: 1-line block ×3, first 2 shown]
	s_cbranch_execz .LBB23_1672
	s_branch .LBB23_1674
.LBB23_1670:
                                        ; implicit-def: $vgpr12
                                        ; implicit-def: $vgpr16
                                        ; implicit-def: $vgpr14
	s_branch .LBB23_1672
.LBB23_1671:
	s_cbranch_execnz .LBB23_1674
.LBB23_1672:
	s_load_dwordx4 s[8:11], s[2:3], 0x4
	s_load_dwordx4 s[16:19], s[2:3], 0xc4
	s_cmp_lt_u32 s33, 2
	s_waitcnt lgkmcnt(0)
	v_mul_hi_u32 v1, s9, v24
	v_add_u32_e32 v1, v24, v1
	v_lshrrev_b32_e32 v1, s10, v1
	v_mul_lo_u32 v3, v1, s8
	v_sub_u32_e32 v3, v24, v3
	v_mul_lo_u32 v14, v3, s16
	v_mul_lo_u32 v12, v3, s18
	;; [unrolled: 1-line block ×3, first 2 shown]
	s_cbranch_scc1 .LBB23_1674
; %bb.1673:
	s_load_dwordx4 s[8:11], s[2:3], 0x10
	s_load_dwordx4 s[16:19], s[2:3], 0xd0
	s_waitcnt lgkmcnt(0)
	v_mul_hi_u32 v3, s9, v1
	v_add_u32_e32 v3, v1, v3
	v_lshrrev_b32_e32 v3, s10, v3
	v_mul_lo_u32 v3, v3, s8
	v_sub_u32_e32 v1, v1, v3
	v_mad_u64_u32 v[14:15], s[0:1], v1, s16, v[14:15]
	v_mad_u64_u32 v[16:17], s[0:1], v1, s17, v[16:17]
	;; [unrolled: 1-line block ×3, first 2 shown]
.LBB23_1674:
	s_load_dword s26, s[4:5], 0x1a8
	s_load_dwordx4 s[8:11], s[2:3], 0x188
	s_waitcnt lgkmcnt(0)
	s_lshr_b32 s27, s26, 16
	v_mov_b32_e32 v1, s11
	v_add_co_u32_e32 v24, vcc, s10, v22
	v_addc_co_u32_e32 v25, vcc, 0, v1, vcc
	v_mov_b32_e32 v1, 11
	v_cmp_lt_i16_sdwa s[0:1], s27, v1 src0_sel:BYTE_0 src1_sel:DWORD
	s_and_b64 vcc, exec, s[0:1]
	s_cbranch_vccnz .LBB23_1681
; %bb.1675:
	v_mov_b32_e32 v1, 25
	v_cmp_gt_i16_sdwa s[0:1], s27, v1 src0_sel:BYTE_0 src1_sel:DWORD
	s_mov_b64 s[6:7], 0
	s_and_b64 vcc, exec, s[0:1]
	s_cbranch_vccz .LBB23_1683
; %bb.1676:
	v_mov_b32_e32 v1, 28
	v_cmp_gt_i16_sdwa s[0:1], s27, v1 src0_sel:BYTE_0 src1_sel:DWORD
	s_and_b64 vcc, exec, s[0:1]
	s_cbranch_vccz .LBB23_1684
; %bb.1677:
	v_mov_b32_e32 v1, 43
	v_cmp_gt_i16_sdwa s[0:1], s27, v1 src0_sel:BYTE_0 src1_sel:DWORD
	s_and_b64 vcc, exec, s[0:1]
	s_cbranch_vccz .LBB23_1685
; %bb.1678:
	v_mov_b32_e32 v1, 45
	v_cmp_gt_i16_sdwa s[0:1], s27, v1 src0_sel:BYTE_0 src1_sel:DWORD
	s_and_b64 vcc, exec, s[0:1]
	s_cbranch_vccz .LBB23_1686
; %bb.1679:
	v_mov_b32_e32 v1, 46
	v_cmp_eq_u16_sdwa s[0:1], s27, v1 src0_sel:BYTE_0 src1_sel:DWORD
	s_mov_b64 s[4:5], 0
	s_and_b64 vcc, exec, s[0:1]
	s_cbranch_vccz .LBB23_1689
; %bb.1680:
	global_load_dword v1, v[24:25], off
	s_mov_b64 s[0:1], 0
	s_mov_b64 s[16:17], -1
	s_waitcnt vmcnt(0)
	v_lshlrev_b32_e32 v1, 16, v1
	v_cvt_f64_f32_e32 v[22:23], v1
	s_branch .LBB23_1690
.LBB23_1681:
	s_mov_b64 s[16:17], 0
                                        ; implicit-def: $vgpr22_vgpr23
	s_mov_b64 s[4:5], s[12:13]
	s_cbranch_execnz .LBB23_1753
.LBB23_1682:
	s_andn2_b64 vcc, exec, s[16:17]
	s_cbranch_vccz .LBB23_1798
	s_branch .LBB23_2763
.LBB23_1683:
	s_mov_b64 s[16:17], 0
	s_mov_b64 s[0:1], 0
                                        ; implicit-def: $vgpr22_vgpr23
	s_cbranch_execnz .LBB23_1718
	s_branch .LBB23_1749
.LBB23_1684:
	s_mov_b64 s[4:5], -1
	s_mov_b64 s[16:17], 0
	s_mov_b64 s[0:1], 0
                                        ; implicit-def: $vgpr22_vgpr23
	s_branch .LBB23_1699
.LBB23_1685:
	s_mov_b64 s[16:17], 0
	s_mov_b64 s[0:1], 0
                                        ; implicit-def: $vgpr22_vgpr23
	s_cbranch_execnz .LBB23_1695
	s_branch .LBB23_1698
.LBB23_1686:
	s_mov_b64 s[4:5], -1
	s_mov_b64 s[16:17], 0
	s_mov_b64 s[0:1], 0
                                        ; implicit-def: $vgpr22_vgpr23
	s_branch .LBB23_1690
.LBB23_1687:
	s_or_saveexec_b64 s[16:17], s[16:17]
                                        ; implicit-def: $sgpr18
	s_xor_b64 exec, exec, s[16:17]
	s_cbranch_execz .LBB23_1542
.LBB23_1688:
	s_mov_b32 s18, 0x46000000
	v_add_f32_e64 v3, |v2|, s18
	v_and_b32_e32 v3, 0xff, v3
	v_cmp_ne_u32_e32 vcc, 0, v3
	s_andn2_b64 s[14:15], s[14:15], exec
	s_and_b64 s[24:25], vcc, exec
	s_mov_b32 s18, 0
	s_or_b64 s[14:15], s[14:15], s[24:25]
	s_or_b64 exec, exec, s[16:17]
	v_mov_b32_e32 v4, s18
	s_and_saveexec_b64 s[16:17], s[14:15]
	s_cbranch_execnz .LBB23_1543
	s_branch .LBB23_1544
.LBB23_1689:
	s_mov_b64 s[0:1], -1
                                        ; implicit-def: $vgpr22_vgpr23
	s_mov_b64 s[16:17], 0
.LBB23_1690:
	s_and_b64 vcc, exec, s[4:5]
	s_cbranch_vccz .LBB23_1693
; %bb.1691:
	v_mov_b32_e32 v1, 44
	v_cmp_eq_u16_sdwa s[0:1], s27, v1 src0_sel:BYTE_0 src1_sel:DWORD
	s_and_b64 vcc, exec, s[0:1]
	s_cbranch_vccz .LBB23_1694
; %bb.1692:
	global_load_ubyte v1, v[24:25], off
	s_movk_i32 s4, 0xff
	v_bfrev_b32_e32 v3, 4
	s_waitcnt vmcnt(1)
	v_mov_b32_e32 v5, 0x7ff80000
	v_bfrev_b32_e32 v7, 28
	s_mov_b64 s[0:1], 0
	s_mov_b64 s[16:17], -1
	s_waitcnt vmcnt(0)
	v_lshlrev_b32_e32 v9, 23, v1
	v_cvt_f64_f32_e32 v[22:23], v9
	v_cmp_ne_u32_e32 vcc, s4, v1
	v_cndmask_b32_e32 v3, v3, v22, vcc
	v_cndmask_b32_e32 v5, v5, v23, vcc
	v_cmp_ne_u32_e32 vcc, 0, v1
	v_cndmask_b32_e32 v23, v7, v5, vcc
	v_cndmask_b32_e32 v22, 0, v3, vcc
.LBB23_1693:
	s_branch .LBB23_1698
.LBB23_1694:
	s_mov_b64 s[0:1], -1
                                        ; implicit-def: $vgpr22_vgpr23
	s_branch .LBB23_1698
.LBB23_1695:
	v_mov_b32_e32 v1, 29
	v_cmp_eq_u16_sdwa s[0:1], s27, v1 src0_sel:BYTE_0 src1_sel:DWORD
	s_and_b64 vcc, exec, s[0:1]
	s_cbranch_vccz .LBB23_1697
; %bb.1696:
	global_load_dwordx2 v[22:23], v[24:25], off
	s_mov_b64 s[0:1], 0
	s_mov_b64 s[16:17], -1
	s_mov_b64 s[4:5], 0
	s_waitcnt vmcnt(0)
	v_cvt_f64_u32_e32 v[26:27], v23
	v_cvt_f64_u32_e32 v[22:23], v22
	v_ldexp_f64 v[26:27], v[26:27], 32
	v_add_f64 v[22:23], v[26:27], v[22:23]
	s_branch .LBB23_1699
.LBB23_1697:
	s_mov_b64 s[0:1], -1
                                        ; implicit-def: $vgpr22_vgpr23
.LBB23_1698:
	s_mov_b64 s[4:5], 0
.LBB23_1699:
	s_and_b64 vcc, exec, s[4:5]
	s_cbranch_vccz .LBB23_1717
; %bb.1700:
	v_mov_b32_e32 v1, 27
	v_cmp_lt_i16_sdwa s[4:5], s27, v1 src0_sel:BYTE_0 src1_sel:DWORD
	s_and_b64 vcc, exec, s[4:5]
	s_cbranch_vccnz .LBB23_1703
; %bb.1701:
	v_cmp_gt_i16_sdwa s[4:5], s27, v1 src0_sel:BYTE_0 src1_sel:DWORD
	s_and_b64 vcc, exec, s[4:5]
	s_cbranch_vccz .LBB23_1704
; %bb.1702:
	global_load_dword v1, v[24:25], off
	s_mov_b64 s[4:5], 0
	s_waitcnt vmcnt(0)
	v_cvt_f64_u32_e32 v[22:23], v1
	s_branch .LBB23_1705
.LBB23_1703:
	s_mov_b64 s[4:5], -1
                                        ; implicit-def: $vgpr22_vgpr23
	s_branch .LBB23_1708
.LBB23_1704:
	s_mov_b64 s[4:5], -1
                                        ; implicit-def: $vgpr22_vgpr23
.LBB23_1705:
	s_andn2_b64 vcc, exec, s[4:5]
	s_cbranch_vccnz .LBB23_1707
; %bb.1706:
	global_load_ushort v1, v[24:25], off
	s_waitcnt vmcnt(0)
	v_cvt_f64_u32_e32 v[22:23], v1
.LBB23_1707:
	s_mov_b64 s[4:5], 0
.LBB23_1708:
	s_andn2_b64 vcc, exec, s[4:5]
	s_cbranch_vccnz .LBB23_1716
; %bb.1709:
	global_load_ubyte v1, v[24:25], off
	s_movk_i32 s4, 0x7f
                                        ; implicit-def: $sgpr16_sgpr17
	s_waitcnt vmcnt(0)
	v_cmp_lt_i16_e32 vcc, s4, v1
	s_mov_b64 s[4:5], 0
	s_and_saveexec_b64 s[18:19], vcc
	s_xor_b64 s[18:19], exec, s[18:19]
	s_cbranch_execz .LBB23_1729
; %bb.1710:
	s_movk_i32 s4, 0x80
	v_cmp_eq_u16_e32 vcc, s4, v1
	s_mov_b64 s[20:21], -1
                                        ; implicit-def: $sgpr16_sgpr17
	s_and_saveexec_b64 s[4:5], vcc
; %bb.1711:
	s_mov_b32 s17, 0x7ff80000
	s_brev_b32 s16, 4
	s_xor_b64 s[20:21], exec, -1
; %bb.1712:
	s_or_b64 exec, exec, s[4:5]
	s_and_b64 s[4:5], s[20:21], exec
	s_or_saveexec_b64 s[18:19], s[18:19]
	v_pk_mov_b32 v[22:23], s[16:17], s[16:17] op_sel:[0,1]
	s_xor_b64 exec, exec, s[18:19]
	s_cbranch_execnz .LBB23_1730
.LBB23_1713:
	s_or_b64 exec, exec, s[18:19]
	s_and_saveexec_b64 s[16:17], s[4:5]
	s_cbranch_execz .LBB23_1715
.LBB23_1714:
	v_lshlrev_b32_e32 v3, 24, v1
	v_and_b32_e32 v1, 0xffff, v1
	v_and_b32_e32 v5, 7, v1
	v_ffbh_u32_e32 v9, v5
	v_min_u32_e32 v9, 32, v9
	v_subrev_u32_e32 v11, 28, v9
	v_bfe_u32 v7, v1, 3, 4
	v_lshlrev_b32_e32 v1, v11, v1
	v_sub_u32_e32 v9, 29, v9
	v_and_b32_e32 v1, 7, v1
	v_cmp_eq_u32_e32 vcc, 0, v7
	v_cndmask_b32_e32 v7, v7, v9, vcc
	v_cndmask_b32_e32 v1, v5, v1, vcc
	v_mov_b32_e32 v5, 0x3b800000
	v_lshlrev_b32_e32 v1, 20, v1
	v_and_b32_e32 v3, 0x80000000, v3
	v_lshl_add_u32 v5, v7, 23, v5
	v_or3_b32 v1, v3, v5, v1
	v_cvt_f64_f32_e32 v[22:23], v1
.LBB23_1715:
	s_or_b64 exec, exec, s[16:17]
.LBB23_1716:
	s_mov_b64 s[16:17], -1
.LBB23_1717:
	s_branch .LBB23_1749
.LBB23_1718:
	v_mov_b32_e32 v1, 22
	v_cmp_gt_i16_sdwa s[4:5], s27, v1 src0_sel:BYTE_0 src1_sel:DWORD
	s_and_b64 vcc, exec, s[4:5]
	s_cbranch_vccz .LBB23_1728
; %bb.1719:
	v_mov_b32_e32 v1, 24
	v_cmp_lt_i16_sdwa s[4:5], s27, v1 src0_sel:BYTE_0 src1_sel:DWORD
	s_and_b64 vcc, exec, s[4:5]
	s_cbranch_vccnz .LBB23_1731
; %bb.1720:
	v_cmp_gt_i16_sdwa s[4:5], s27, v1 src0_sel:BYTE_0 src1_sel:DWORD
	s_and_b64 vcc, exec, s[4:5]
	s_cbranch_vccz .LBB23_1732
; %bb.1721:
	global_load_ubyte v1, v[24:25], off
	s_movk_i32 s4, 0x7f
                                        ; implicit-def: $sgpr6_sgpr7
	s_waitcnt vmcnt(0)
	v_cmp_lt_i16_e32 vcc, s4, v1
	s_mov_b64 s[4:5], 0
	s_and_saveexec_b64 s[16:17], vcc
	s_xor_b64 s[16:17], exec, s[16:17]
	s_cbranch_execz .LBB23_1743
; %bb.1722:
	s_movk_i32 s4, 0x80
	v_cmp_eq_u16_e32 vcc, s4, v1
	s_mov_b64 s[18:19], -1
                                        ; implicit-def: $sgpr6_sgpr7
	s_and_saveexec_b64 s[4:5], vcc
; %bb.1723:
	s_mov_b32 s7, 0x7ff80000
	s_brev_b32 s6, 4
	s_xor_b64 s[18:19], exec, -1
; %bb.1724:
	s_or_b64 exec, exec, s[4:5]
	s_and_b64 s[4:5], s[18:19], exec
	s_or_saveexec_b64 s[16:17], s[16:17]
	v_pk_mov_b32 v[22:23], s[6:7], s[6:7] op_sel:[0,1]
	s_xor_b64 exec, exec, s[16:17]
	s_cbranch_execnz .LBB23_1744
.LBB23_1725:
	s_or_b64 exec, exec, s[16:17]
	s_and_saveexec_b64 s[6:7], s[4:5]
	s_cbranch_execz .LBB23_1727
.LBB23_1726:
	v_lshlrev_b32_e32 v3, 24, v1
	v_and_b32_e32 v1, 0xffff, v1
	v_and_b32_e32 v5, 3, v1
	v_ffbh_u32_e32 v9, v5
	v_min_u32_e32 v9, 32, v9
	v_subrev_u32_e32 v11, 29, v9
	v_bfe_u32 v7, v1, 2, 5
	v_lshlrev_b32_e32 v1, v11, v1
	v_sub_u32_e32 v9, 30, v9
	v_and_b32_e32 v1, 3, v1
	v_cmp_eq_u32_e32 vcc, 0, v7
	v_cndmask_b32_e32 v7, v7, v9, vcc
	v_cndmask_b32_e32 v1, v5, v1, vcc
	v_mov_b32_e32 v5, 0x37800000
	v_lshlrev_b32_e32 v1, 21, v1
	v_and_b32_e32 v3, 0x80000000, v3
	v_lshl_add_u32 v5, v7, 23, v5
	v_or3_b32 v1, v3, v5, v1
	v_cvt_f64_f32_e32 v[22:23], v1
.LBB23_1727:
	s_or_b64 exec, exec, s[6:7]
	s_mov_b64 s[4:5], 0
	s_branch .LBB23_1733
.LBB23_1728:
                                        ; implicit-def: $vgpr22_vgpr23
	s_mov_b64 s[6:7], 0
	s_branch .LBB23_1739
.LBB23_1729:
	s_or_saveexec_b64 s[18:19], s[18:19]
	v_pk_mov_b32 v[22:23], s[16:17], s[16:17] op_sel:[0,1]
	s_xor_b64 exec, exec, s[18:19]
	s_cbranch_execz .LBB23_1713
.LBB23_1730:
	v_cmp_ne_u16_e32 vcc, 0, v1
	s_andn2_b64 s[4:5], s[4:5], exec
	s_and_b64 s[16:17], vcc, exec
	v_pk_mov_b32 v[22:23], 0, 0
	s_or_b64 s[4:5], s[4:5], s[16:17]
	s_or_b64 exec, exec, s[18:19]
	s_and_saveexec_b64 s[16:17], s[4:5]
	s_cbranch_execnz .LBB23_1714
	s_branch .LBB23_1715
.LBB23_1731:
	s_mov_b64 s[4:5], -1
                                        ; implicit-def: $vgpr22_vgpr23
	s_branch .LBB23_1736
.LBB23_1732:
	s_mov_b64 s[4:5], -1
                                        ; implicit-def: $vgpr22_vgpr23
.LBB23_1733:
	s_and_b64 vcc, exec, s[4:5]
	s_cbranch_vccz .LBB23_1735
; %bb.1734:
	global_load_ubyte v1, v[24:25], off
	s_mov_b32 s4, 0x7f800000
	s_waitcnt vmcnt(0)
	v_lshlrev_b32_e32 v1, 24, v1
	v_and_b32_e32 v3, 0x7f000000, v1
	v_ffbh_u32_e32 v5, v3
	v_min_u32_e32 v5, 32, v5
	v_sub_u32_e64 v5, v5, 4 clamp
	v_lshlrev_b32_e32 v9, v5, v3
	v_lshlrev_b32_e32 v5, 23, v5
	v_lshrrev_b32_e32 v9, 4, v9
	v_add_u32_e32 v7, 0x1000000, v3
	v_sub_u32_e32 v5, v9, v5
	v_ashrrev_i32_e32 v7, 8, v7
	v_add_u32_e32 v5, 0x3c000000, v5
	v_and_or_b32 v5, v7, s4, v5
	v_cmp_ne_u32_e32 vcc, 0, v3
	v_cndmask_b32_e32 v3, 0, v5, vcc
	s_brev_b32 s4, 1
	v_and_or_b32 v1, v1, s4, v3
	v_cvt_f64_f32_e32 v[22:23], v1
.LBB23_1735:
	s_mov_b64 s[4:5], 0
.LBB23_1736:
	s_andn2_b64 vcc, exec, s[4:5]
	s_cbranch_vccnz .LBB23_1738
; %bb.1737:
	global_load_ubyte v1, v[24:25], off
	s_movk_i32 s4, 0x7f00
	s_brev_b32 s5, 16
	s_waitcnt vmcnt(0)
	v_lshlrev_b16_e32 v3, 8, v1
	v_lshlrev_b32_e32 v1, 25, v1
	v_lshrrev_b32_e32 v5, 4, v1
	v_and_or_b32 v7, v3, s4, 0.5
	v_or_b32_e32 v5, 0x70000000, v5
	v_add_f32_e32 v7, -0.5, v7
	v_mul_f32_e32 v5, 0x7800000, v5
	v_cmp_gt_u32_e32 vcc, s5, v1
	v_bfe_i32 v3, v3, 0, 16
	v_cndmask_b32_e32 v1, v5, v7, vcc
	s_brev_b32 s4, 1
	v_and_or_b32 v1, v3, s4, v1
	v_cvt_f64_f32_e32 v[22:23], v1
.LBB23_1738:
	s_mov_b64 s[16:17], -1
	s_mov_b64 s[6:7], 0
	s_cbranch_execnz .LBB23_1749
.LBB23_1739:
	v_mov_b32_e32 v1, 14
	v_cmp_gt_i16_sdwa s[4:5], s27, v1 src0_sel:BYTE_0 src1_sel:DWORD
	s_and_b64 vcc, exec, s[4:5]
	s_cbranch_vccz .LBB23_1742
; %bb.1740:
	v_mov_b32_e32 v1, 15
	v_cmp_eq_u16_sdwa s[0:1], s27, v1 src0_sel:BYTE_0 src1_sel:DWORD
	s_and_b64 vcc, exec, s[0:1]
	s_cbranch_vccz .LBB23_1745
; %bb.1741:
	global_load_ushort v1, v[24:25], off
	s_mov_b64 s[0:1], 0
	s_mov_b64 s[16:17], -1
	s_waitcnt vmcnt(0)
	v_lshlrev_b32_e32 v1, 16, v1
	v_cvt_f64_f32_e32 v[22:23], v1
	s_branch .LBB23_1746
.LBB23_1742:
	s_mov_b64 s[4:5], -1
                                        ; implicit-def: $vgpr22_vgpr23
	s_branch .LBB23_1747
.LBB23_1743:
	s_or_saveexec_b64 s[16:17], s[16:17]
	v_pk_mov_b32 v[22:23], s[6:7], s[6:7] op_sel:[0,1]
	s_xor_b64 exec, exec, s[16:17]
	s_cbranch_execz .LBB23_1725
.LBB23_1744:
	v_cmp_ne_u16_e32 vcc, 0, v1
	s_andn2_b64 s[4:5], s[4:5], exec
	s_and_b64 s[6:7], vcc, exec
	v_pk_mov_b32 v[22:23], 0, 0
	s_or_b64 s[4:5], s[4:5], s[6:7]
	s_or_b64 exec, exec, s[16:17]
	s_and_saveexec_b64 s[6:7], s[4:5]
	s_cbranch_execnz .LBB23_1726
	s_branch .LBB23_1727
.LBB23_1745:
	s_mov_b64 s[0:1], -1
                                        ; implicit-def: $vgpr22_vgpr23
.LBB23_1746:
	s_mov_b64 s[4:5], 0
.LBB23_1747:
	s_and_b64 vcc, exec, s[4:5]
	s_cbranch_vccz .LBB23_1749
; %bb.1748:
	v_mov_b32_e32 v1, 11
	v_cmp_ne_u16_sdwa s[0:1], s27, v1 src0_sel:BYTE_0 src1_sel:DWORD
	s_mov_b64 s[6:7], -1
                                        ; implicit-def: $vgpr22_vgpr23
.LBB23_1749:
	s_and_b64 vcc, exec, s[0:1]
	s_mov_b64 s[4:5], s[12:13]
	s_cbranch_vccnz .LBB23_1810
; %bb.1750:
	s_andn2_b64 vcc, exec, s[6:7]
	s_cbranch_vccnz .LBB23_1752
.LBB23_1751:
	global_load_ubyte v1, v[24:25], off
	v_mov_b32_e32 v3, 0x3ff00000
	v_mov_b32_e32 v22, 0
	s_mov_b64 s[16:17], -1
	s_waitcnt vmcnt(0)
	v_cmp_ne_u16_e32 vcc, 0, v1
	v_cndmask_b32_e32 v23, 0, v3, vcc
.LBB23_1752:
	s_branch .LBB23_1682
.LBB23_1753:
	v_mov_b32_e32 v1, 5
	v_cmp_lt_i16_sdwa s[0:1], s27, v1 src0_sel:BYTE_0 src1_sel:DWORD
	s_and_b64 vcc, exec, s[0:1]
	s_cbranch_vccnz .LBB23_1758
; %bb.1754:
	v_mov_b32_e32 v1, 8
	v_cmp_lt_i16_sdwa s[0:1], s27, v1 src0_sel:BYTE_0 src1_sel:DWORD
	s_and_b64 vcc, exec, s[0:1]
	s_cbranch_vccnz .LBB23_1759
; %bb.1755:
	;; [unrolled: 5-line block ×3, first 2 shown]
	v_cmp_gt_i16_sdwa s[0:1], s27, v1 src0_sel:BYTE_0 src1_sel:DWORD
	s_and_b64 vcc, exec, s[0:1]
	s_cbranch_vccz .LBB23_1761
; %bb.1757:
	global_load_dwordx2 v[22:23], v[24:25], off
	s_mov_b64 s[0:1], 0
	s_branch .LBB23_1762
.LBB23_1758:
                                        ; implicit-def: $vgpr22_vgpr23
	s_branch .LBB23_1779
.LBB23_1759:
                                        ; implicit-def: $vgpr22_vgpr23
	s_branch .LBB23_1768
.LBB23_1760:
	s_mov_b64 s[0:1], -1
                                        ; implicit-def: $vgpr22_vgpr23
	s_branch .LBB23_1765
.LBB23_1761:
	s_mov_b64 s[0:1], -1
                                        ; implicit-def: $vgpr22_vgpr23
.LBB23_1762:
	s_andn2_b64 vcc, exec, s[0:1]
	s_cbranch_vccnz .LBB23_1764
; %bb.1763:
	global_load_dword v1, v[24:25], off
	s_waitcnt vmcnt(0)
	v_cvt_f64_f32_e32 v[22:23], v1
.LBB23_1764:
	s_mov_b64 s[0:1], 0
.LBB23_1765:
	s_andn2_b64 vcc, exec, s[0:1]
	s_cbranch_vccnz .LBB23_1767
; %bb.1766:
	global_load_dword v1, v[24:25], off
	s_waitcnt vmcnt(0)
	v_cvt_f32_f16_e32 v1, v1
	v_cvt_f64_f32_e32 v[22:23], v1
.LBB23_1767:
	s_cbranch_execnz .LBB23_1778
.LBB23_1768:
	v_mov_b32_e32 v1, 6
	v_cmp_lt_i16_sdwa s[0:1], s27, v1 src0_sel:BYTE_0 src1_sel:DWORD
	s_and_b64 vcc, exec, s[0:1]
	s_cbranch_vccnz .LBB23_1771
; %bb.1769:
	v_cmp_gt_i16_sdwa s[0:1], s27, v1 src0_sel:BYTE_0 src1_sel:DWORD
	s_and_b64 vcc, exec, s[0:1]
	s_cbranch_vccz .LBB23_1772
; %bb.1770:
	global_load_dwordx2 v[22:23], v[24:25], off
	s_mov_b64 s[0:1], 0
	s_branch .LBB23_1773
.LBB23_1771:
	s_mov_b64 s[0:1], -1
                                        ; implicit-def: $vgpr22_vgpr23
	s_branch .LBB23_1776
.LBB23_1772:
	s_mov_b64 s[0:1], -1
                                        ; implicit-def: $vgpr22_vgpr23
.LBB23_1773:
	s_andn2_b64 vcc, exec, s[0:1]
	s_cbranch_vccnz .LBB23_1775
; %bb.1774:
	global_load_dword v1, v[24:25], off
	s_waitcnt vmcnt(0)
	v_cvt_f64_f32_e32 v[22:23], v1
.LBB23_1775:
	s_mov_b64 s[0:1], 0
.LBB23_1776:
	s_andn2_b64 vcc, exec, s[0:1]
	s_cbranch_vccnz .LBB23_1778
; %bb.1777:
	global_load_ushort v1, v[24:25], off
	s_waitcnt vmcnt(0)
	v_cvt_f32_f16_e32 v1, v1
	v_cvt_f64_f32_e32 v[22:23], v1
.LBB23_1778:
	s_cbranch_execnz .LBB23_1797
.LBB23_1779:
	v_mov_b32_e32 v1, 2
	v_cmp_lt_i16_sdwa s[0:1], s27, v1 src0_sel:BYTE_0 src1_sel:DWORD
	s_and_b64 vcc, exec, s[0:1]
	s_cbranch_vccnz .LBB23_1783
; %bb.1780:
	v_mov_b32_e32 v1, 3
	v_cmp_lt_i16_sdwa s[0:1], s27, v1 src0_sel:BYTE_0 src1_sel:DWORD
	s_and_b64 vcc, exec, s[0:1]
	s_cbranch_vccnz .LBB23_1784
; %bb.1781:
	v_cmp_gt_i16_sdwa s[0:1], s27, v1 src0_sel:BYTE_0 src1_sel:DWORD
	s_and_b64 vcc, exec, s[0:1]
	s_cbranch_vccz .LBB23_1785
; %bb.1782:
	global_load_dwordx2 v[22:23], v[24:25], off
	s_mov_b64 s[0:1], 0
	s_waitcnt vmcnt(0)
	v_cvt_f64_i32_e32 v[26:27], v23
	v_cvt_f64_u32_e32 v[22:23], v22
	v_ldexp_f64 v[26:27], v[26:27], 32
	v_add_f64 v[22:23], v[26:27], v[22:23]
	s_branch .LBB23_1786
.LBB23_1783:
                                        ; implicit-def: $vgpr22_vgpr23
	s_branch .LBB23_1792
.LBB23_1784:
	s_mov_b64 s[0:1], -1
                                        ; implicit-def: $vgpr22_vgpr23
	s_branch .LBB23_1789
.LBB23_1785:
	s_mov_b64 s[0:1], -1
                                        ; implicit-def: $vgpr22_vgpr23
.LBB23_1786:
	s_andn2_b64 vcc, exec, s[0:1]
	s_cbranch_vccnz .LBB23_1788
; %bb.1787:
	global_load_dword v1, v[24:25], off
	s_waitcnt vmcnt(0)
	v_cvt_f64_i32_e32 v[22:23], v1
.LBB23_1788:
	s_mov_b64 s[0:1], 0
.LBB23_1789:
	s_andn2_b64 vcc, exec, s[0:1]
	s_cbranch_vccnz .LBB23_1791
; %bb.1790:
	global_load_sshort v1, v[24:25], off
	s_waitcnt vmcnt(0)
	v_cvt_f64_i32_e32 v[22:23], v1
.LBB23_1791:
	s_cbranch_execnz .LBB23_1797
.LBB23_1792:
	v_mov_b32_e32 v1, 0
	v_cmp_gt_i16_sdwa s[0:1], s27, v1 src0_sel:BYTE_0 src1_sel:DWORD
	s_and_b64 vcc, exec, s[0:1]
	s_cbranch_vccz .LBB23_1794
; %bb.1793:
	global_load_sbyte v1, v[24:25], off
	s_mov_b64 s[0:1], 0
	s_waitcnt vmcnt(0)
	v_cvt_f64_i32_e32 v[22:23], v1
	s_branch .LBB23_1795
.LBB23_1794:
	s_mov_b64 s[0:1], -1
                                        ; implicit-def: $vgpr22_vgpr23
.LBB23_1795:
	s_andn2_b64 vcc, exec, s[0:1]
	s_cbranch_vccnz .LBB23_1797
; %bb.1796:
	global_load_ubyte v1, v[24:25], off
	s_waitcnt vmcnt(0)
	v_cvt_f64_u32_e32 v[22:23], v1
.LBB23_1797:
.LBB23_1798:
	s_load_dwordx2 s[0:1], s[2:3], 0x198
	s_lshr_b32 s28, s26, 24
	v_cmp_lt_i16_e64 s[2:3], s28, 11
	s_waitcnt lgkmcnt(0)
	v_mov_b32_e32 v1, s1
	v_add_co_u32_e32 v0, vcc, s0, v0
	v_addc_co_u32_e32 v1, vcc, 0, v1, vcc
	s_and_b64 vcc, exec, s[2:3]
	s_cbranch_vccnz .LBB23_1805
; %bb.1799:
	v_cmp_gt_i16_e64 s[6:7], s28, 25
	s_mov_b64 s[16:17], 0
	s_and_b64 vcc, exec, s[6:7]
	s_cbranch_vccz .LBB23_1807
; %bb.1800:
	v_cmp_gt_i16_e64 s[6:7], s28, 28
	s_and_b64 vcc, exec, s[6:7]
	s_cbranch_vccz .LBB23_1808
; %bb.1801:
	v_cmp_gt_i16_e64 s[6:7], s28, 43
	;; [unrolled: 4-line block ×3, first 2 shown]
	s_and_b64 vcc, exec, s[6:7]
	s_cbranch_vccz .LBB23_1811
; %bb.1803:
	v_cmp_eq_u16_e64 s[6:7], s28, 46
	s_mov_b64 s[20:21], 0
	s_and_b64 vcc, exec, s[6:7]
	s_cbranch_vccz .LBB23_1814
; %bb.1804:
	global_load_dword v3, v[0:1], off
	s_mov_b64 s[6:7], 0
	s_mov_b64 s[18:19], -1
	s_waitcnt vmcnt(0)
	v_lshlrev_b32_e32 v3, 16, v3
	v_cvt_f64_f32_e32 v[24:25], v3
	s_branch .LBB23_1815
.LBB23_1805:
	s_mov_b64 s[18:19], 0
                                        ; implicit-def: $vgpr24_vgpr25
	s_cbranch_execnz .LBB23_1880
.LBB23_1806:
	s_andn2_b64 vcc, exec, s[18:19]
	s_cbranch_vccnz .LBB23_2763
	s_branch .LBB23_1927
.LBB23_1807:
	s_mov_b64 s[18:19], 0
	s_mov_b64 s[6:7], 0
                                        ; implicit-def: $vgpr24_vgpr25
	s_cbranch_execnz .LBB23_1844
	s_branch .LBB23_1876
.LBB23_1808:
	s_mov_b64 s[20:21], -1
	s_mov_b64 s[18:19], 0
	s_mov_b64 s[6:7], 0
                                        ; implicit-def: $vgpr24_vgpr25
	s_branch .LBB23_1825
.LBB23_1809:
	s_mov_b64 s[20:21], -1
	s_mov_b64 s[18:19], 0
	s_mov_b64 s[6:7], 0
                                        ; implicit-def: $vgpr24_vgpr25
	s_branch .LBB23_1820
.LBB23_1810:
	s_or_b64 s[4:5], s[12:13], exec
	s_trap 2
                                        ; implicit-def: $vgpr22_vgpr23
	s_cbranch_execz .LBB23_1751
	s_branch .LBB23_1752
.LBB23_1811:
	s_mov_b64 s[20:21], -1
	s_mov_b64 s[18:19], 0
	s_mov_b64 s[6:7], 0
                                        ; implicit-def: $vgpr24_vgpr25
	s_branch .LBB23_1815
.LBB23_1812:
	s_or_saveexec_b64 s[18:19], s[18:19]
                                        ; implicit-def: $sgpr24
	s_xor_b64 exec, exec, s[18:19]
	s_cbranch_execz .LBB23_1554
.LBB23_1813:
	s_mov_b32 s24, 0x42800000
	v_add_f32_e64 v3, |v2|, s24
	v_and_b32_e32 v3, 0xff, v3
	v_cmp_ne_u32_e32 vcc, 0, v3
	s_andn2_b64 s[16:17], s[16:17], exec
	s_and_b64 s[26:27], vcc, exec
	s_mov_b32 s24, 0
	s_or_b64 s[16:17], s[16:17], s[26:27]
	s_or_b64 exec, exec, s[18:19]
	v_mov_b32_e32 v4, s24
	s_and_saveexec_b64 s[18:19], s[16:17]
	s_cbranch_execnz .LBB23_1555
	s_branch .LBB23_1556
.LBB23_1814:
	s_mov_b64 s[6:7], -1
                                        ; implicit-def: $vgpr24_vgpr25
	s_mov_b64 s[18:19], 0
.LBB23_1815:
	s_and_b64 vcc, exec, s[20:21]
	s_cbranch_vccz .LBB23_1819
; %bb.1816:
	v_cmp_eq_u16_e64 s[6:7], s28, 44
	s_and_b64 vcc, exec, s[6:7]
	s_cbranch_vccz .LBB23_1818
; %bb.1817:
	global_load_ubyte v3, v[0:1], off
	s_movk_i32 s18, 0xff
	s_waitcnt vmcnt(1)
	v_bfrev_b32_e32 v5, 4
	v_mov_b32_e32 v7, 0x7ff80000
	v_bfrev_b32_e32 v9, 28
	s_mov_b64 s[6:7], 0
	s_waitcnt vmcnt(0)
	v_lshlrev_b32_e32 v11, 23, v3
	v_cvt_f64_f32_e32 v[24:25], v11
	v_cmp_ne_u32_e32 vcc, s18, v3
	v_cndmask_b32_e32 v5, v5, v24, vcc
	v_cndmask_b32_e32 v7, v7, v25, vcc
	v_cmp_ne_u32_e32 vcc, 0, v3
	v_cndmask_b32_e32 v25, v9, v7, vcc
	v_cndmask_b32_e32 v24, 0, v5, vcc
	s_mov_b64 s[18:19], -1
	s_branch .LBB23_1819
.LBB23_1818:
	s_mov_b64 s[6:7], -1
                                        ; implicit-def: $vgpr24_vgpr25
.LBB23_1819:
	s_mov_b64 s[20:21], 0
.LBB23_1820:
	s_and_b64 vcc, exec, s[20:21]
	s_cbranch_vccz .LBB23_1824
; %bb.1821:
	v_cmp_eq_u16_e64 s[6:7], s28, 29
	s_and_b64 vcc, exec, s[6:7]
	s_cbranch_vccz .LBB23_1823
; %bb.1822:
	global_load_dwordx2 v[24:25], v[0:1], off
	s_mov_b64 s[6:7], 0
	s_mov_b64 s[18:19], -1
	s_mov_b64 s[20:21], 0
	s_waitcnt vmcnt(0)
	v_cvt_f64_u32_e32 v[26:27], v25
	v_cvt_f64_u32_e32 v[24:25], v24
	v_ldexp_f64 v[26:27], v[26:27], 32
	v_add_f64 v[24:25], v[26:27], v[24:25]
	s_branch .LBB23_1825
.LBB23_1823:
	s_mov_b64 s[6:7], -1
                                        ; implicit-def: $vgpr24_vgpr25
.LBB23_1824:
	s_mov_b64 s[20:21], 0
.LBB23_1825:
	s_and_b64 vcc, exec, s[20:21]
	s_cbranch_vccz .LBB23_1843
; %bb.1826:
	v_cmp_lt_i16_e64 s[18:19], s28, 27
	s_and_b64 vcc, exec, s[18:19]
	s_cbranch_vccnz .LBB23_1829
; %bb.1827:
	v_cmp_gt_i16_e64 s[18:19], s28, 27
	s_and_b64 vcc, exec, s[18:19]
	s_cbranch_vccz .LBB23_1830
; %bb.1828:
	global_load_dword v3, v[0:1], off
	s_mov_b64 s[18:19], 0
	s_waitcnt vmcnt(0)
	v_cvt_f64_u32_e32 v[24:25], v3
	s_branch .LBB23_1831
.LBB23_1829:
	s_mov_b64 s[18:19], -1
                                        ; implicit-def: $vgpr24_vgpr25
	s_branch .LBB23_1834
.LBB23_1830:
	s_mov_b64 s[18:19], -1
                                        ; implicit-def: $vgpr24_vgpr25
.LBB23_1831:
	s_andn2_b64 vcc, exec, s[18:19]
	s_cbranch_vccnz .LBB23_1833
; %bb.1832:
	global_load_ushort v3, v[0:1], off
	s_waitcnt vmcnt(0)
	v_cvt_f64_u32_e32 v[24:25], v3
.LBB23_1833:
	s_mov_b64 s[18:19], 0
.LBB23_1834:
	s_andn2_b64 vcc, exec, s[18:19]
	s_cbranch_vccnz .LBB23_1842
; %bb.1835:
	global_load_ubyte v3, v[0:1], off
	s_movk_i32 s18, 0x7f
                                        ; implicit-def: $sgpr20_sgpr21
	s_waitcnt vmcnt(0)
	v_cmp_lt_i16_e32 vcc, s18, v3
	s_mov_b64 s[18:19], 0
	s_and_saveexec_b64 s[22:23], vcc
	s_xor_b64 s[22:23], exec, s[22:23]
	s_cbranch_execz .LBB23_1855
; %bb.1836:
	s_movk_i32 s18, 0x80
	v_cmp_eq_u16_e32 vcc, s18, v3
	s_mov_b64 s[24:25], -1
                                        ; implicit-def: $sgpr20_sgpr21
	s_and_saveexec_b64 s[18:19], vcc
; %bb.1837:
	s_mov_b32 s21, 0x7ff80000
	s_brev_b32 s20, 4
	s_xor_b64 s[24:25], exec, -1
; %bb.1838:
	s_or_b64 exec, exec, s[18:19]
	s_and_b64 s[18:19], s[24:25], exec
	s_or_saveexec_b64 s[22:23], s[22:23]
	v_pk_mov_b32 v[24:25], s[20:21], s[20:21] op_sel:[0,1]
	s_xor_b64 exec, exec, s[22:23]
	s_cbranch_execnz .LBB23_1856
.LBB23_1839:
	s_or_b64 exec, exec, s[22:23]
	s_and_saveexec_b64 s[20:21], s[18:19]
	s_cbranch_execz .LBB23_1841
.LBB23_1840:
	v_lshlrev_b32_e32 v5, 24, v3
	v_and_b32_e32 v3, 0xffff, v3
	v_and_b32_e32 v7, 7, v3
	v_ffbh_u32_e32 v11, v7
	v_min_u32_e32 v11, 32, v11
	v_subrev_u32_e32 v13, 28, v11
	v_bfe_u32 v9, v3, 3, 4
	v_lshlrev_b32_e32 v3, v13, v3
	v_sub_u32_e32 v11, 29, v11
	v_and_b32_e32 v3, 7, v3
	v_cmp_eq_u32_e32 vcc, 0, v9
	v_cndmask_b32_e32 v9, v9, v11, vcc
	v_cndmask_b32_e32 v3, v7, v3, vcc
	v_mov_b32_e32 v7, 0x3b800000
	v_lshlrev_b32_e32 v3, 20, v3
	v_and_b32_e32 v5, 0x80000000, v5
	v_lshl_add_u32 v7, v9, 23, v7
	v_or3_b32 v3, v5, v7, v3
	v_cvt_f64_f32_e32 v[24:25], v3
.LBB23_1841:
	s_or_b64 exec, exec, s[20:21]
.LBB23_1842:
	s_mov_b64 s[18:19], -1
.LBB23_1843:
	s_branch .LBB23_1876
.LBB23_1844:
	v_cmp_gt_i16_e64 s[16:17], s28, 22
	s_and_b64 vcc, exec, s[16:17]
	s_cbranch_vccz .LBB23_1854
; %bb.1845:
	v_cmp_lt_i16_e64 s[16:17], s28, 24
	s_and_b64 vcc, exec, s[16:17]
	s_cbranch_vccnz .LBB23_1857
; %bb.1846:
	v_cmp_gt_i16_e64 s[16:17], s28, 24
	s_and_b64 vcc, exec, s[16:17]
	s_cbranch_vccz .LBB23_1858
; %bb.1847:
	global_load_ubyte v3, v[0:1], off
	s_movk_i32 s16, 0x7f
                                        ; implicit-def: $sgpr18_sgpr19
	s_waitcnt vmcnt(0)
	v_cmp_lt_i16_e32 vcc, s16, v3
	s_mov_b64 s[16:17], 0
	s_and_saveexec_b64 s[20:21], vcc
	s_xor_b64 s[20:21], exec, s[20:21]
	s_cbranch_execz .LBB23_1870
; %bb.1848:
	s_movk_i32 s16, 0x80
	v_cmp_eq_u16_e32 vcc, s16, v3
	s_mov_b64 s[22:23], -1
                                        ; implicit-def: $sgpr18_sgpr19
	s_and_saveexec_b64 s[16:17], vcc
; %bb.1849:
	s_mov_b32 s19, 0x7ff80000
	s_brev_b32 s18, 4
	s_xor_b64 s[22:23], exec, -1
; %bb.1850:
	s_or_b64 exec, exec, s[16:17]
	s_and_b64 s[16:17], s[22:23], exec
	s_or_saveexec_b64 s[20:21], s[20:21]
	v_pk_mov_b32 v[24:25], s[18:19], s[18:19] op_sel:[0,1]
	s_xor_b64 exec, exec, s[20:21]
	s_cbranch_execnz .LBB23_1871
.LBB23_1851:
	s_or_b64 exec, exec, s[20:21]
	s_and_saveexec_b64 s[18:19], s[16:17]
	s_cbranch_execz .LBB23_1853
.LBB23_1852:
	v_lshlrev_b32_e32 v5, 24, v3
	v_and_b32_e32 v3, 0xffff, v3
	v_and_b32_e32 v7, 3, v3
	v_ffbh_u32_e32 v11, v7
	v_min_u32_e32 v11, 32, v11
	v_subrev_u32_e32 v13, 29, v11
	v_bfe_u32 v9, v3, 2, 5
	v_lshlrev_b32_e32 v3, v13, v3
	v_sub_u32_e32 v11, 30, v11
	v_and_b32_e32 v3, 3, v3
	v_cmp_eq_u32_e32 vcc, 0, v9
	v_cndmask_b32_e32 v9, v9, v11, vcc
	v_cndmask_b32_e32 v3, v7, v3, vcc
	v_mov_b32_e32 v7, 0x37800000
	v_lshlrev_b32_e32 v3, 21, v3
	v_and_b32_e32 v5, 0x80000000, v5
	v_lshl_add_u32 v7, v9, 23, v7
	v_or3_b32 v3, v5, v7, v3
	v_cvt_f64_f32_e32 v[24:25], v3
.LBB23_1853:
	s_or_b64 exec, exec, s[18:19]
	s_mov_b64 s[16:17], 0
	s_branch .LBB23_1859
.LBB23_1854:
	s_mov_b64 s[16:17], -1
                                        ; implicit-def: $vgpr24_vgpr25
	s_branch .LBB23_1865
.LBB23_1855:
	s_or_saveexec_b64 s[22:23], s[22:23]
	v_pk_mov_b32 v[24:25], s[20:21], s[20:21] op_sel:[0,1]
	s_xor_b64 exec, exec, s[22:23]
	s_cbranch_execz .LBB23_1839
.LBB23_1856:
	v_cmp_ne_u16_e32 vcc, 0, v3
	s_andn2_b64 s[18:19], s[18:19], exec
	s_and_b64 s[20:21], vcc, exec
	v_pk_mov_b32 v[24:25], 0, 0
	s_or_b64 s[18:19], s[18:19], s[20:21]
	s_or_b64 exec, exec, s[22:23]
	s_and_saveexec_b64 s[20:21], s[18:19]
	s_cbranch_execnz .LBB23_1840
	s_branch .LBB23_1841
.LBB23_1857:
	s_mov_b64 s[16:17], -1
                                        ; implicit-def: $vgpr24_vgpr25
	s_branch .LBB23_1862
.LBB23_1858:
	s_mov_b64 s[16:17], -1
                                        ; implicit-def: $vgpr24_vgpr25
.LBB23_1859:
	s_and_b64 vcc, exec, s[16:17]
	s_cbranch_vccz .LBB23_1861
; %bb.1860:
	global_load_ubyte v3, v[0:1], off
	s_mov_b32 s16, 0x7f800000
	s_waitcnt vmcnt(0)
	v_lshlrev_b32_e32 v3, 24, v3
	v_and_b32_e32 v5, 0x7f000000, v3
	v_ffbh_u32_e32 v7, v5
	v_min_u32_e32 v7, 32, v7
	v_sub_u32_e64 v7, v7, 4 clamp
	v_lshlrev_b32_e32 v11, v7, v5
	v_lshlrev_b32_e32 v7, 23, v7
	v_lshrrev_b32_e32 v11, 4, v11
	v_add_u32_e32 v9, 0x1000000, v5
	v_sub_u32_e32 v7, v11, v7
	v_ashrrev_i32_e32 v9, 8, v9
	v_add_u32_e32 v7, 0x3c000000, v7
	v_and_or_b32 v7, v9, s16, v7
	v_cmp_ne_u32_e32 vcc, 0, v5
	v_cndmask_b32_e32 v5, 0, v7, vcc
	s_brev_b32 s16, 1
	v_and_or_b32 v3, v3, s16, v5
	v_cvt_f64_f32_e32 v[24:25], v3
.LBB23_1861:
	s_mov_b64 s[16:17], 0
.LBB23_1862:
	s_andn2_b64 vcc, exec, s[16:17]
	s_cbranch_vccnz .LBB23_1864
; %bb.1863:
	global_load_ubyte v3, v[0:1], off
	s_movk_i32 s16, 0x7f00
	s_brev_b32 s17, 16
	s_waitcnt vmcnt(0)
	v_lshlrev_b16_e32 v5, 8, v3
	v_lshlrev_b32_e32 v3, 25, v3
	v_lshrrev_b32_e32 v7, 4, v3
	v_and_or_b32 v9, v5, s16, 0.5
	v_or_b32_e32 v7, 0x70000000, v7
	v_add_f32_e32 v9, -0.5, v9
	v_mul_f32_e32 v7, 0x7800000, v7
	v_cmp_gt_u32_e32 vcc, s17, v3
	v_bfe_i32 v5, v5, 0, 16
	v_cndmask_b32_e32 v3, v7, v9, vcc
	s_brev_b32 s16, 1
	v_and_or_b32 v3, v5, s16, v3
	v_cvt_f64_f32_e32 v[24:25], v3
.LBB23_1864:
	s_mov_b64 s[16:17], 0
	s_mov_b64 s[18:19], -1
.LBB23_1865:
	s_andn2_b64 vcc, exec, s[16:17]
	s_mov_b64 s[16:17], 0
	s_cbranch_vccnz .LBB23_1876
; %bb.1866:
	v_cmp_gt_i16_e64 s[16:17], s28, 14
	s_and_b64 vcc, exec, s[16:17]
	s_cbranch_vccz .LBB23_1869
; %bb.1867:
	v_cmp_eq_u16_e64 s[6:7], s28, 15
	s_and_b64 vcc, exec, s[6:7]
	s_cbranch_vccz .LBB23_1872
; %bb.1868:
	global_load_ushort v3, v[0:1], off
	s_mov_b64 s[6:7], 0
	s_mov_b64 s[18:19], -1
	s_waitcnt vmcnt(0)
	v_lshlrev_b32_e32 v3, 16, v3
	v_cvt_f64_f32_e32 v[24:25], v3
	s_branch .LBB23_1873
.LBB23_1869:
	s_mov_b64 s[20:21], -1
                                        ; implicit-def: $vgpr24_vgpr25
	s_branch .LBB23_1874
.LBB23_1870:
	s_or_saveexec_b64 s[20:21], s[20:21]
	v_pk_mov_b32 v[24:25], s[18:19], s[18:19] op_sel:[0,1]
	s_xor_b64 exec, exec, s[20:21]
	s_cbranch_execz .LBB23_1851
.LBB23_1871:
	v_cmp_ne_u16_e32 vcc, 0, v3
	s_andn2_b64 s[16:17], s[16:17], exec
	s_and_b64 s[18:19], vcc, exec
	v_pk_mov_b32 v[24:25], 0, 0
	s_or_b64 s[16:17], s[16:17], s[18:19]
	s_or_b64 exec, exec, s[20:21]
	s_and_saveexec_b64 s[18:19], s[16:17]
	s_cbranch_execnz .LBB23_1852
	s_branch .LBB23_1853
.LBB23_1872:
	s_mov_b64 s[6:7], -1
                                        ; implicit-def: $vgpr24_vgpr25
.LBB23_1873:
	s_mov_b64 s[20:21], 0
.LBB23_1874:
	s_mov_b64 s[16:17], 0
	s_and_b64 vcc, exec, s[20:21]
	s_cbranch_vccz .LBB23_1876
; %bb.1875:
	v_cmp_ne_u16_e64 s[6:7], s28, 11
	s_mov_b64 s[16:17], -1
                                        ; implicit-def: $vgpr24_vgpr25
.LBB23_1876:
	s_and_b64 vcc, exec, s[6:7]
	s_cbranch_vccnz .LBB23_1951
; %bb.1877:
	s_andn2_b64 vcc, exec, s[16:17]
	s_cbranch_vccnz .LBB23_1879
.LBB23_1878:
	global_load_ubyte v3, v[0:1], off
	s_waitcnt vmcnt(1)
	v_mov_b32_e32 v5, 0x3ff00000
	v_mov_b32_e32 v24, 0
	s_mov_b64 s[18:19], -1
	s_waitcnt vmcnt(0)
	v_cmp_ne_u16_e32 vcc, 0, v3
	v_cndmask_b32_e32 v25, 0, v5, vcc
.LBB23_1879:
	s_branch .LBB23_1806
.LBB23_1880:
	v_cmp_lt_i16_e64 s[6:7], s28, 5
	s_and_b64 vcc, exec, s[6:7]
	s_cbranch_vccnz .LBB23_1885
; %bb.1881:
	v_cmp_lt_i16_e64 s[6:7], s28, 8
	s_and_b64 vcc, exec, s[6:7]
	s_cbranch_vccnz .LBB23_1886
; %bb.1882:
	;; [unrolled: 4-line block ×3, first 2 shown]
	v_cmp_gt_i16_e64 s[6:7], s28, 9
	s_and_b64 vcc, exec, s[6:7]
	s_cbranch_vccz .LBB23_1888
; %bb.1884:
	global_load_dwordx2 v[24:25], v[0:1], off
	s_mov_b64 s[6:7], 0
	s_branch .LBB23_1889
.LBB23_1885:
                                        ; implicit-def: $vgpr24_vgpr25
	s_branch .LBB23_1907
.LBB23_1886:
	s_mov_b64 s[6:7], -1
                                        ; implicit-def: $vgpr24_vgpr25
	s_branch .LBB23_1895
.LBB23_1887:
	s_mov_b64 s[6:7], -1
                                        ; implicit-def: $vgpr24_vgpr25
	s_branch .LBB23_1892
.LBB23_1888:
	s_mov_b64 s[6:7], -1
                                        ; implicit-def: $vgpr24_vgpr25
.LBB23_1889:
	s_andn2_b64 vcc, exec, s[6:7]
	s_cbranch_vccnz .LBB23_1891
; %bb.1890:
	global_load_dword v3, v[0:1], off
	s_waitcnt vmcnt(0)
	v_cvt_f64_f32_e32 v[24:25], v3
.LBB23_1891:
	s_mov_b64 s[6:7], 0
.LBB23_1892:
	s_andn2_b64 vcc, exec, s[6:7]
	s_cbranch_vccnz .LBB23_1894
; %bb.1893:
	global_load_dword v3, v[0:1], off
	s_waitcnt vmcnt(0)
	v_cvt_f32_f16_e32 v3, v3
	v_cvt_f64_f32_e32 v[24:25], v3
.LBB23_1894:
	s_mov_b64 s[6:7], 0
.LBB23_1895:
	s_andn2_b64 vcc, exec, s[6:7]
	s_cbranch_vccnz .LBB23_1906
; %bb.1896:
	v_cmp_lt_i16_e64 s[6:7], s28, 6
	s_and_b64 vcc, exec, s[6:7]
	s_cbranch_vccnz .LBB23_1899
; %bb.1897:
	v_cmp_gt_i16_e64 s[6:7], s28, 6
	s_and_b64 vcc, exec, s[6:7]
	s_cbranch_vccz .LBB23_1900
; %bb.1898:
	global_load_dwordx2 v[24:25], v[0:1], off
	s_mov_b64 s[6:7], 0
	s_branch .LBB23_1901
.LBB23_1899:
	s_mov_b64 s[6:7], -1
                                        ; implicit-def: $vgpr24_vgpr25
	s_branch .LBB23_1904
.LBB23_1900:
	s_mov_b64 s[6:7], -1
                                        ; implicit-def: $vgpr24_vgpr25
.LBB23_1901:
	s_andn2_b64 vcc, exec, s[6:7]
	s_cbranch_vccnz .LBB23_1903
; %bb.1902:
	global_load_dword v3, v[0:1], off
	s_waitcnt vmcnt(0)
	v_cvt_f64_f32_e32 v[24:25], v3
.LBB23_1903:
	s_mov_b64 s[6:7], 0
.LBB23_1904:
	s_andn2_b64 vcc, exec, s[6:7]
	s_cbranch_vccnz .LBB23_1906
; %bb.1905:
	global_load_ushort v3, v[0:1], off
	s_waitcnt vmcnt(0)
	v_cvt_f32_f16_e32 v3, v3
	v_cvt_f64_f32_e32 v[24:25], v3
.LBB23_1906:
	s_cbranch_execnz .LBB23_1926
.LBB23_1907:
	v_cmp_lt_i16_e64 s[6:7], s28, 2
	s_and_b64 vcc, exec, s[6:7]
	s_cbranch_vccnz .LBB23_1911
; %bb.1908:
	v_cmp_lt_i16_e64 s[6:7], s28, 3
	s_and_b64 vcc, exec, s[6:7]
	s_cbranch_vccnz .LBB23_1912
; %bb.1909:
	v_cmp_gt_i16_e64 s[6:7], s28, 3
	s_and_b64 vcc, exec, s[6:7]
	s_cbranch_vccz .LBB23_1913
; %bb.1910:
	global_load_dwordx2 v[24:25], v[0:1], off
	s_mov_b64 s[6:7], 0
	s_waitcnt vmcnt(0)
	v_cvt_f64_i32_e32 v[26:27], v25
	v_cvt_f64_u32_e32 v[24:25], v24
	v_ldexp_f64 v[26:27], v[26:27], 32
	v_add_f64 v[24:25], v[26:27], v[24:25]
	s_branch .LBB23_1914
.LBB23_1911:
	s_mov_b64 s[6:7], -1
                                        ; implicit-def: $vgpr24_vgpr25
	s_branch .LBB23_1920
.LBB23_1912:
	s_mov_b64 s[6:7], -1
                                        ; implicit-def: $vgpr24_vgpr25
	s_branch .LBB23_1917
.LBB23_1913:
	s_mov_b64 s[6:7], -1
                                        ; implicit-def: $vgpr24_vgpr25
.LBB23_1914:
	s_andn2_b64 vcc, exec, s[6:7]
	s_cbranch_vccnz .LBB23_1916
; %bb.1915:
	global_load_dword v3, v[0:1], off
	s_waitcnt vmcnt(0)
	v_cvt_f64_i32_e32 v[24:25], v3
.LBB23_1916:
	s_mov_b64 s[6:7], 0
.LBB23_1917:
	s_andn2_b64 vcc, exec, s[6:7]
	s_cbranch_vccnz .LBB23_1919
; %bb.1918:
	global_load_sshort v3, v[0:1], off
	s_waitcnt vmcnt(0)
	v_cvt_f64_i32_e32 v[24:25], v3
.LBB23_1919:
	s_mov_b64 s[6:7], 0
.LBB23_1920:
	s_andn2_b64 vcc, exec, s[6:7]
	s_cbranch_vccnz .LBB23_1926
; %bb.1921:
	v_cmp_gt_i16_e64 s[6:7], s28, 0
	s_and_b64 vcc, exec, s[6:7]
	s_cbranch_vccz .LBB23_1923
; %bb.1922:
	global_load_sbyte v3, v[0:1], off
	s_mov_b64 s[6:7], 0
	s_waitcnt vmcnt(0)
	v_cvt_f64_i32_e32 v[24:25], v3
	s_branch .LBB23_1924
.LBB23_1923:
	s_mov_b64 s[6:7], -1
                                        ; implicit-def: $vgpr24_vgpr25
.LBB23_1924:
	s_andn2_b64 vcc, exec, s[6:7]
	s_cbranch_vccnz .LBB23_1926
; %bb.1925:
	global_load_ubyte v0, v[0:1], off
	s_waitcnt vmcnt(0)
	v_cvt_f64_u32_e32 v[24:25], v0
.LBB23_1926:
.LBB23_1927:
	s_waitcnt vmcnt(0)
	v_trunc_f64_e32 v[0:1], v[24:25]
	s_movk_i32 s6, 0xffe0
	v_ldexp_f64 v[24:25], v[0:1], s6
	v_floor_f64_e32 v[26:27], v[24:25]
	v_fmac_f64_e32 v[0:1], 0xc1f00000, v[26:27]
	v_cvt_i32_f64_e32 v25, v[26:27]
	v_cvt_u32_f64_e32 v24, v[0:1]
	v_cmp_lt_i64_e32 vcc, -1, v[24:25]
	v_pk_mov_b32 v[0:1], 0, 0
	s_and_saveexec_b64 s[6:7], vcc
	s_cbranch_execz .LBB23_1939
; %bb.1928:
	v_mov_b32_e32 v0, 0
	v_cmp_lt_i64_e32 vcc, 0, v[24:25]
	v_mov_b32_e32 v1, 0x3ff00000
	s_and_saveexec_b64 s[16:17], vcc
	s_cbranch_execz .LBB23_1938
; %bb.1929:
	v_cmp_ne_u64_e32 vcc, 1, v[24:25]
                                        ; implicit-def: $vgpr0_vgpr1
	s_and_saveexec_b64 s[18:19], vcc
	s_xor_b64 s[18:19], exec, s[18:19]
	s_cbranch_execz .LBB23_1935
; %bb.1930:
	s_mov_b64 s[20:21], 0x201
	v_mov_b32_e32 v0, 0
	v_cmp_gt_u64_e32 vcc, s[20:21], v[24:25]
	v_mov_b32_e32 v1, 0x7ff80000
	s_and_saveexec_b64 s[20:21], vcc
	s_cbranch_execz .LBB23_1934
; %bb.1931:
	v_mov_b32_e32 v26, 0
	s_mov_b64 s[24:25], 1
	s_mov_b64 s[22:23], 0
	v_mov_b32_e32 v27, 0x3ff00000
	v_pk_mov_b32 v[0:1], v[22:23], v[22:23] op_sel:[0,1]
.LBB23_1932:                            ; =>This Inner Loop Header: Depth=1
	v_cvt_f64_u32_e32 v[28:29], s25
	v_cvt_f64_u32_e32 v[30:31], s24
	s_add_u32 s24, s24, 1
	v_ldexp_f64 v[28:29], v[28:29], 32
	s_addc_u32 s25, s25, 0
	v_add_f64 v[28:29], v[28:29], v[30:31]
	v_cmp_eq_u64_e32 vcc, s[24:25], v[24:25]
	v_mul_f64 v[28:29], v[26:27], v[28:29]
	s_or_b64 s[22:23], vcc, s[22:23]
	v_pk_mov_b32 v[26:27], v[0:1], v[0:1] op_sel:[0,1]
	v_fma_f64 v[0:1], v[22:23], v[0:1], -v[28:29]
	s_andn2_b64 exec, exec, s[22:23]
	s_cbranch_execnz .LBB23_1932
; %bb.1933:
	s_or_b64 exec, exec, s[22:23]
.LBB23_1934:
	s_or_b64 exec, exec, s[20:21]
                                        ; implicit-def: $vgpr22_vgpr23
.LBB23_1935:
	s_andn2_saveexec_b64 s[18:19], s[18:19]
; %bb.1936:
	v_pk_mov_b32 v[0:1], v[22:23], v[22:23] op_sel:[0,1]
; %bb.1937:
	s_or_b64 exec, exec, s[18:19]
.LBB23_1938:
	s_or_b64 exec, exec, s[16:17]
.LBB23_1939:
	s_or_b64 exec, exec, s[6:7]
	v_mov_b32_e32 v3, s11
	v_add_co_u32_e32 v22, vcc, s10, v20
	v_addc_co_u32_e32 v23, vcc, 0, v3, vcc
	v_mov_b32_e32 v3, 11
	v_cmp_lt_i16_sdwa s[6:7], s27, v3 src0_sel:BYTE_0 src1_sel:DWORD
	s_and_b64 vcc, exec, s[6:7]
	s_cbranch_vccnz .LBB23_1946
; %bb.1940:
	v_mov_b32_e32 v3, 25
	v_cmp_gt_i16_sdwa s[6:7], s27, v3 src0_sel:BYTE_0 src1_sel:DWORD
	s_mov_b64 s[16:17], 0
	s_and_b64 vcc, exec, s[6:7]
	s_cbranch_vccz .LBB23_1948
; %bb.1941:
	v_mov_b32_e32 v3, 28
	v_cmp_gt_i16_sdwa s[6:7], s27, v3 src0_sel:BYTE_0 src1_sel:DWORD
	s_and_b64 vcc, exec, s[6:7]
	s_cbranch_vccz .LBB23_1949
; %bb.1942:
	v_mov_b32_e32 v3, 43
	v_cmp_gt_i16_sdwa s[6:7], s27, v3 src0_sel:BYTE_0 src1_sel:DWORD
	s_and_b64 vcc, exec, s[6:7]
	s_cbranch_vccz .LBB23_1950
; %bb.1943:
	v_mov_b32_e32 v3, 45
	v_cmp_gt_i16_sdwa s[6:7], s27, v3 src0_sel:BYTE_0 src1_sel:DWORD
	s_and_b64 vcc, exec, s[6:7]
	s_cbranch_vccz .LBB23_1952
; %bb.1944:
	v_mov_b32_e32 v3, 46
	v_cmp_eq_u16_sdwa s[6:7], s27, v3 src0_sel:BYTE_0 src1_sel:DWORD
	s_mov_b64 s[20:21], 0
	s_and_b64 vcc, exec, s[6:7]
	s_cbranch_vccz .LBB23_1953
; %bb.1945:
	global_load_dword v3, v[22:23], off
	s_mov_b64 s[6:7], 0
	s_mov_b64 s[18:19], -1
	s_waitcnt vmcnt(0)
	v_lshlrev_b32_e32 v3, 16, v3
	v_cvt_f64_f32_e32 v[20:21], v3
	s_branch .LBB23_1954
.LBB23_1946:
	s_mov_b64 s[18:19], 0
                                        ; implicit-def: $vgpr20_vgpr21
	s_cbranch_execnz .LBB23_2020
.LBB23_1947:
	s_andn2_b64 vcc, exec, s[18:19]
	s_cbranch_vccnz .LBB23_2763
	s_branch .LBB23_2068
.LBB23_1948:
	s_mov_b64 s[20:21], -1
	s_mov_b64 s[18:19], 0
	s_mov_b64 s[6:7], 0
                                        ; implicit-def: $vgpr20_vgpr21
	s_branch .LBB23_1983
.LBB23_1949:
	s_mov_b64 s[20:21], -1
	s_mov_b64 s[18:19], 0
	s_mov_b64 s[6:7], 0
                                        ; implicit-def: $vgpr20_vgpr21
	s_branch .LBB23_1964
.LBB23_1950:
	s_mov_b64 s[20:21], -1
	s_mov_b64 s[18:19], 0
	s_mov_b64 s[6:7], 0
                                        ; implicit-def: $vgpr20_vgpr21
	s_branch .LBB23_1959
.LBB23_1951:
	s_trap 2
	s_or_b64 s[4:5], s[4:5], exec
                                        ; implicit-def: $vgpr24_vgpr25
	s_cbranch_execz .LBB23_1878
	s_branch .LBB23_1879
.LBB23_1952:
	s_mov_b64 s[20:21], -1
	s_mov_b64 s[18:19], 0
	s_mov_b64 s[6:7], 0
                                        ; implicit-def: $vgpr20_vgpr21
	s_branch .LBB23_1954
.LBB23_1953:
	s_mov_b64 s[6:7], -1
                                        ; implicit-def: $vgpr20_vgpr21
	s_mov_b64 s[18:19], 0
.LBB23_1954:
	s_and_b64 vcc, exec, s[20:21]
	s_cbranch_vccz .LBB23_1958
; %bb.1955:
	v_mov_b32_e32 v3, 44
	v_cmp_eq_u16_sdwa s[6:7], s27, v3 src0_sel:BYTE_0 src1_sel:DWORD
	s_and_b64 vcc, exec, s[6:7]
	s_cbranch_vccz .LBB23_1957
; %bb.1956:
	global_load_ubyte v3, v[22:23], off
	s_movk_i32 s18, 0xff
	v_bfrev_b32_e32 v5, 4
	v_mov_b32_e32 v7, 0x7ff80000
	v_bfrev_b32_e32 v9, 28
	s_mov_b64 s[6:7], 0
	s_waitcnt vmcnt(0)
	v_lshlrev_b32_e32 v11, 23, v3
	v_cvt_f64_f32_e32 v[20:21], v11
	v_cmp_ne_u32_e32 vcc, s18, v3
	v_cndmask_b32_e32 v5, v5, v20, vcc
	v_cndmask_b32_e32 v7, v7, v21, vcc
	v_cmp_ne_u32_e32 vcc, 0, v3
	v_cndmask_b32_e32 v21, v9, v7, vcc
	v_cndmask_b32_e32 v20, 0, v5, vcc
	s_mov_b64 s[18:19], -1
	s_branch .LBB23_1958
.LBB23_1957:
	s_mov_b64 s[6:7], -1
                                        ; implicit-def: $vgpr20_vgpr21
.LBB23_1958:
	s_mov_b64 s[20:21], 0
.LBB23_1959:
	s_and_b64 vcc, exec, s[20:21]
	s_cbranch_vccz .LBB23_1963
; %bb.1960:
	v_mov_b32_e32 v3, 29
	v_cmp_eq_u16_sdwa s[6:7], s27, v3 src0_sel:BYTE_0 src1_sel:DWORD
	s_and_b64 vcc, exec, s[6:7]
	s_cbranch_vccz .LBB23_1962
; %bb.1961:
	global_load_dwordx2 v[20:21], v[22:23], off
	s_mov_b64 s[6:7], 0
	s_mov_b64 s[18:19], -1
	s_mov_b64 s[20:21], 0
	s_waitcnt vmcnt(0)
	v_cvt_f64_u32_e32 v[24:25], v21
	v_cvt_f64_u32_e32 v[20:21], v20
	v_ldexp_f64 v[24:25], v[24:25], 32
	v_add_f64 v[20:21], v[24:25], v[20:21]
	s_branch .LBB23_1964
.LBB23_1962:
	s_mov_b64 s[6:7], -1
                                        ; implicit-def: $vgpr20_vgpr21
.LBB23_1963:
	s_mov_b64 s[20:21], 0
.LBB23_1964:
	s_and_b64 vcc, exec, s[20:21]
	s_cbranch_vccz .LBB23_1982
; %bb.1965:
	v_mov_b32_e32 v3, 27
	v_cmp_lt_i16_sdwa s[18:19], s27, v3 src0_sel:BYTE_0 src1_sel:DWORD
	s_and_b64 vcc, exec, s[18:19]
	s_cbranch_vccnz .LBB23_1968
; %bb.1966:
	v_cmp_gt_i16_sdwa s[18:19], s27, v3 src0_sel:BYTE_0 src1_sel:DWORD
	s_and_b64 vcc, exec, s[18:19]
	s_cbranch_vccz .LBB23_1969
; %bb.1967:
	global_load_dword v3, v[22:23], off
	s_mov_b64 s[18:19], 0
	s_waitcnt vmcnt(0)
	v_cvt_f64_u32_e32 v[20:21], v3
	s_branch .LBB23_1970
.LBB23_1968:
	s_mov_b64 s[18:19], -1
                                        ; implicit-def: $vgpr20_vgpr21
	s_branch .LBB23_1973
.LBB23_1969:
	s_mov_b64 s[18:19], -1
                                        ; implicit-def: $vgpr20_vgpr21
.LBB23_1970:
	s_andn2_b64 vcc, exec, s[18:19]
	s_cbranch_vccnz .LBB23_1972
; %bb.1971:
	global_load_ushort v3, v[22:23], off
	s_waitcnt vmcnt(0)
	v_cvt_f64_u32_e32 v[20:21], v3
.LBB23_1972:
	s_mov_b64 s[18:19], 0
.LBB23_1973:
	s_andn2_b64 vcc, exec, s[18:19]
	s_cbranch_vccnz .LBB23_1981
; %bb.1974:
	global_load_ubyte v3, v[22:23], off
	s_movk_i32 s18, 0x7f
                                        ; implicit-def: $sgpr20_sgpr21
	s_waitcnt vmcnt(0)
	v_cmp_lt_i16_e32 vcc, s18, v3
	s_mov_b64 s[18:19], 0
	s_and_saveexec_b64 s[22:23], vcc
	s_xor_b64 s[22:23], exec, s[22:23]
	s_cbranch_execz .LBB23_1995
; %bb.1975:
	s_movk_i32 s18, 0x80
	v_cmp_eq_u16_e32 vcc, s18, v3
	s_mov_b64 s[24:25], -1
                                        ; implicit-def: $sgpr20_sgpr21
	s_and_saveexec_b64 s[18:19], vcc
; %bb.1976:
	s_mov_b32 s21, 0x7ff80000
	s_brev_b32 s20, 4
	s_xor_b64 s[24:25], exec, -1
; %bb.1977:
	s_or_b64 exec, exec, s[18:19]
	s_and_b64 s[18:19], s[24:25], exec
	s_or_saveexec_b64 s[22:23], s[22:23]
	v_pk_mov_b32 v[20:21], s[20:21], s[20:21] op_sel:[0,1]
	s_xor_b64 exec, exec, s[22:23]
	s_cbranch_execnz .LBB23_1996
.LBB23_1978:
	s_or_b64 exec, exec, s[22:23]
	s_and_saveexec_b64 s[20:21], s[18:19]
	s_cbranch_execz .LBB23_1980
.LBB23_1979:
	v_lshlrev_b32_e32 v5, 24, v3
	v_and_b32_e32 v3, 0xffff, v3
	v_and_b32_e32 v7, 7, v3
	v_ffbh_u32_e32 v11, v7
	v_min_u32_e32 v11, 32, v11
	v_subrev_u32_e32 v13, 28, v11
	v_bfe_u32 v9, v3, 3, 4
	v_lshlrev_b32_e32 v3, v13, v3
	v_sub_u32_e32 v11, 29, v11
	v_and_b32_e32 v3, 7, v3
	v_cmp_eq_u32_e32 vcc, 0, v9
	v_cndmask_b32_e32 v9, v9, v11, vcc
	v_cndmask_b32_e32 v3, v7, v3, vcc
	v_mov_b32_e32 v7, 0x3b800000
	v_lshlrev_b32_e32 v3, 20, v3
	v_and_b32_e32 v5, 0x80000000, v5
	v_lshl_add_u32 v7, v9, 23, v7
	v_or3_b32 v3, v5, v7, v3
	v_cvt_f64_f32_e32 v[20:21], v3
.LBB23_1980:
	s_or_b64 exec, exec, s[20:21]
.LBB23_1981:
	s_mov_b64 s[18:19], -1
.LBB23_1982:
	s_mov_b64 s[20:21], 0
.LBB23_1983:
	s_and_b64 vcc, exec, s[20:21]
	s_cbranch_vccz .LBB23_2016
; %bb.1984:
	v_mov_b32_e32 v3, 22
	v_cmp_gt_i16_sdwa s[16:17], s27, v3 src0_sel:BYTE_0 src1_sel:DWORD
	s_and_b64 vcc, exec, s[16:17]
	s_cbranch_vccz .LBB23_1994
; %bb.1985:
	v_mov_b32_e32 v3, 24
	v_cmp_lt_i16_sdwa s[16:17], s27, v3 src0_sel:BYTE_0 src1_sel:DWORD
	s_and_b64 vcc, exec, s[16:17]
	s_cbranch_vccnz .LBB23_1997
; %bb.1986:
	v_cmp_gt_i16_sdwa s[16:17], s27, v3 src0_sel:BYTE_0 src1_sel:DWORD
	s_and_b64 vcc, exec, s[16:17]
	s_cbranch_vccz .LBB23_1998
; %bb.1987:
	global_load_ubyte v3, v[22:23], off
	s_movk_i32 s16, 0x7f
                                        ; implicit-def: $sgpr18_sgpr19
	s_waitcnt vmcnt(0)
	v_cmp_lt_i16_e32 vcc, s16, v3
	s_mov_b64 s[16:17], 0
	s_and_saveexec_b64 s[20:21], vcc
	s_xor_b64 s[20:21], exec, s[20:21]
	s_cbranch_execz .LBB23_2010
; %bb.1988:
	s_movk_i32 s16, 0x80
	v_cmp_eq_u16_e32 vcc, s16, v3
	s_mov_b64 s[22:23], -1
                                        ; implicit-def: $sgpr18_sgpr19
	s_and_saveexec_b64 s[16:17], vcc
; %bb.1989:
	s_mov_b32 s19, 0x7ff80000
	s_brev_b32 s18, 4
	s_xor_b64 s[22:23], exec, -1
; %bb.1990:
	s_or_b64 exec, exec, s[16:17]
	s_and_b64 s[16:17], s[22:23], exec
	s_or_saveexec_b64 s[20:21], s[20:21]
	v_pk_mov_b32 v[20:21], s[18:19], s[18:19] op_sel:[0,1]
	s_xor_b64 exec, exec, s[20:21]
	s_cbranch_execnz .LBB23_2011
.LBB23_1991:
	s_or_b64 exec, exec, s[20:21]
	s_and_saveexec_b64 s[18:19], s[16:17]
	s_cbranch_execz .LBB23_1993
.LBB23_1992:
	v_lshlrev_b32_e32 v5, 24, v3
	v_and_b32_e32 v3, 0xffff, v3
	v_and_b32_e32 v7, 3, v3
	v_ffbh_u32_e32 v11, v7
	v_min_u32_e32 v11, 32, v11
	v_subrev_u32_e32 v13, 29, v11
	v_bfe_u32 v9, v3, 2, 5
	v_lshlrev_b32_e32 v3, v13, v3
	v_sub_u32_e32 v11, 30, v11
	v_and_b32_e32 v3, 3, v3
	v_cmp_eq_u32_e32 vcc, 0, v9
	v_cndmask_b32_e32 v9, v9, v11, vcc
	v_cndmask_b32_e32 v3, v7, v3, vcc
	v_mov_b32_e32 v7, 0x37800000
	v_lshlrev_b32_e32 v3, 21, v3
	v_and_b32_e32 v5, 0x80000000, v5
	v_lshl_add_u32 v7, v9, 23, v7
	v_or3_b32 v3, v5, v7, v3
	v_cvt_f64_f32_e32 v[20:21], v3
.LBB23_1993:
	s_or_b64 exec, exec, s[18:19]
	s_mov_b64 s[16:17], 0
	s_branch .LBB23_1999
.LBB23_1994:
	s_mov_b64 s[16:17], -1
                                        ; implicit-def: $vgpr20_vgpr21
	s_branch .LBB23_2005
.LBB23_1995:
	s_or_saveexec_b64 s[22:23], s[22:23]
	v_pk_mov_b32 v[20:21], s[20:21], s[20:21] op_sel:[0,1]
	s_xor_b64 exec, exec, s[22:23]
	s_cbranch_execz .LBB23_1978
.LBB23_1996:
	v_cmp_ne_u16_e32 vcc, 0, v3
	s_andn2_b64 s[18:19], s[18:19], exec
	s_and_b64 s[20:21], vcc, exec
	v_pk_mov_b32 v[20:21], 0, 0
	s_or_b64 s[18:19], s[18:19], s[20:21]
	s_or_b64 exec, exec, s[22:23]
	s_and_saveexec_b64 s[20:21], s[18:19]
	s_cbranch_execnz .LBB23_1979
	s_branch .LBB23_1980
.LBB23_1997:
	s_mov_b64 s[16:17], -1
                                        ; implicit-def: $vgpr20_vgpr21
	s_branch .LBB23_2002
.LBB23_1998:
	s_mov_b64 s[16:17], -1
                                        ; implicit-def: $vgpr20_vgpr21
.LBB23_1999:
	s_and_b64 vcc, exec, s[16:17]
	s_cbranch_vccz .LBB23_2001
; %bb.2000:
	global_load_ubyte v3, v[22:23], off
	s_mov_b32 s16, 0x7f800000
	s_waitcnt vmcnt(0)
	v_lshlrev_b32_e32 v3, 24, v3
	v_and_b32_e32 v5, 0x7f000000, v3
	v_ffbh_u32_e32 v7, v5
	v_min_u32_e32 v7, 32, v7
	v_sub_u32_e64 v7, v7, 4 clamp
	v_lshlrev_b32_e32 v11, v7, v5
	v_lshlrev_b32_e32 v7, 23, v7
	v_lshrrev_b32_e32 v11, 4, v11
	v_add_u32_e32 v9, 0x1000000, v5
	v_sub_u32_e32 v7, v11, v7
	v_ashrrev_i32_e32 v9, 8, v9
	v_add_u32_e32 v7, 0x3c000000, v7
	v_and_or_b32 v7, v9, s16, v7
	v_cmp_ne_u32_e32 vcc, 0, v5
	v_cndmask_b32_e32 v5, 0, v7, vcc
	s_brev_b32 s16, 1
	v_and_or_b32 v3, v3, s16, v5
	v_cvt_f64_f32_e32 v[20:21], v3
.LBB23_2001:
	s_mov_b64 s[16:17], 0
.LBB23_2002:
	s_andn2_b64 vcc, exec, s[16:17]
	s_cbranch_vccnz .LBB23_2004
; %bb.2003:
	global_load_ubyte v3, v[22:23], off
	s_movk_i32 s16, 0x7f00
	s_brev_b32 s17, 16
	s_waitcnt vmcnt(0)
	v_lshlrev_b16_e32 v5, 8, v3
	v_lshlrev_b32_e32 v3, 25, v3
	v_lshrrev_b32_e32 v7, 4, v3
	v_and_or_b32 v9, v5, s16, 0.5
	v_or_b32_e32 v7, 0x70000000, v7
	v_add_f32_e32 v9, -0.5, v9
	v_mul_f32_e32 v7, 0x7800000, v7
	v_cmp_gt_u32_e32 vcc, s17, v3
	v_bfe_i32 v5, v5, 0, 16
	v_cndmask_b32_e32 v3, v7, v9, vcc
	s_brev_b32 s16, 1
	v_and_or_b32 v3, v5, s16, v3
	v_cvt_f64_f32_e32 v[20:21], v3
.LBB23_2004:
	s_mov_b64 s[16:17], 0
	s_mov_b64 s[18:19], -1
.LBB23_2005:
	s_andn2_b64 vcc, exec, s[16:17]
	s_mov_b64 s[16:17], 0
	s_cbranch_vccnz .LBB23_2016
; %bb.2006:
	v_mov_b32_e32 v3, 14
	v_cmp_gt_i16_sdwa s[16:17], s27, v3 src0_sel:BYTE_0 src1_sel:DWORD
	s_and_b64 vcc, exec, s[16:17]
	s_cbranch_vccz .LBB23_2009
; %bb.2007:
	v_mov_b32_e32 v3, 15
	v_cmp_eq_u16_sdwa s[6:7], s27, v3 src0_sel:BYTE_0 src1_sel:DWORD
	s_and_b64 vcc, exec, s[6:7]
	s_cbranch_vccz .LBB23_2012
; %bb.2008:
	global_load_ushort v3, v[22:23], off
	s_mov_b64 s[6:7], 0
	s_mov_b64 s[18:19], -1
	s_waitcnt vmcnt(0)
	v_lshlrev_b32_e32 v3, 16, v3
	v_cvt_f64_f32_e32 v[20:21], v3
	s_branch .LBB23_2013
.LBB23_2009:
	s_mov_b64 s[20:21], -1
                                        ; implicit-def: $vgpr20_vgpr21
	s_branch .LBB23_2014
.LBB23_2010:
	s_or_saveexec_b64 s[20:21], s[20:21]
	v_pk_mov_b32 v[20:21], s[18:19], s[18:19] op_sel:[0,1]
	s_xor_b64 exec, exec, s[20:21]
	s_cbranch_execz .LBB23_1991
.LBB23_2011:
	v_cmp_ne_u16_e32 vcc, 0, v3
	s_andn2_b64 s[16:17], s[16:17], exec
	s_and_b64 s[18:19], vcc, exec
	v_pk_mov_b32 v[20:21], 0, 0
	s_or_b64 s[16:17], s[16:17], s[18:19]
	s_or_b64 exec, exec, s[20:21]
	s_and_saveexec_b64 s[18:19], s[16:17]
	s_cbranch_execnz .LBB23_1992
	s_branch .LBB23_1993
.LBB23_2012:
	s_mov_b64 s[6:7], -1
                                        ; implicit-def: $vgpr20_vgpr21
.LBB23_2013:
	s_mov_b64 s[20:21], 0
.LBB23_2014:
	s_mov_b64 s[16:17], 0
	s_and_b64 vcc, exec, s[20:21]
	s_cbranch_vccz .LBB23_2016
; %bb.2015:
	v_mov_b32_e32 v3, 11
	v_cmp_ne_u16_sdwa s[6:7], s27, v3 src0_sel:BYTE_0 src1_sel:DWORD
	s_mov_b64 s[16:17], -1
                                        ; implicit-def: $vgpr20_vgpr21
.LBB23_2016:
	s_and_b64 vcc, exec, s[6:7]
	s_cbranch_vccnz .LBB23_2079
; %bb.2017:
	s_andn2_b64 vcc, exec, s[16:17]
	s_cbranch_vccnz .LBB23_2019
.LBB23_2018:
	global_load_ubyte v3, v[22:23], off
	v_mov_b32_e32 v5, 0x3ff00000
	v_mov_b32_e32 v20, 0
	s_mov_b64 s[18:19], -1
	s_waitcnt vmcnt(0)
	v_cmp_ne_u16_e32 vcc, 0, v3
	v_cndmask_b32_e32 v21, 0, v5, vcc
.LBB23_2019:
	s_branch .LBB23_1947
.LBB23_2020:
	v_mov_b32_e32 v3, 5
	v_cmp_lt_i16_sdwa s[6:7], s27, v3 src0_sel:BYTE_0 src1_sel:DWORD
	s_and_b64 vcc, exec, s[6:7]
	s_cbranch_vccnz .LBB23_2025
; %bb.2021:
	v_mov_b32_e32 v3, 8
	v_cmp_lt_i16_sdwa s[6:7], s27, v3 src0_sel:BYTE_0 src1_sel:DWORD
	s_and_b64 vcc, exec, s[6:7]
	s_cbranch_vccnz .LBB23_2026
; %bb.2022:
	;; [unrolled: 5-line block ×3, first 2 shown]
	v_cmp_gt_i16_sdwa s[6:7], s27, v3 src0_sel:BYTE_0 src1_sel:DWORD
	s_and_b64 vcc, exec, s[6:7]
	s_cbranch_vccz .LBB23_2028
; %bb.2024:
	global_load_dwordx2 v[20:21], v[22:23], off
	s_mov_b64 s[6:7], 0
	s_branch .LBB23_2029
.LBB23_2025:
	s_mov_b64 s[6:7], -1
                                        ; implicit-def: $vgpr20_vgpr21
	s_branch .LBB23_2047
.LBB23_2026:
	s_mov_b64 s[6:7], -1
                                        ; implicit-def: $vgpr20_vgpr21
	s_branch .LBB23_2035
.LBB23_2027:
	s_mov_b64 s[6:7], -1
                                        ; implicit-def: $vgpr20_vgpr21
	s_branch .LBB23_2032
.LBB23_2028:
	s_mov_b64 s[6:7], -1
                                        ; implicit-def: $vgpr20_vgpr21
.LBB23_2029:
	s_andn2_b64 vcc, exec, s[6:7]
	s_cbranch_vccnz .LBB23_2031
; %bb.2030:
	global_load_dword v3, v[22:23], off
	s_waitcnt vmcnt(0)
	v_cvt_f64_f32_e32 v[20:21], v3
.LBB23_2031:
	s_mov_b64 s[6:7], 0
.LBB23_2032:
	s_andn2_b64 vcc, exec, s[6:7]
	s_cbranch_vccnz .LBB23_2034
; %bb.2033:
	global_load_dword v3, v[22:23], off
	s_waitcnt vmcnt(0)
	v_cvt_f32_f16_e32 v3, v3
	v_cvt_f64_f32_e32 v[20:21], v3
.LBB23_2034:
	s_mov_b64 s[6:7], 0
.LBB23_2035:
	s_andn2_b64 vcc, exec, s[6:7]
	s_cbranch_vccnz .LBB23_2046
; %bb.2036:
	v_mov_b32_e32 v3, 6
	v_cmp_lt_i16_sdwa s[6:7], s27, v3 src0_sel:BYTE_0 src1_sel:DWORD
	s_and_b64 vcc, exec, s[6:7]
	s_cbranch_vccnz .LBB23_2039
; %bb.2037:
	v_cmp_gt_i16_sdwa s[6:7], s27, v3 src0_sel:BYTE_0 src1_sel:DWORD
	s_and_b64 vcc, exec, s[6:7]
	s_cbranch_vccz .LBB23_2040
; %bb.2038:
	global_load_dwordx2 v[20:21], v[22:23], off
	s_mov_b64 s[6:7], 0
	s_branch .LBB23_2041
.LBB23_2039:
	s_mov_b64 s[6:7], -1
                                        ; implicit-def: $vgpr20_vgpr21
	s_branch .LBB23_2044
.LBB23_2040:
	s_mov_b64 s[6:7], -1
                                        ; implicit-def: $vgpr20_vgpr21
.LBB23_2041:
	s_andn2_b64 vcc, exec, s[6:7]
	s_cbranch_vccnz .LBB23_2043
; %bb.2042:
	global_load_dword v3, v[22:23], off
	s_waitcnt vmcnt(0)
	v_cvt_f64_f32_e32 v[20:21], v3
.LBB23_2043:
	s_mov_b64 s[6:7], 0
.LBB23_2044:
	s_andn2_b64 vcc, exec, s[6:7]
	s_cbranch_vccnz .LBB23_2046
; %bb.2045:
	global_load_ushort v3, v[22:23], off
	s_waitcnt vmcnt(0)
	v_cvt_f32_f16_e32 v3, v3
	v_cvt_f64_f32_e32 v[20:21], v3
.LBB23_2046:
	s_mov_b64 s[6:7], 0
.LBB23_2047:
	s_andn2_b64 vcc, exec, s[6:7]
	s_cbranch_vccnz .LBB23_2067
; %bb.2048:
	v_mov_b32_e32 v3, 2
	v_cmp_lt_i16_sdwa s[6:7], s27, v3 src0_sel:BYTE_0 src1_sel:DWORD
	s_and_b64 vcc, exec, s[6:7]
	s_cbranch_vccnz .LBB23_2052
; %bb.2049:
	v_mov_b32_e32 v3, 3
	v_cmp_lt_i16_sdwa s[6:7], s27, v3 src0_sel:BYTE_0 src1_sel:DWORD
	s_and_b64 vcc, exec, s[6:7]
	s_cbranch_vccnz .LBB23_2053
; %bb.2050:
	v_cmp_gt_i16_sdwa s[6:7], s27, v3 src0_sel:BYTE_0 src1_sel:DWORD
	s_and_b64 vcc, exec, s[6:7]
	s_cbranch_vccz .LBB23_2054
; %bb.2051:
	global_load_dwordx2 v[20:21], v[22:23], off
	s_mov_b64 s[6:7], 0
	s_waitcnt vmcnt(0)
	v_cvt_f64_i32_e32 v[24:25], v21
	v_cvt_f64_u32_e32 v[20:21], v20
	v_ldexp_f64 v[24:25], v[24:25], 32
	v_add_f64 v[20:21], v[24:25], v[20:21]
	s_branch .LBB23_2055
.LBB23_2052:
	s_mov_b64 s[6:7], -1
                                        ; implicit-def: $vgpr20_vgpr21
	s_branch .LBB23_2061
.LBB23_2053:
	s_mov_b64 s[6:7], -1
                                        ; implicit-def: $vgpr20_vgpr21
	s_branch .LBB23_2058
.LBB23_2054:
	s_mov_b64 s[6:7], -1
                                        ; implicit-def: $vgpr20_vgpr21
.LBB23_2055:
	s_andn2_b64 vcc, exec, s[6:7]
	s_cbranch_vccnz .LBB23_2057
; %bb.2056:
	global_load_dword v3, v[22:23], off
	s_waitcnt vmcnt(0)
	v_cvt_f64_i32_e32 v[20:21], v3
.LBB23_2057:
	s_mov_b64 s[6:7], 0
.LBB23_2058:
	s_andn2_b64 vcc, exec, s[6:7]
	s_cbranch_vccnz .LBB23_2060
; %bb.2059:
	global_load_sshort v3, v[22:23], off
	s_waitcnt vmcnt(0)
	v_cvt_f64_i32_e32 v[20:21], v3
.LBB23_2060:
	s_mov_b64 s[6:7], 0
.LBB23_2061:
	s_andn2_b64 vcc, exec, s[6:7]
	s_cbranch_vccnz .LBB23_2067
; %bb.2062:
	v_mov_b32_e32 v3, 0
	v_cmp_gt_i16_sdwa s[6:7], s27, v3 src0_sel:BYTE_0 src1_sel:DWORD
	s_and_b64 vcc, exec, s[6:7]
	s_cbranch_vccz .LBB23_2064
; %bb.2063:
	global_load_sbyte v3, v[22:23], off
	s_mov_b64 s[6:7], 0
	s_waitcnt vmcnt(0)
	v_cvt_f64_i32_e32 v[20:21], v3
	s_branch .LBB23_2065
.LBB23_2064:
	s_mov_b64 s[6:7], -1
                                        ; implicit-def: $vgpr20_vgpr21
.LBB23_2065:
	s_andn2_b64 vcc, exec, s[6:7]
	s_cbranch_vccnz .LBB23_2067
; %bb.2066:
	global_load_ubyte v3, v[22:23], off
	s_waitcnt vmcnt(0)
	v_cvt_f64_u32_e32 v[20:21], v3
.LBB23_2067:
.LBB23_2068:
	v_mov_b32_e32 v3, s1
	v_add_co_u32_e32 v4, vcc, s0, v4
	v_addc_co_u32_e32 v5, vcc, 0, v3, vcc
	s_and_b64 vcc, exec, s[2:3]
	s_cbranch_vccnz .LBB23_2075
; %bb.2069:
	v_cmp_gt_i16_e64 s[6:7], s28, 25
	s_mov_b64 s[16:17], 0
	s_and_b64 vcc, exec, s[6:7]
	s_cbranch_vccz .LBB23_2076
; %bb.2070:
	v_cmp_gt_i16_e64 s[6:7], s28, 28
	s_and_b64 vcc, exec, s[6:7]
	s_cbranch_vccz .LBB23_2077
; %bb.2071:
	v_cmp_gt_i16_e64 s[6:7], s28, 43
	;; [unrolled: 4-line block ×3, first 2 shown]
	s_and_b64 vcc, exec, s[6:7]
	s_cbranch_vccz .LBB23_2080
; %bb.2073:
	v_cmp_eq_u16_e64 s[6:7], s28, 46
	s_mov_b64 s[20:21], 0
	s_and_b64 vcc, exec, s[6:7]
	s_cbranch_vccz .LBB23_2081
; %bb.2074:
	global_load_dword v3, v[4:5], off
	s_mov_b64 s[6:7], 0
	s_mov_b64 s[18:19], -1
	s_waitcnt vmcnt(0)
	v_lshlrev_b32_e32 v3, 16, v3
	v_cvt_f64_f32_e32 v[22:23], v3
	s_branch .LBB23_2082
.LBB23_2075:
	s_mov_b64 s[6:7], -1
	s_mov_b64 s[18:19], 0
                                        ; implicit-def: $vgpr22_vgpr23
	s_branch .LBB23_2148
.LBB23_2076:
	s_mov_b64 s[20:21], -1
	s_mov_b64 s[18:19], 0
	s_mov_b64 s[6:7], 0
                                        ; implicit-def: $vgpr22_vgpr23
	s_branch .LBB23_2111
.LBB23_2077:
	s_mov_b64 s[20:21], -1
	s_mov_b64 s[18:19], 0
	s_mov_b64 s[6:7], 0
                                        ; implicit-def: $vgpr22_vgpr23
	s_branch .LBB23_2092
.LBB23_2078:
	s_mov_b64 s[20:21], -1
	s_mov_b64 s[18:19], 0
	s_mov_b64 s[6:7], 0
                                        ; implicit-def: $vgpr22_vgpr23
	s_branch .LBB23_2087
.LBB23_2079:
	s_trap 2
	s_or_b64 s[4:5], s[4:5], exec
                                        ; implicit-def: $vgpr20_vgpr21
	s_cbranch_execz .LBB23_2018
	s_branch .LBB23_2019
.LBB23_2080:
	s_mov_b64 s[20:21], -1
	s_mov_b64 s[18:19], 0
	s_mov_b64 s[6:7], 0
                                        ; implicit-def: $vgpr22_vgpr23
	s_branch .LBB23_2082
.LBB23_2081:
	s_mov_b64 s[6:7], -1
                                        ; implicit-def: $vgpr22_vgpr23
	s_mov_b64 s[18:19], 0
.LBB23_2082:
	s_and_b64 vcc, exec, s[20:21]
	s_cbranch_vccz .LBB23_2086
; %bb.2083:
	v_cmp_eq_u16_e64 s[6:7], s28, 44
	s_and_b64 vcc, exec, s[6:7]
	s_cbranch_vccz .LBB23_2085
; %bb.2084:
	global_load_ubyte v3, v[4:5], off
	s_movk_i32 s18, 0xff
	v_bfrev_b32_e32 v7, 4
	v_mov_b32_e32 v9, 0x7ff80000
	v_bfrev_b32_e32 v11, 28
	s_mov_b64 s[6:7], 0
	s_waitcnt vmcnt(0)
	v_lshlrev_b32_e32 v13, 23, v3
	v_cvt_f64_f32_e32 v[22:23], v13
	v_cmp_ne_u32_e32 vcc, s18, v3
	v_cndmask_b32_e32 v7, v7, v22, vcc
	v_cndmask_b32_e32 v9, v9, v23, vcc
	v_cmp_ne_u32_e32 vcc, 0, v3
	v_cndmask_b32_e32 v23, v11, v9, vcc
	v_cndmask_b32_e32 v22, 0, v7, vcc
	s_mov_b64 s[18:19], -1
	s_branch .LBB23_2086
.LBB23_2085:
	s_mov_b64 s[6:7], -1
                                        ; implicit-def: $vgpr22_vgpr23
.LBB23_2086:
	s_mov_b64 s[20:21], 0
.LBB23_2087:
	s_and_b64 vcc, exec, s[20:21]
	s_cbranch_vccz .LBB23_2091
; %bb.2088:
	v_cmp_eq_u16_e64 s[6:7], s28, 29
	s_and_b64 vcc, exec, s[6:7]
	s_cbranch_vccz .LBB23_2090
; %bb.2089:
	global_load_dwordx2 v[22:23], v[4:5], off
	s_mov_b64 s[6:7], 0
	s_mov_b64 s[18:19], -1
	s_mov_b64 s[20:21], 0
	s_waitcnt vmcnt(0)
	v_cvt_f64_u32_e32 v[24:25], v23
	v_cvt_f64_u32_e32 v[22:23], v22
	v_ldexp_f64 v[24:25], v[24:25], 32
	v_add_f64 v[22:23], v[24:25], v[22:23]
	s_branch .LBB23_2092
.LBB23_2090:
	s_mov_b64 s[6:7], -1
                                        ; implicit-def: $vgpr22_vgpr23
.LBB23_2091:
	s_mov_b64 s[20:21], 0
.LBB23_2092:
	s_and_b64 vcc, exec, s[20:21]
	s_cbranch_vccz .LBB23_2110
; %bb.2093:
	v_cmp_lt_i16_e64 s[18:19], s28, 27
	s_and_b64 vcc, exec, s[18:19]
	s_cbranch_vccnz .LBB23_2096
; %bb.2094:
	v_cmp_gt_i16_e64 s[18:19], s28, 27
	s_and_b64 vcc, exec, s[18:19]
	s_cbranch_vccz .LBB23_2097
; %bb.2095:
	global_load_dword v3, v[4:5], off
	s_mov_b64 s[18:19], 0
	s_waitcnt vmcnt(0)
	v_cvt_f64_u32_e32 v[22:23], v3
	s_branch .LBB23_2098
.LBB23_2096:
	s_mov_b64 s[18:19], -1
                                        ; implicit-def: $vgpr22_vgpr23
	s_branch .LBB23_2101
.LBB23_2097:
	s_mov_b64 s[18:19], -1
                                        ; implicit-def: $vgpr22_vgpr23
.LBB23_2098:
	s_andn2_b64 vcc, exec, s[18:19]
	s_cbranch_vccnz .LBB23_2100
; %bb.2099:
	global_load_ushort v3, v[4:5], off
	s_waitcnt vmcnt(0)
	v_cvt_f64_u32_e32 v[22:23], v3
.LBB23_2100:
	s_mov_b64 s[18:19], 0
.LBB23_2101:
	s_andn2_b64 vcc, exec, s[18:19]
	s_cbranch_vccnz .LBB23_2109
; %bb.2102:
	global_load_ubyte v3, v[4:5], off
	s_movk_i32 s18, 0x7f
                                        ; implicit-def: $sgpr20_sgpr21
	s_waitcnt vmcnt(0)
	v_cmp_lt_i16_e32 vcc, s18, v3
	s_mov_b64 s[18:19], 0
	s_and_saveexec_b64 s[22:23], vcc
	s_xor_b64 s[22:23], exec, s[22:23]
	s_cbranch_execz .LBB23_2123
; %bb.2103:
	s_movk_i32 s18, 0x80
	v_cmp_eq_u16_e32 vcc, s18, v3
	s_mov_b64 s[24:25], -1
                                        ; implicit-def: $sgpr20_sgpr21
	s_and_saveexec_b64 s[18:19], vcc
; %bb.2104:
	s_mov_b32 s21, 0x7ff80000
	s_brev_b32 s20, 4
	s_xor_b64 s[24:25], exec, -1
; %bb.2105:
	s_or_b64 exec, exec, s[18:19]
	s_and_b64 s[18:19], s[24:25], exec
	s_or_saveexec_b64 s[22:23], s[22:23]
	v_pk_mov_b32 v[22:23], s[20:21], s[20:21] op_sel:[0,1]
	s_xor_b64 exec, exec, s[22:23]
	s_cbranch_execnz .LBB23_2124
.LBB23_2106:
	s_or_b64 exec, exec, s[22:23]
	s_and_saveexec_b64 s[20:21], s[18:19]
	s_cbranch_execz .LBB23_2108
.LBB23_2107:
	v_lshlrev_b32_e32 v7, 24, v3
	v_and_b32_e32 v3, 0xffff, v3
	v_and_b32_e32 v9, 7, v3
	v_ffbh_u32_e32 v13, v9
	v_min_u32_e32 v13, 32, v13
	v_subrev_u32_e32 v15, 28, v13
	v_bfe_u32 v11, v3, 3, 4
	v_lshlrev_b32_e32 v3, v15, v3
	v_sub_u32_e32 v13, 29, v13
	v_and_b32_e32 v3, 7, v3
	v_cmp_eq_u32_e32 vcc, 0, v11
	v_cndmask_b32_e32 v11, v11, v13, vcc
	v_cndmask_b32_e32 v3, v9, v3, vcc
	v_mov_b32_e32 v9, 0x3b800000
	v_lshlrev_b32_e32 v3, 20, v3
	v_and_b32_e32 v7, 0x80000000, v7
	v_lshl_add_u32 v9, v11, 23, v9
	v_or3_b32 v3, v7, v9, v3
	v_cvt_f64_f32_e32 v[22:23], v3
.LBB23_2108:
	s_or_b64 exec, exec, s[20:21]
.LBB23_2109:
	s_mov_b64 s[18:19], -1
.LBB23_2110:
	s_mov_b64 s[20:21], 0
.LBB23_2111:
	s_and_b64 vcc, exec, s[20:21]
	s_cbranch_vccz .LBB23_2144
; %bb.2112:
	v_cmp_gt_i16_e64 s[16:17], s28, 22
	s_and_b64 vcc, exec, s[16:17]
	s_cbranch_vccz .LBB23_2122
; %bb.2113:
	v_cmp_lt_i16_e64 s[16:17], s28, 24
	s_and_b64 vcc, exec, s[16:17]
	s_cbranch_vccnz .LBB23_2125
; %bb.2114:
	v_cmp_gt_i16_e64 s[16:17], s28, 24
	s_and_b64 vcc, exec, s[16:17]
	s_cbranch_vccz .LBB23_2126
; %bb.2115:
	global_load_ubyte v3, v[4:5], off
	s_movk_i32 s16, 0x7f
                                        ; implicit-def: $sgpr18_sgpr19
	s_waitcnt vmcnt(0)
	v_cmp_lt_i16_e32 vcc, s16, v3
	s_mov_b64 s[16:17], 0
	s_and_saveexec_b64 s[20:21], vcc
	s_xor_b64 s[20:21], exec, s[20:21]
	s_cbranch_execz .LBB23_2138
; %bb.2116:
	s_movk_i32 s16, 0x80
	v_cmp_eq_u16_e32 vcc, s16, v3
	s_mov_b64 s[22:23], -1
                                        ; implicit-def: $sgpr18_sgpr19
	s_and_saveexec_b64 s[16:17], vcc
; %bb.2117:
	s_mov_b32 s19, 0x7ff80000
	s_brev_b32 s18, 4
	s_xor_b64 s[22:23], exec, -1
; %bb.2118:
	s_or_b64 exec, exec, s[16:17]
	s_and_b64 s[16:17], s[22:23], exec
	s_or_saveexec_b64 s[20:21], s[20:21]
	v_pk_mov_b32 v[22:23], s[18:19], s[18:19] op_sel:[0,1]
	s_xor_b64 exec, exec, s[20:21]
	s_cbranch_execnz .LBB23_2139
.LBB23_2119:
	s_or_b64 exec, exec, s[20:21]
	s_and_saveexec_b64 s[18:19], s[16:17]
	s_cbranch_execz .LBB23_2121
.LBB23_2120:
	v_lshlrev_b32_e32 v7, 24, v3
	v_and_b32_e32 v3, 0xffff, v3
	v_and_b32_e32 v9, 3, v3
	v_ffbh_u32_e32 v13, v9
	v_min_u32_e32 v13, 32, v13
	v_subrev_u32_e32 v15, 29, v13
	v_bfe_u32 v11, v3, 2, 5
	v_lshlrev_b32_e32 v3, v15, v3
	v_sub_u32_e32 v13, 30, v13
	v_and_b32_e32 v3, 3, v3
	v_cmp_eq_u32_e32 vcc, 0, v11
	v_cndmask_b32_e32 v11, v11, v13, vcc
	v_cndmask_b32_e32 v3, v9, v3, vcc
	v_mov_b32_e32 v9, 0x37800000
	v_lshlrev_b32_e32 v3, 21, v3
	v_and_b32_e32 v7, 0x80000000, v7
	v_lshl_add_u32 v9, v11, 23, v9
	v_or3_b32 v3, v7, v9, v3
	v_cvt_f64_f32_e32 v[22:23], v3
.LBB23_2121:
	s_or_b64 exec, exec, s[18:19]
	s_mov_b64 s[16:17], 0
	s_branch .LBB23_2127
.LBB23_2122:
	s_mov_b64 s[16:17], -1
                                        ; implicit-def: $vgpr22_vgpr23
	s_branch .LBB23_2133
.LBB23_2123:
	s_or_saveexec_b64 s[22:23], s[22:23]
	v_pk_mov_b32 v[22:23], s[20:21], s[20:21] op_sel:[0,1]
	s_xor_b64 exec, exec, s[22:23]
	s_cbranch_execz .LBB23_2106
.LBB23_2124:
	v_cmp_ne_u16_e32 vcc, 0, v3
	s_andn2_b64 s[18:19], s[18:19], exec
	s_and_b64 s[20:21], vcc, exec
	v_pk_mov_b32 v[22:23], 0, 0
	s_or_b64 s[18:19], s[18:19], s[20:21]
	s_or_b64 exec, exec, s[22:23]
	s_and_saveexec_b64 s[20:21], s[18:19]
	s_cbranch_execnz .LBB23_2107
	s_branch .LBB23_2108
.LBB23_2125:
	s_mov_b64 s[16:17], -1
                                        ; implicit-def: $vgpr22_vgpr23
	s_branch .LBB23_2130
.LBB23_2126:
	s_mov_b64 s[16:17], -1
                                        ; implicit-def: $vgpr22_vgpr23
.LBB23_2127:
	s_and_b64 vcc, exec, s[16:17]
	s_cbranch_vccz .LBB23_2129
; %bb.2128:
	global_load_ubyte v3, v[4:5], off
	s_mov_b32 s16, 0x7f800000
	s_waitcnt vmcnt(0)
	v_lshlrev_b32_e32 v3, 24, v3
	v_and_b32_e32 v7, 0x7f000000, v3
	v_ffbh_u32_e32 v9, v7
	v_min_u32_e32 v9, 32, v9
	v_sub_u32_e64 v9, v9, 4 clamp
	v_lshlrev_b32_e32 v13, v9, v7
	v_lshlrev_b32_e32 v9, 23, v9
	v_lshrrev_b32_e32 v13, 4, v13
	v_add_u32_e32 v11, 0x1000000, v7
	v_sub_u32_e32 v9, v13, v9
	v_ashrrev_i32_e32 v11, 8, v11
	v_add_u32_e32 v9, 0x3c000000, v9
	v_and_or_b32 v9, v11, s16, v9
	v_cmp_ne_u32_e32 vcc, 0, v7
	v_cndmask_b32_e32 v7, 0, v9, vcc
	s_brev_b32 s16, 1
	v_and_or_b32 v3, v3, s16, v7
	v_cvt_f64_f32_e32 v[22:23], v3
.LBB23_2129:
	s_mov_b64 s[16:17], 0
.LBB23_2130:
	s_andn2_b64 vcc, exec, s[16:17]
	s_cbranch_vccnz .LBB23_2132
; %bb.2131:
	global_load_ubyte v3, v[4:5], off
	s_movk_i32 s16, 0x7f00
	s_brev_b32 s17, 16
	s_waitcnt vmcnt(0)
	v_lshlrev_b16_e32 v7, 8, v3
	v_lshlrev_b32_e32 v3, 25, v3
	v_lshrrev_b32_e32 v9, 4, v3
	v_and_or_b32 v11, v7, s16, 0.5
	v_or_b32_e32 v9, 0x70000000, v9
	v_add_f32_e32 v11, -0.5, v11
	v_mul_f32_e32 v9, 0x7800000, v9
	v_cmp_gt_u32_e32 vcc, s17, v3
	v_bfe_i32 v7, v7, 0, 16
	v_cndmask_b32_e32 v3, v9, v11, vcc
	s_brev_b32 s16, 1
	v_and_or_b32 v3, v7, s16, v3
	v_cvt_f64_f32_e32 v[22:23], v3
.LBB23_2132:
	s_mov_b64 s[16:17], 0
	s_mov_b64 s[18:19], -1
.LBB23_2133:
	s_andn2_b64 vcc, exec, s[16:17]
	s_mov_b64 s[16:17], 0
	s_cbranch_vccnz .LBB23_2144
; %bb.2134:
	v_cmp_gt_i16_e64 s[16:17], s28, 14
	s_and_b64 vcc, exec, s[16:17]
	s_cbranch_vccz .LBB23_2137
; %bb.2135:
	v_cmp_eq_u16_e64 s[6:7], s28, 15
	s_and_b64 vcc, exec, s[6:7]
	s_cbranch_vccz .LBB23_2140
; %bb.2136:
	global_load_ushort v3, v[4:5], off
	s_mov_b64 s[6:7], 0
	s_mov_b64 s[18:19], -1
	s_waitcnt vmcnt(0)
	v_lshlrev_b32_e32 v3, 16, v3
	v_cvt_f64_f32_e32 v[22:23], v3
	s_branch .LBB23_2141
.LBB23_2137:
	s_mov_b64 s[20:21], -1
                                        ; implicit-def: $vgpr22_vgpr23
	s_branch .LBB23_2142
.LBB23_2138:
	s_or_saveexec_b64 s[20:21], s[20:21]
	v_pk_mov_b32 v[22:23], s[18:19], s[18:19] op_sel:[0,1]
	s_xor_b64 exec, exec, s[20:21]
	s_cbranch_execz .LBB23_2119
.LBB23_2139:
	v_cmp_ne_u16_e32 vcc, 0, v3
	s_andn2_b64 s[16:17], s[16:17], exec
	s_and_b64 s[18:19], vcc, exec
	v_pk_mov_b32 v[22:23], 0, 0
	s_or_b64 s[16:17], s[16:17], s[18:19]
	s_or_b64 exec, exec, s[20:21]
	s_and_saveexec_b64 s[18:19], s[16:17]
	s_cbranch_execnz .LBB23_2120
	s_branch .LBB23_2121
.LBB23_2140:
	s_mov_b64 s[6:7], -1
                                        ; implicit-def: $vgpr22_vgpr23
.LBB23_2141:
	s_mov_b64 s[20:21], 0
.LBB23_2142:
	s_mov_b64 s[16:17], 0
	s_and_b64 vcc, exec, s[20:21]
	s_cbranch_vccz .LBB23_2144
; %bb.2143:
	v_cmp_ne_u16_e64 s[6:7], s28, 11
	s_mov_b64 s[16:17], -1
                                        ; implicit-def: $vgpr22_vgpr23
.LBB23_2144:
	s_and_b64 vcc, exec, s[6:7]
	s_cbranch_vccnz .LBB23_2221
; %bb.2145:
	s_andn2_b64 vcc, exec, s[16:17]
	s_cbranch_vccnz .LBB23_2147
.LBB23_2146:
	global_load_ubyte v3, v[4:5], off
	v_mov_b32_e32 v7, 0x3ff00000
	v_mov_b32_e32 v22, 0
	s_mov_b64 s[18:19], -1
	s_waitcnt vmcnt(0)
	v_cmp_ne_u16_e32 vcc, 0, v3
	v_cndmask_b32_e32 v23, 0, v7, vcc
.LBB23_2147:
	s_mov_b64 s[6:7], 0
.LBB23_2148:
	s_and_b64 vcc, exec, s[6:7]
	s_cbranch_vccz .LBB23_2197
; %bb.2149:
	v_cmp_lt_i16_e64 s[6:7], s28, 5
	s_and_b64 vcc, exec, s[6:7]
	s_cbranch_vccnz .LBB23_2154
; %bb.2150:
	v_cmp_lt_i16_e64 s[6:7], s28, 8
	s_and_b64 vcc, exec, s[6:7]
	s_cbranch_vccnz .LBB23_2155
	;; [unrolled: 4-line block ×3, first 2 shown]
; %bb.2152:
	v_cmp_gt_i16_e64 s[6:7], s28, 9
	s_and_b64 vcc, exec, s[6:7]
	s_cbranch_vccz .LBB23_2157
; %bb.2153:
	global_load_dwordx2 v[22:23], v[4:5], off
	s_mov_b64 s[6:7], 0
	s_branch .LBB23_2158
.LBB23_2154:
	s_mov_b64 s[6:7], -1
                                        ; implicit-def: $vgpr22_vgpr23
	s_branch .LBB23_2176
.LBB23_2155:
	s_mov_b64 s[6:7], -1
                                        ; implicit-def: $vgpr22_vgpr23
	s_branch .LBB23_2164
.LBB23_2156:
	s_mov_b64 s[6:7], -1
                                        ; implicit-def: $vgpr22_vgpr23
	s_branch .LBB23_2161
.LBB23_2157:
	s_mov_b64 s[6:7], -1
                                        ; implicit-def: $vgpr22_vgpr23
.LBB23_2158:
	s_andn2_b64 vcc, exec, s[6:7]
	s_cbranch_vccnz .LBB23_2160
; %bb.2159:
	global_load_dword v3, v[4:5], off
	s_waitcnt vmcnt(0)
	v_cvt_f64_f32_e32 v[22:23], v3
.LBB23_2160:
	s_mov_b64 s[6:7], 0
.LBB23_2161:
	s_andn2_b64 vcc, exec, s[6:7]
	s_cbranch_vccnz .LBB23_2163
; %bb.2162:
	global_load_dword v3, v[4:5], off
	s_waitcnt vmcnt(0)
	v_cvt_f32_f16_e32 v3, v3
	v_cvt_f64_f32_e32 v[22:23], v3
.LBB23_2163:
	s_mov_b64 s[6:7], 0
.LBB23_2164:
	s_andn2_b64 vcc, exec, s[6:7]
	s_cbranch_vccnz .LBB23_2175
; %bb.2165:
	v_cmp_lt_i16_e64 s[6:7], s28, 6
	s_and_b64 vcc, exec, s[6:7]
	s_cbranch_vccnz .LBB23_2168
; %bb.2166:
	v_cmp_gt_i16_e64 s[6:7], s28, 6
	s_and_b64 vcc, exec, s[6:7]
	s_cbranch_vccz .LBB23_2169
; %bb.2167:
	global_load_dwordx2 v[22:23], v[4:5], off
	s_mov_b64 s[6:7], 0
	s_branch .LBB23_2170
.LBB23_2168:
	s_mov_b64 s[6:7], -1
                                        ; implicit-def: $vgpr22_vgpr23
	s_branch .LBB23_2173
.LBB23_2169:
	s_mov_b64 s[6:7], -1
                                        ; implicit-def: $vgpr22_vgpr23
.LBB23_2170:
	s_andn2_b64 vcc, exec, s[6:7]
	s_cbranch_vccnz .LBB23_2172
; %bb.2171:
	global_load_dword v3, v[4:5], off
	s_waitcnt vmcnt(0)
	v_cvt_f64_f32_e32 v[22:23], v3
.LBB23_2172:
	s_mov_b64 s[6:7], 0
.LBB23_2173:
	s_andn2_b64 vcc, exec, s[6:7]
	s_cbranch_vccnz .LBB23_2175
; %bb.2174:
	global_load_ushort v3, v[4:5], off
	s_waitcnt vmcnt(0)
	v_cvt_f32_f16_e32 v3, v3
	v_cvt_f64_f32_e32 v[22:23], v3
.LBB23_2175:
	s_mov_b64 s[6:7], 0
.LBB23_2176:
	s_andn2_b64 vcc, exec, s[6:7]
	s_cbranch_vccnz .LBB23_2196
; %bb.2177:
	v_cmp_lt_i16_e64 s[6:7], s28, 2
	s_and_b64 vcc, exec, s[6:7]
	s_cbranch_vccnz .LBB23_2181
; %bb.2178:
	v_cmp_lt_i16_e64 s[6:7], s28, 3
	s_and_b64 vcc, exec, s[6:7]
	s_cbranch_vccnz .LBB23_2182
; %bb.2179:
	v_cmp_gt_i16_e64 s[6:7], s28, 3
	s_and_b64 vcc, exec, s[6:7]
	s_cbranch_vccz .LBB23_2183
; %bb.2180:
	global_load_dwordx2 v[22:23], v[4:5], off
	s_mov_b64 s[6:7], 0
	s_waitcnt vmcnt(0)
	v_cvt_f64_i32_e32 v[24:25], v23
	v_cvt_f64_u32_e32 v[22:23], v22
	v_ldexp_f64 v[24:25], v[24:25], 32
	v_add_f64 v[22:23], v[24:25], v[22:23]
	s_branch .LBB23_2184
.LBB23_2181:
	s_mov_b64 s[6:7], -1
                                        ; implicit-def: $vgpr22_vgpr23
	s_branch .LBB23_2190
.LBB23_2182:
	s_mov_b64 s[6:7], -1
                                        ; implicit-def: $vgpr22_vgpr23
	s_branch .LBB23_2187
.LBB23_2183:
	s_mov_b64 s[6:7], -1
                                        ; implicit-def: $vgpr22_vgpr23
.LBB23_2184:
	s_andn2_b64 vcc, exec, s[6:7]
	s_cbranch_vccnz .LBB23_2186
; %bb.2185:
	global_load_dword v3, v[4:5], off
	s_waitcnt vmcnt(0)
	v_cvt_f64_i32_e32 v[22:23], v3
.LBB23_2186:
	s_mov_b64 s[6:7], 0
.LBB23_2187:
	s_andn2_b64 vcc, exec, s[6:7]
	s_cbranch_vccnz .LBB23_2189
; %bb.2188:
	global_load_sshort v3, v[4:5], off
	s_waitcnt vmcnt(0)
	v_cvt_f64_i32_e32 v[22:23], v3
.LBB23_2189:
	s_mov_b64 s[6:7], 0
.LBB23_2190:
	s_andn2_b64 vcc, exec, s[6:7]
	s_cbranch_vccnz .LBB23_2196
; %bb.2191:
	v_cmp_gt_i16_e64 s[6:7], s28, 0
	s_and_b64 vcc, exec, s[6:7]
	s_cbranch_vccz .LBB23_2193
; %bb.2192:
	global_load_sbyte v3, v[4:5], off
	s_mov_b64 s[6:7], 0
	s_waitcnt vmcnt(0)
	v_cvt_f64_i32_e32 v[22:23], v3
	s_branch .LBB23_2194
.LBB23_2193:
	s_mov_b64 s[6:7], -1
                                        ; implicit-def: $vgpr22_vgpr23
.LBB23_2194:
	s_andn2_b64 vcc, exec, s[6:7]
	s_cbranch_vccnz .LBB23_2196
; %bb.2195:
	global_load_ubyte v3, v[4:5], off
	s_waitcnt vmcnt(0)
	v_cvt_f64_u32_e32 v[22:23], v3
.LBB23_2196:
	s_mov_b64 s[18:19], -1
.LBB23_2197:
	s_andn2_b64 vcc, exec, s[18:19]
	s_cbranch_vccnz .LBB23_2763
; %bb.2198:
	s_waitcnt vmcnt(0)
	v_trunc_f64_e32 v[4:5], v[22:23]
	s_movk_i32 s6, 0xffe0
	v_ldexp_f64 v[22:23], v[4:5], s6
	v_floor_f64_e32 v[24:25], v[22:23]
	v_fmac_f64_e32 v[4:5], 0xc1f00000, v[24:25]
	v_cvt_i32_f64_e32 v23, v[24:25]
	v_cvt_u32_f64_e32 v22, v[4:5]
	v_cmp_lt_i64_e32 vcc, -1, v[22:23]
	v_pk_mov_b32 v[4:5], 0, 0
	s_and_saveexec_b64 s[6:7], vcc
	s_cbranch_execz .LBB23_2210
; %bb.2199:
	v_mov_b32_e32 v4, 0
	v_cmp_lt_i64_e32 vcc, 0, v[22:23]
	v_mov_b32_e32 v5, 0x3ff00000
	s_and_saveexec_b64 s[16:17], vcc
	s_cbranch_execz .LBB23_2209
; %bb.2200:
	v_cmp_ne_u64_e32 vcc, 1, v[22:23]
                                        ; implicit-def: $vgpr4_vgpr5
	s_and_saveexec_b64 s[18:19], vcc
	s_xor_b64 s[18:19], exec, s[18:19]
	s_cbranch_execz .LBB23_2206
; %bb.2201:
	s_mov_b64 s[20:21], 0x201
	v_mov_b32_e32 v4, 0
	v_cmp_gt_u64_e32 vcc, s[20:21], v[22:23]
	v_mov_b32_e32 v5, 0x7ff80000
	s_and_saveexec_b64 s[20:21], vcc
	s_cbranch_execz .LBB23_2205
; %bb.2202:
	v_mov_b32_e32 v24, 0
	s_mov_b64 s[24:25], 1
	s_mov_b64 s[22:23], 0
	v_mov_b32_e32 v25, 0x3ff00000
	v_pk_mov_b32 v[4:5], v[20:21], v[20:21] op_sel:[0,1]
.LBB23_2203:                            ; =>This Inner Loop Header: Depth=1
	v_cvt_f64_u32_e32 v[26:27], s25
	v_cvt_f64_u32_e32 v[28:29], s24
	s_add_u32 s24, s24, 1
	v_ldexp_f64 v[26:27], v[26:27], 32
	s_addc_u32 s25, s25, 0
	v_add_f64 v[26:27], v[26:27], v[28:29]
	v_cmp_eq_u64_e32 vcc, s[24:25], v[22:23]
	v_mul_f64 v[26:27], v[24:25], v[26:27]
	s_or_b64 s[22:23], vcc, s[22:23]
	v_pk_mov_b32 v[24:25], v[4:5], v[4:5] op_sel:[0,1]
	v_fma_f64 v[4:5], v[20:21], v[4:5], -v[26:27]
	s_andn2_b64 exec, exec, s[22:23]
	s_cbranch_execnz .LBB23_2203
; %bb.2204:
	s_or_b64 exec, exec, s[22:23]
.LBB23_2205:
	s_or_b64 exec, exec, s[20:21]
                                        ; implicit-def: $vgpr20_vgpr21
.LBB23_2206:
	s_andn2_saveexec_b64 s[18:19], s[18:19]
; %bb.2207:
	v_pk_mov_b32 v[4:5], v[20:21], v[20:21] op_sel:[0,1]
; %bb.2208:
	s_or_b64 exec, exec, s[18:19]
.LBB23_2209:
	s_or_b64 exec, exec, s[16:17]
.LBB23_2210:
	s_or_b64 exec, exec, s[6:7]
	v_mov_b32_e32 v3, s11
	v_add_co_u32_e32 v20, vcc, s10, v18
	v_addc_co_u32_e32 v21, vcc, 0, v3, vcc
	v_mov_b32_e32 v3, 11
	v_cmp_lt_i16_sdwa s[6:7], s27, v3 src0_sel:BYTE_0 src1_sel:DWORD
	s_and_b64 vcc, exec, s[6:7]
	s_cbranch_vccnz .LBB23_2217
; %bb.2211:
	v_mov_b32_e32 v3, 25
	v_cmp_gt_i16_sdwa s[6:7], s27, v3 src0_sel:BYTE_0 src1_sel:DWORD
	s_mov_b64 s[16:17], 0
	s_and_b64 vcc, exec, s[6:7]
	s_cbranch_vccz .LBB23_2218
; %bb.2212:
	v_mov_b32_e32 v3, 28
	v_cmp_gt_i16_sdwa s[6:7], s27, v3 src0_sel:BYTE_0 src1_sel:DWORD
	s_and_b64 vcc, exec, s[6:7]
	s_cbranch_vccz .LBB23_2219
; %bb.2213:
	v_mov_b32_e32 v3, 43
	v_cmp_gt_i16_sdwa s[6:7], s27, v3 src0_sel:BYTE_0 src1_sel:DWORD
	;; [unrolled: 5-line block ×3, first 2 shown]
	s_and_b64 vcc, exec, s[6:7]
	s_cbranch_vccz .LBB23_2222
; %bb.2215:
	v_mov_b32_e32 v3, 46
	v_cmp_eq_u16_sdwa s[6:7], s27, v3 src0_sel:BYTE_0 src1_sel:DWORD
	s_mov_b64 s[20:21], 0
	s_and_b64 vcc, exec, s[6:7]
	s_cbranch_vccz .LBB23_2223
; %bb.2216:
	global_load_dword v3, v[20:21], off
	s_mov_b64 s[6:7], 0
	s_mov_b64 s[18:19], -1
	s_waitcnt vmcnt(0)
	v_lshlrev_b32_e32 v3, 16, v3
	v_cvt_f64_f32_e32 v[18:19], v3
	s_branch .LBB23_2224
.LBB23_2217:
	s_mov_b64 s[6:7], -1
	s_mov_b64 s[18:19], 0
                                        ; implicit-def: $vgpr18_vgpr19
	s_branch .LBB23_2290
.LBB23_2218:
	s_mov_b64 s[20:21], -1
	s_mov_b64 s[18:19], 0
	s_mov_b64 s[6:7], 0
                                        ; implicit-def: $vgpr18_vgpr19
	s_branch .LBB23_2253
.LBB23_2219:
	s_mov_b64 s[20:21], -1
	s_mov_b64 s[18:19], 0
	s_mov_b64 s[6:7], 0
                                        ; implicit-def: $vgpr18_vgpr19
	s_branch .LBB23_2234
.LBB23_2220:
	s_mov_b64 s[20:21], -1
	s_mov_b64 s[18:19], 0
	s_mov_b64 s[6:7], 0
                                        ; implicit-def: $vgpr18_vgpr19
	s_branch .LBB23_2229
.LBB23_2221:
	s_trap 2
	s_or_b64 s[4:5], s[4:5], exec
                                        ; implicit-def: $vgpr22_vgpr23
	s_cbranch_execz .LBB23_2146
	s_branch .LBB23_2147
.LBB23_2222:
	s_mov_b64 s[20:21], -1
	s_mov_b64 s[18:19], 0
	s_mov_b64 s[6:7], 0
                                        ; implicit-def: $vgpr18_vgpr19
	s_branch .LBB23_2224
.LBB23_2223:
	s_mov_b64 s[6:7], -1
                                        ; implicit-def: $vgpr18_vgpr19
	s_mov_b64 s[18:19], 0
.LBB23_2224:
	s_and_b64 vcc, exec, s[20:21]
	s_cbranch_vccz .LBB23_2228
; %bb.2225:
	v_mov_b32_e32 v3, 44
	v_cmp_eq_u16_sdwa s[6:7], s27, v3 src0_sel:BYTE_0 src1_sel:DWORD
	s_and_b64 vcc, exec, s[6:7]
	s_cbranch_vccz .LBB23_2227
; %bb.2226:
	global_load_ubyte v3, v[20:21], off
	s_movk_i32 s18, 0xff
	v_bfrev_b32_e32 v7, 4
	v_mov_b32_e32 v9, 0x7ff80000
	v_bfrev_b32_e32 v11, 28
	s_mov_b64 s[6:7], 0
	s_waitcnt vmcnt(0)
	v_lshlrev_b32_e32 v13, 23, v3
	v_cvt_f64_f32_e32 v[18:19], v13
	v_cmp_ne_u32_e32 vcc, s18, v3
	v_cndmask_b32_e32 v7, v7, v18, vcc
	v_cndmask_b32_e32 v9, v9, v19, vcc
	v_cmp_ne_u32_e32 vcc, 0, v3
	v_cndmask_b32_e32 v19, v11, v9, vcc
	v_cndmask_b32_e32 v18, 0, v7, vcc
	s_mov_b64 s[18:19], -1
	s_branch .LBB23_2228
.LBB23_2227:
	s_mov_b64 s[6:7], -1
                                        ; implicit-def: $vgpr18_vgpr19
.LBB23_2228:
	s_mov_b64 s[20:21], 0
.LBB23_2229:
	s_and_b64 vcc, exec, s[20:21]
	s_cbranch_vccz .LBB23_2233
; %bb.2230:
	v_mov_b32_e32 v3, 29
	v_cmp_eq_u16_sdwa s[6:7], s27, v3 src0_sel:BYTE_0 src1_sel:DWORD
	s_and_b64 vcc, exec, s[6:7]
	s_cbranch_vccz .LBB23_2232
; %bb.2231:
	global_load_dwordx2 v[18:19], v[20:21], off
	s_mov_b64 s[6:7], 0
	s_mov_b64 s[18:19], -1
	s_mov_b64 s[20:21], 0
	s_waitcnt vmcnt(0)
	v_cvt_f64_u32_e32 v[22:23], v19
	v_cvt_f64_u32_e32 v[18:19], v18
	v_ldexp_f64 v[22:23], v[22:23], 32
	v_add_f64 v[18:19], v[22:23], v[18:19]
	s_branch .LBB23_2234
.LBB23_2232:
	s_mov_b64 s[6:7], -1
                                        ; implicit-def: $vgpr18_vgpr19
.LBB23_2233:
	s_mov_b64 s[20:21], 0
.LBB23_2234:
	s_and_b64 vcc, exec, s[20:21]
	s_cbranch_vccz .LBB23_2252
; %bb.2235:
	v_mov_b32_e32 v3, 27
	v_cmp_lt_i16_sdwa s[18:19], s27, v3 src0_sel:BYTE_0 src1_sel:DWORD
	s_and_b64 vcc, exec, s[18:19]
	s_cbranch_vccnz .LBB23_2238
; %bb.2236:
	v_cmp_gt_i16_sdwa s[18:19], s27, v3 src0_sel:BYTE_0 src1_sel:DWORD
	s_and_b64 vcc, exec, s[18:19]
	s_cbranch_vccz .LBB23_2239
; %bb.2237:
	global_load_dword v3, v[20:21], off
	s_mov_b64 s[18:19], 0
	s_waitcnt vmcnt(0)
	v_cvt_f64_u32_e32 v[18:19], v3
	s_branch .LBB23_2240
.LBB23_2238:
	s_mov_b64 s[18:19], -1
                                        ; implicit-def: $vgpr18_vgpr19
	s_branch .LBB23_2243
.LBB23_2239:
	s_mov_b64 s[18:19], -1
                                        ; implicit-def: $vgpr18_vgpr19
.LBB23_2240:
	s_andn2_b64 vcc, exec, s[18:19]
	s_cbranch_vccnz .LBB23_2242
; %bb.2241:
	global_load_ushort v3, v[20:21], off
	s_waitcnt vmcnt(0)
	v_cvt_f64_u32_e32 v[18:19], v3
.LBB23_2242:
	s_mov_b64 s[18:19], 0
.LBB23_2243:
	s_andn2_b64 vcc, exec, s[18:19]
	s_cbranch_vccnz .LBB23_2251
; %bb.2244:
	global_load_ubyte v3, v[20:21], off
	s_movk_i32 s18, 0x7f
                                        ; implicit-def: $sgpr20_sgpr21
	s_waitcnt vmcnt(0)
	v_cmp_lt_i16_e32 vcc, s18, v3
	s_mov_b64 s[18:19], 0
	s_and_saveexec_b64 s[22:23], vcc
	s_xor_b64 s[22:23], exec, s[22:23]
	s_cbranch_execz .LBB23_2265
; %bb.2245:
	s_movk_i32 s18, 0x80
	v_cmp_eq_u16_e32 vcc, s18, v3
	s_mov_b64 s[24:25], -1
                                        ; implicit-def: $sgpr20_sgpr21
	s_and_saveexec_b64 s[18:19], vcc
; %bb.2246:
	s_mov_b32 s21, 0x7ff80000
	s_brev_b32 s20, 4
	s_xor_b64 s[24:25], exec, -1
; %bb.2247:
	s_or_b64 exec, exec, s[18:19]
	s_and_b64 s[18:19], s[24:25], exec
	s_or_saveexec_b64 s[22:23], s[22:23]
	v_pk_mov_b32 v[18:19], s[20:21], s[20:21] op_sel:[0,1]
	s_xor_b64 exec, exec, s[22:23]
	s_cbranch_execnz .LBB23_2266
.LBB23_2248:
	s_or_b64 exec, exec, s[22:23]
	s_and_saveexec_b64 s[20:21], s[18:19]
	s_cbranch_execz .LBB23_2250
.LBB23_2249:
	v_lshlrev_b32_e32 v7, 24, v3
	v_and_b32_e32 v3, 0xffff, v3
	v_and_b32_e32 v9, 7, v3
	v_ffbh_u32_e32 v13, v9
	v_min_u32_e32 v13, 32, v13
	v_subrev_u32_e32 v15, 28, v13
	v_bfe_u32 v11, v3, 3, 4
	v_lshlrev_b32_e32 v3, v15, v3
	v_sub_u32_e32 v13, 29, v13
	v_and_b32_e32 v3, 7, v3
	v_cmp_eq_u32_e32 vcc, 0, v11
	v_cndmask_b32_e32 v11, v11, v13, vcc
	v_cndmask_b32_e32 v3, v9, v3, vcc
	v_mov_b32_e32 v9, 0x3b800000
	v_lshlrev_b32_e32 v3, 20, v3
	v_and_b32_e32 v7, 0x80000000, v7
	v_lshl_add_u32 v9, v11, 23, v9
	v_or3_b32 v3, v7, v9, v3
	v_cvt_f64_f32_e32 v[18:19], v3
.LBB23_2250:
	s_or_b64 exec, exec, s[20:21]
.LBB23_2251:
	s_mov_b64 s[18:19], -1
.LBB23_2252:
	s_mov_b64 s[20:21], 0
.LBB23_2253:
	s_and_b64 vcc, exec, s[20:21]
	s_cbranch_vccz .LBB23_2286
; %bb.2254:
	v_mov_b32_e32 v3, 22
	v_cmp_gt_i16_sdwa s[16:17], s27, v3 src0_sel:BYTE_0 src1_sel:DWORD
	s_and_b64 vcc, exec, s[16:17]
	s_cbranch_vccz .LBB23_2264
; %bb.2255:
	v_mov_b32_e32 v3, 24
	v_cmp_lt_i16_sdwa s[16:17], s27, v3 src0_sel:BYTE_0 src1_sel:DWORD
	s_and_b64 vcc, exec, s[16:17]
	s_cbranch_vccnz .LBB23_2267
; %bb.2256:
	v_cmp_gt_i16_sdwa s[16:17], s27, v3 src0_sel:BYTE_0 src1_sel:DWORD
	s_and_b64 vcc, exec, s[16:17]
	s_cbranch_vccz .LBB23_2268
; %bb.2257:
	global_load_ubyte v3, v[20:21], off
	s_movk_i32 s16, 0x7f
                                        ; implicit-def: $sgpr18_sgpr19
	s_waitcnt vmcnt(0)
	v_cmp_lt_i16_e32 vcc, s16, v3
	s_mov_b64 s[16:17], 0
	s_and_saveexec_b64 s[20:21], vcc
	s_xor_b64 s[20:21], exec, s[20:21]
	s_cbranch_execz .LBB23_2280
; %bb.2258:
	s_movk_i32 s16, 0x80
	v_cmp_eq_u16_e32 vcc, s16, v3
	s_mov_b64 s[22:23], -1
                                        ; implicit-def: $sgpr18_sgpr19
	s_and_saveexec_b64 s[16:17], vcc
; %bb.2259:
	s_mov_b32 s19, 0x7ff80000
	s_brev_b32 s18, 4
	s_xor_b64 s[22:23], exec, -1
; %bb.2260:
	s_or_b64 exec, exec, s[16:17]
	s_and_b64 s[16:17], s[22:23], exec
	s_or_saveexec_b64 s[20:21], s[20:21]
	v_pk_mov_b32 v[18:19], s[18:19], s[18:19] op_sel:[0,1]
	s_xor_b64 exec, exec, s[20:21]
	s_cbranch_execnz .LBB23_2281
.LBB23_2261:
	s_or_b64 exec, exec, s[20:21]
	s_and_saveexec_b64 s[18:19], s[16:17]
	s_cbranch_execz .LBB23_2263
.LBB23_2262:
	v_lshlrev_b32_e32 v7, 24, v3
	v_and_b32_e32 v3, 0xffff, v3
	v_and_b32_e32 v9, 3, v3
	v_ffbh_u32_e32 v13, v9
	v_min_u32_e32 v13, 32, v13
	v_subrev_u32_e32 v15, 29, v13
	v_bfe_u32 v11, v3, 2, 5
	v_lshlrev_b32_e32 v3, v15, v3
	v_sub_u32_e32 v13, 30, v13
	v_and_b32_e32 v3, 3, v3
	v_cmp_eq_u32_e32 vcc, 0, v11
	v_cndmask_b32_e32 v11, v11, v13, vcc
	v_cndmask_b32_e32 v3, v9, v3, vcc
	v_mov_b32_e32 v9, 0x37800000
	v_lshlrev_b32_e32 v3, 21, v3
	v_and_b32_e32 v7, 0x80000000, v7
	v_lshl_add_u32 v9, v11, 23, v9
	v_or3_b32 v3, v7, v9, v3
	v_cvt_f64_f32_e32 v[18:19], v3
.LBB23_2263:
	s_or_b64 exec, exec, s[18:19]
	s_mov_b64 s[16:17], 0
	s_branch .LBB23_2269
.LBB23_2264:
	s_mov_b64 s[16:17], -1
                                        ; implicit-def: $vgpr18_vgpr19
	s_branch .LBB23_2275
.LBB23_2265:
	s_or_saveexec_b64 s[22:23], s[22:23]
	v_pk_mov_b32 v[18:19], s[20:21], s[20:21] op_sel:[0,1]
	s_xor_b64 exec, exec, s[22:23]
	s_cbranch_execz .LBB23_2248
.LBB23_2266:
	v_cmp_ne_u16_e32 vcc, 0, v3
	s_andn2_b64 s[18:19], s[18:19], exec
	s_and_b64 s[20:21], vcc, exec
	v_pk_mov_b32 v[18:19], 0, 0
	s_or_b64 s[18:19], s[18:19], s[20:21]
	s_or_b64 exec, exec, s[22:23]
	s_and_saveexec_b64 s[20:21], s[18:19]
	s_cbranch_execnz .LBB23_2249
	s_branch .LBB23_2250
.LBB23_2267:
	s_mov_b64 s[16:17], -1
                                        ; implicit-def: $vgpr18_vgpr19
	s_branch .LBB23_2272
.LBB23_2268:
	s_mov_b64 s[16:17], -1
                                        ; implicit-def: $vgpr18_vgpr19
.LBB23_2269:
	s_and_b64 vcc, exec, s[16:17]
	s_cbranch_vccz .LBB23_2271
; %bb.2270:
	global_load_ubyte v3, v[20:21], off
	s_mov_b32 s16, 0x7f800000
	s_waitcnt vmcnt(0)
	v_lshlrev_b32_e32 v3, 24, v3
	v_and_b32_e32 v7, 0x7f000000, v3
	v_ffbh_u32_e32 v9, v7
	v_min_u32_e32 v9, 32, v9
	v_sub_u32_e64 v9, v9, 4 clamp
	v_lshlrev_b32_e32 v13, v9, v7
	v_lshlrev_b32_e32 v9, 23, v9
	v_lshrrev_b32_e32 v13, 4, v13
	v_add_u32_e32 v11, 0x1000000, v7
	v_sub_u32_e32 v9, v13, v9
	v_ashrrev_i32_e32 v11, 8, v11
	v_add_u32_e32 v9, 0x3c000000, v9
	v_and_or_b32 v9, v11, s16, v9
	v_cmp_ne_u32_e32 vcc, 0, v7
	v_cndmask_b32_e32 v7, 0, v9, vcc
	s_brev_b32 s16, 1
	v_and_or_b32 v3, v3, s16, v7
	v_cvt_f64_f32_e32 v[18:19], v3
.LBB23_2271:
	s_mov_b64 s[16:17], 0
.LBB23_2272:
	s_andn2_b64 vcc, exec, s[16:17]
	s_cbranch_vccnz .LBB23_2274
; %bb.2273:
	global_load_ubyte v3, v[20:21], off
	s_movk_i32 s16, 0x7f00
	s_brev_b32 s17, 16
	s_waitcnt vmcnt(0)
	v_lshlrev_b16_e32 v7, 8, v3
	v_lshlrev_b32_e32 v3, 25, v3
	v_lshrrev_b32_e32 v9, 4, v3
	v_and_or_b32 v11, v7, s16, 0.5
	v_or_b32_e32 v9, 0x70000000, v9
	v_add_f32_e32 v11, -0.5, v11
	v_mul_f32_e32 v9, 0x7800000, v9
	v_cmp_gt_u32_e32 vcc, s17, v3
	v_bfe_i32 v7, v7, 0, 16
	v_cndmask_b32_e32 v3, v9, v11, vcc
	s_brev_b32 s16, 1
	v_and_or_b32 v3, v7, s16, v3
	v_cvt_f64_f32_e32 v[18:19], v3
.LBB23_2274:
	s_mov_b64 s[16:17], 0
	s_mov_b64 s[18:19], -1
.LBB23_2275:
	s_andn2_b64 vcc, exec, s[16:17]
	s_mov_b64 s[16:17], 0
	s_cbranch_vccnz .LBB23_2286
; %bb.2276:
	v_mov_b32_e32 v3, 14
	v_cmp_gt_i16_sdwa s[16:17], s27, v3 src0_sel:BYTE_0 src1_sel:DWORD
	s_and_b64 vcc, exec, s[16:17]
	s_cbranch_vccz .LBB23_2279
; %bb.2277:
	v_mov_b32_e32 v3, 15
	v_cmp_eq_u16_sdwa s[6:7], s27, v3 src0_sel:BYTE_0 src1_sel:DWORD
	s_and_b64 vcc, exec, s[6:7]
	s_cbranch_vccz .LBB23_2282
; %bb.2278:
	global_load_ushort v3, v[20:21], off
	s_mov_b64 s[6:7], 0
	s_mov_b64 s[18:19], -1
	s_waitcnt vmcnt(0)
	v_lshlrev_b32_e32 v3, 16, v3
	v_cvt_f64_f32_e32 v[18:19], v3
	s_branch .LBB23_2283
.LBB23_2279:
	s_mov_b64 s[20:21], -1
                                        ; implicit-def: $vgpr18_vgpr19
	s_branch .LBB23_2284
.LBB23_2280:
	s_or_saveexec_b64 s[20:21], s[20:21]
	v_pk_mov_b32 v[18:19], s[18:19], s[18:19] op_sel:[0,1]
	s_xor_b64 exec, exec, s[20:21]
	s_cbranch_execz .LBB23_2261
.LBB23_2281:
	v_cmp_ne_u16_e32 vcc, 0, v3
	s_andn2_b64 s[16:17], s[16:17], exec
	s_and_b64 s[18:19], vcc, exec
	v_pk_mov_b32 v[18:19], 0, 0
	s_or_b64 s[16:17], s[16:17], s[18:19]
	s_or_b64 exec, exec, s[20:21]
	s_and_saveexec_b64 s[18:19], s[16:17]
	s_cbranch_execnz .LBB23_2262
	s_branch .LBB23_2263
.LBB23_2282:
	s_mov_b64 s[6:7], -1
                                        ; implicit-def: $vgpr18_vgpr19
.LBB23_2283:
	s_mov_b64 s[20:21], 0
.LBB23_2284:
	s_mov_b64 s[16:17], 0
	s_and_b64 vcc, exec, s[20:21]
	s_cbranch_vccz .LBB23_2286
; %bb.2285:
	v_mov_b32_e32 v3, 11
	v_cmp_ne_u16_sdwa s[6:7], s27, v3 src0_sel:BYTE_0 src1_sel:DWORD
	s_mov_b64 s[16:17], -1
                                        ; implicit-def: $vgpr18_vgpr19
.LBB23_2286:
	s_and_b64 vcc, exec, s[6:7]
	s_cbranch_vccnz .LBB23_2351
; %bb.2287:
	s_andn2_b64 vcc, exec, s[16:17]
	s_cbranch_vccnz .LBB23_2289
.LBB23_2288:
	global_load_ubyte v3, v[20:21], off
	v_mov_b32_e32 v7, 0x3ff00000
	v_mov_b32_e32 v18, 0
	s_mov_b64 s[18:19], -1
	s_waitcnt vmcnt(0)
	v_cmp_ne_u16_e32 vcc, 0, v3
	v_cndmask_b32_e32 v19, 0, v7, vcc
.LBB23_2289:
	s_mov_b64 s[6:7], 0
.LBB23_2290:
	s_and_b64 vcc, exec, s[6:7]
	s_cbranch_vccz .LBB23_2339
; %bb.2291:
	v_mov_b32_e32 v3, 5
	v_cmp_lt_i16_sdwa s[6:7], s27, v3 src0_sel:BYTE_0 src1_sel:DWORD
	s_and_b64 vcc, exec, s[6:7]
	s_cbranch_vccnz .LBB23_2296
; %bb.2292:
	v_mov_b32_e32 v3, 8
	v_cmp_lt_i16_sdwa s[6:7], s27, v3 src0_sel:BYTE_0 src1_sel:DWORD
	s_and_b64 vcc, exec, s[6:7]
	s_cbranch_vccnz .LBB23_2297
; %bb.2293:
	v_mov_b32_e32 v3, 9
	v_cmp_lt_i16_sdwa s[6:7], s27, v3 src0_sel:BYTE_0 src1_sel:DWORD
	s_and_b64 vcc, exec, s[6:7]
	s_cbranch_vccnz .LBB23_2298
; %bb.2294:
	v_cmp_gt_i16_sdwa s[6:7], s27, v3 src0_sel:BYTE_0 src1_sel:DWORD
	s_and_b64 vcc, exec, s[6:7]
	s_cbranch_vccz .LBB23_2299
; %bb.2295:
	global_load_dwordx2 v[18:19], v[20:21], off
	s_mov_b64 s[6:7], 0
	s_branch .LBB23_2300
.LBB23_2296:
	s_mov_b64 s[6:7], -1
                                        ; implicit-def: $vgpr18_vgpr19
	s_branch .LBB23_2318
.LBB23_2297:
	s_mov_b64 s[6:7], -1
                                        ; implicit-def: $vgpr18_vgpr19
	s_branch .LBB23_2306
.LBB23_2298:
	s_mov_b64 s[6:7], -1
                                        ; implicit-def: $vgpr18_vgpr19
	s_branch .LBB23_2303
.LBB23_2299:
	s_mov_b64 s[6:7], -1
                                        ; implicit-def: $vgpr18_vgpr19
.LBB23_2300:
	s_andn2_b64 vcc, exec, s[6:7]
	s_cbranch_vccnz .LBB23_2302
; %bb.2301:
	global_load_dword v3, v[20:21], off
	s_waitcnt vmcnt(0)
	v_cvt_f64_f32_e32 v[18:19], v3
.LBB23_2302:
	s_mov_b64 s[6:7], 0
.LBB23_2303:
	s_andn2_b64 vcc, exec, s[6:7]
	s_cbranch_vccnz .LBB23_2305
; %bb.2304:
	global_load_dword v3, v[20:21], off
	s_waitcnt vmcnt(0)
	v_cvt_f32_f16_e32 v3, v3
	v_cvt_f64_f32_e32 v[18:19], v3
.LBB23_2305:
	s_mov_b64 s[6:7], 0
.LBB23_2306:
	s_andn2_b64 vcc, exec, s[6:7]
	s_cbranch_vccnz .LBB23_2317
; %bb.2307:
	v_mov_b32_e32 v3, 6
	v_cmp_lt_i16_sdwa s[6:7], s27, v3 src0_sel:BYTE_0 src1_sel:DWORD
	s_and_b64 vcc, exec, s[6:7]
	s_cbranch_vccnz .LBB23_2310
; %bb.2308:
	v_cmp_gt_i16_sdwa s[6:7], s27, v3 src0_sel:BYTE_0 src1_sel:DWORD
	s_and_b64 vcc, exec, s[6:7]
	s_cbranch_vccz .LBB23_2311
; %bb.2309:
	global_load_dwordx2 v[18:19], v[20:21], off
	s_mov_b64 s[6:7], 0
	s_branch .LBB23_2312
.LBB23_2310:
	s_mov_b64 s[6:7], -1
                                        ; implicit-def: $vgpr18_vgpr19
	s_branch .LBB23_2315
.LBB23_2311:
	s_mov_b64 s[6:7], -1
                                        ; implicit-def: $vgpr18_vgpr19
.LBB23_2312:
	s_andn2_b64 vcc, exec, s[6:7]
	s_cbranch_vccnz .LBB23_2314
; %bb.2313:
	global_load_dword v3, v[20:21], off
	s_waitcnt vmcnt(0)
	v_cvt_f64_f32_e32 v[18:19], v3
.LBB23_2314:
	s_mov_b64 s[6:7], 0
.LBB23_2315:
	s_andn2_b64 vcc, exec, s[6:7]
	s_cbranch_vccnz .LBB23_2317
; %bb.2316:
	global_load_ushort v3, v[20:21], off
	s_waitcnt vmcnt(0)
	v_cvt_f32_f16_e32 v3, v3
	v_cvt_f64_f32_e32 v[18:19], v3
.LBB23_2317:
	s_mov_b64 s[6:7], 0
.LBB23_2318:
	s_andn2_b64 vcc, exec, s[6:7]
	s_cbranch_vccnz .LBB23_2338
; %bb.2319:
	v_mov_b32_e32 v3, 2
	v_cmp_lt_i16_sdwa s[6:7], s27, v3 src0_sel:BYTE_0 src1_sel:DWORD
	s_and_b64 vcc, exec, s[6:7]
	s_cbranch_vccnz .LBB23_2323
; %bb.2320:
	v_mov_b32_e32 v3, 3
	v_cmp_lt_i16_sdwa s[6:7], s27, v3 src0_sel:BYTE_0 src1_sel:DWORD
	s_and_b64 vcc, exec, s[6:7]
	s_cbranch_vccnz .LBB23_2324
; %bb.2321:
	v_cmp_gt_i16_sdwa s[6:7], s27, v3 src0_sel:BYTE_0 src1_sel:DWORD
	s_and_b64 vcc, exec, s[6:7]
	s_cbranch_vccz .LBB23_2325
; %bb.2322:
	global_load_dwordx2 v[18:19], v[20:21], off
	s_mov_b64 s[6:7], 0
	s_waitcnt vmcnt(0)
	v_cvt_f64_i32_e32 v[22:23], v19
	v_cvt_f64_u32_e32 v[18:19], v18
	v_ldexp_f64 v[22:23], v[22:23], 32
	v_add_f64 v[18:19], v[22:23], v[18:19]
	s_branch .LBB23_2326
.LBB23_2323:
	s_mov_b64 s[6:7], -1
                                        ; implicit-def: $vgpr18_vgpr19
	s_branch .LBB23_2332
.LBB23_2324:
	s_mov_b64 s[6:7], -1
                                        ; implicit-def: $vgpr18_vgpr19
	s_branch .LBB23_2329
.LBB23_2325:
	s_mov_b64 s[6:7], -1
                                        ; implicit-def: $vgpr18_vgpr19
.LBB23_2326:
	s_andn2_b64 vcc, exec, s[6:7]
	s_cbranch_vccnz .LBB23_2328
; %bb.2327:
	global_load_dword v3, v[20:21], off
	s_waitcnt vmcnt(0)
	v_cvt_f64_i32_e32 v[18:19], v3
.LBB23_2328:
	s_mov_b64 s[6:7], 0
.LBB23_2329:
	s_andn2_b64 vcc, exec, s[6:7]
	s_cbranch_vccnz .LBB23_2331
; %bb.2330:
	global_load_sshort v3, v[20:21], off
	s_waitcnt vmcnt(0)
	v_cvt_f64_i32_e32 v[18:19], v3
.LBB23_2331:
	s_mov_b64 s[6:7], 0
.LBB23_2332:
	s_andn2_b64 vcc, exec, s[6:7]
	s_cbranch_vccnz .LBB23_2338
; %bb.2333:
	v_mov_b32_e32 v3, 0
	v_cmp_gt_i16_sdwa s[6:7], s27, v3 src0_sel:BYTE_0 src1_sel:DWORD
	s_and_b64 vcc, exec, s[6:7]
	s_cbranch_vccz .LBB23_2335
; %bb.2334:
	global_load_sbyte v3, v[20:21], off
	s_mov_b64 s[6:7], 0
	s_waitcnt vmcnt(0)
	v_cvt_f64_i32_e32 v[18:19], v3
	s_branch .LBB23_2336
.LBB23_2335:
	s_mov_b64 s[6:7], -1
                                        ; implicit-def: $vgpr18_vgpr19
.LBB23_2336:
	s_andn2_b64 vcc, exec, s[6:7]
	s_cbranch_vccnz .LBB23_2338
; %bb.2337:
	global_load_ubyte v3, v[20:21], off
	s_waitcnt vmcnt(0)
	v_cvt_f64_u32_e32 v[18:19], v3
.LBB23_2338:
	s_mov_b64 s[18:19], -1
.LBB23_2339:
	s_andn2_b64 vcc, exec, s[18:19]
	s_cbranch_vccnz .LBB23_2763
; %bb.2340:
	v_mov_b32_e32 v3, s1
	v_add_co_u32_e32 v8, vcc, s0, v8
	v_addc_co_u32_e32 v9, vcc, 0, v3, vcc
	s_and_b64 vcc, exec, s[2:3]
	s_cbranch_vccnz .LBB23_2347
; %bb.2341:
	v_cmp_gt_i16_e64 s[6:7], s28, 25
	s_mov_b64 s[16:17], 0
	s_and_b64 vcc, exec, s[6:7]
	s_cbranch_vccz .LBB23_2348
; %bb.2342:
	v_cmp_gt_i16_e64 s[6:7], s28, 28
	s_and_b64 vcc, exec, s[6:7]
	s_cbranch_vccz .LBB23_2349
; %bb.2343:
	v_cmp_gt_i16_e64 s[6:7], s28, 43
	s_and_b64 vcc, exec, s[6:7]
	s_cbranch_vccz .LBB23_2350
; %bb.2344:
	v_cmp_gt_i16_e64 s[6:7], s28, 45
	s_and_b64 vcc, exec, s[6:7]
	s_cbranch_vccz .LBB23_2352
; %bb.2345:
	v_cmp_eq_u16_e64 s[6:7], s28, 46
	s_mov_b64 s[20:21], 0
	s_and_b64 vcc, exec, s[6:7]
	s_cbranch_vccz .LBB23_2355
; %bb.2346:
	global_load_dword v3, v[8:9], off
	s_mov_b64 s[6:7], 0
	s_mov_b64 s[18:19], -1
	s_waitcnt vmcnt(0)
	v_lshlrev_b32_e32 v3, 16, v3
	v_cvt_f64_f32_e32 v[20:21], v3
	s_branch .LBB23_2356
.LBB23_2347:
	s_mov_b64 s[6:7], -1
	s_mov_b64 s[18:19], 0
                                        ; implicit-def: $vgpr20_vgpr21
	s_branch .LBB23_2422
.LBB23_2348:
	s_mov_b64 s[20:21], -1
	s_mov_b64 s[18:19], 0
	s_mov_b64 s[6:7], 0
                                        ; implicit-def: $vgpr20_vgpr21
	s_branch .LBB23_2385
.LBB23_2349:
	s_mov_b64 s[20:21], -1
	s_mov_b64 s[18:19], 0
	s_mov_b64 s[6:7], 0
                                        ; implicit-def: $vgpr20_vgpr21
	s_branch .LBB23_2366
.LBB23_2350:
	s_mov_b64 s[20:21], -1
	s_mov_b64 s[18:19], 0
	s_mov_b64 s[6:7], 0
                                        ; implicit-def: $vgpr20_vgpr21
	s_branch .LBB23_2361
.LBB23_2351:
	s_trap 2
	s_or_b64 s[4:5], s[4:5], exec
                                        ; implicit-def: $vgpr18_vgpr19
	s_cbranch_execz .LBB23_2288
	s_branch .LBB23_2289
.LBB23_2352:
	s_mov_b64 s[20:21], -1
	s_mov_b64 s[18:19], 0
	s_mov_b64 s[6:7], 0
                                        ; implicit-def: $vgpr20_vgpr21
	s_branch .LBB23_2356
.LBB23_2353:
	s_or_saveexec_b64 s[62:63], s[62:63]
                                        ; implicit-def: $sgpr64
	s_xor_b64 exec, exec, s[62:63]
	s_cbranch_execz .LBB23_1152
.LBB23_2354:
	s_mov_b32 s64, 0x42800000
	v_add_f32_e64 v3, |v2|, s64
	v_and_b32_e32 v3, 0xff, v3
	v_cmp_ne_u32_e32 vcc, 0, v3
	s_andn2_b64 s[60:61], s[60:61], exec
	s_and_b64 s[66:67], vcc, exec
	s_mov_b32 s64, 0
	s_or_b64 s[60:61], s[60:61], s[66:67]
	s_or_b64 exec, exec, s[62:63]
	v_mov_b32_e32 v6, s64
	s_and_saveexec_b64 s[62:63], s[60:61]
	s_cbranch_execnz .LBB23_1153
	s_branch .LBB23_1154
.LBB23_2355:
	s_mov_b64 s[6:7], -1
                                        ; implicit-def: $vgpr20_vgpr21
	s_mov_b64 s[18:19], 0
.LBB23_2356:
	s_and_b64 vcc, exec, s[20:21]
	s_cbranch_vccz .LBB23_2360
; %bb.2357:
	v_cmp_eq_u16_e64 s[6:7], s28, 44
	s_and_b64 vcc, exec, s[6:7]
	s_cbranch_vccz .LBB23_2359
; %bb.2358:
	global_load_ubyte v3, v[8:9], off
	s_movk_i32 s18, 0xff
	v_bfrev_b32_e32 v7, 4
	v_mov_b32_e32 v11, 0x7ff80000
	v_bfrev_b32_e32 v13, 28
	s_mov_b64 s[6:7], 0
	s_waitcnt vmcnt(0)
	v_lshlrev_b32_e32 v15, 23, v3
	v_cvt_f64_f32_e32 v[20:21], v15
	v_cmp_ne_u32_e32 vcc, s18, v3
	v_cndmask_b32_e32 v7, v7, v20, vcc
	v_cndmask_b32_e32 v11, v11, v21, vcc
	v_cmp_ne_u32_e32 vcc, 0, v3
	v_cndmask_b32_e32 v21, v13, v11, vcc
	v_cndmask_b32_e32 v20, 0, v7, vcc
	s_mov_b64 s[18:19], -1
	s_branch .LBB23_2360
.LBB23_2359:
	s_mov_b64 s[6:7], -1
                                        ; implicit-def: $vgpr20_vgpr21
.LBB23_2360:
	s_mov_b64 s[20:21], 0
.LBB23_2361:
	s_and_b64 vcc, exec, s[20:21]
	s_cbranch_vccz .LBB23_2365
; %bb.2362:
	v_cmp_eq_u16_e64 s[6:7], s28, 29
	s_and_b64 vcc, exec, s[6:7]
	s_cbranch_vccz .LBB23_2364
; %bb.2363:
	global_load_dwordx2 v[20:21], v[8:9], off
	s_mov_b64 s[6:7], 0
	s_mov_b64 s[18:19], -1
	s_mov_b64 s[20:21], 0
	s_waitcnt vmcnt(0)
	v_cvt_f64_u32_e32 v[22:23], v21
	v_cvt_f64_u32_e32 v[20:21], v20
	v_ldexp_f64 v[22:23], v[22:23], 32
	v_add_f64 v[20:21], v[22:23], v[20:21]
	s_branch .LBB23_2366
.LBB23_2364:
	s_mov_b64 s[6:7], -1
                                        ; implicit-def: $vgpr20_vgpr21
.LBB23_2365:
	s_mov_b64 s[20:21], 0
.LBB23_2366:
	s_and_b64 vcc, exec, s[20:21]
	s_cbranch_vccz .LBB23_2384
; %bb.2367:
	v_cmp_lt_i16_e64 s[18:19], s28, 27
	s_and_b64 vcc, exec, s[18:19]
	s_cbranch_vccnz .LBB23_2370
; %bb.2368:
	v_cmp_gt_i16_e64 s[18:19], s28, 27
	s_and_b64 vcc, exec, s[18:19]
	s_cbranch_vccz .LBB23_2371
; %bb.2369:
	global_load_dword v3, v[8:9], off
	s_mov_b64 s[18:19], 0
	s_waitcnt vmcnt(0)
	v_cvt_f64_u32_e32 v[20:21], v3
	s_branch .LBB23_2372
.LBB23_2370:
	s_mov_b64 s[18:19], -1
                                        ; implicit-def: $vgpr20_vgpr21
	s_branch .LBB23_2375
.LBB23_2371:
	s_mov_b64 s[18:19], -1
                                        ; implicit-def: $vgpr20_vgpr21
.LBB23_2372:
	s_andn2_b64 vcc, exec, s[18:19]
	s_cbranch_vccnz .LBB23_2374
; %bb.2373:
	global_load_ushort v3, v[8:9], off
	s_waitcnt vmcnt(0)
	v_cvt_f64_u32_e32 v[20:21], v3
.LBB23_2374:
	s_mov_b64 s[18:19], 0
.LBB23_2375:
	s_andn2_b64 vcc, exec, s[18:19]
	s_cbranch_vccnz .LBB23_2383
; %bb.2376:
	global_load_ubyte v3, v[8:9], off
	s_movk_i32 s18, 0x7f
                                        ; implicit-def: $sgpr20_sgpr21
	s_waitcnt vmcnt(0)
	v_cmp_lt_i16_e32 vcc, s18, v3
	s_mov_b64 s[18:19], 0
	s_and_saveexec_b64 s[22:23], vcc
	s_xor_b64 s[22:23], exec, s[22:23]
	s_cbranch_execz .LBB23_2397
; %bb.2377:
	s_movk_i32 s18, 0x80
	v_cmp_eq_u16_e32 vcc, s18, v3
	s_mov_b64 s[24:25], -1
                                        ; implicit-def: $sgpr20_sgpr21
	s_and_saveexec_b64 s[18:19], vcc
; %bb.2378:
	s_mov_b32 s21, 0x7ff80000
	s_brev_b32 s20, 4
	s_xor_b64 s[24:25], exec, -1
; %bb.2379:
	s_or_b64 exec, exec, s[18:19]
	s_and_b64 s[18:19], s[24:25], exec
	s_or_saveexec_b64 s[22:23], s[22:23]
	v_pk_mov_b32 v[20:21], s[20:21], s[20:21] op_sel:[0,1]
	s_xor_b64 exec, exec, s[22:23]
	s_cbranch_execnz .LBB23_2398
.LBB23_2380:
	s_or_b64 exec, exec, s[22:23]
	s_and_saveexec_b64 s[20:21], s[18:19]
	s_cbranch_execz .LBB23_2382
.LBB23_2381:
	v_lshlrev_b32_e32 v7, 24, v3
	v_and_b32_e32 v3, 0xffff, v3
	v_and_b32_e32 v11, 7, v3
	v_ffbh_u32_e32 v15, v11
	v_min_u32_e32 v15, 32, v15
	v_subrev_u32_e32 v17, 28, v15
	v_bfe_u32 v13, v3, 3, 4
	v_lshlrev_b32_e32 v3, v17, v3
	v_sub_u32_e32 v15, 29, v15
	v_and_b32_e32 v3, 7, v3
	v_cmp_eq_u32_e32 vcc, 0, v13
	v_cndmask_b32_e32 v13, v13, v15, vcc
	v_cndmask_b32_e32 v3, v11, v3, vcc
	v_mov_b32_e32 v11, 0x3b800000
	v_lshlrev_b32_e32 v3, 20, v3
	v_and_b32_e32 v7, 0x80000000, v7
	v_lshl_add_u32 v11, v13, 23, v11
	v_or3_b32 v3, v7, v11, v3
	v_cvt_f64_f32_e32 v[20:21], v3
.LBB23_2382:
	s_or_b64 exec, exec, s[20:21]
.LBB23_2383:
	s_mov_b64 s[18:19], -1
.LBB23_2384:
	s_mov_b64 s[20:21], 0
.LBB23_2385:
	s_and_b64 vcc, exec, s[20:21]
	s_cbranch_vccz .LBB23_2418
; %bb.2386:
	v_cmp_gt_i16_e64 s[16:17], s28, 22
	s_and_b64 vcc, exec, s[16:17]
	s_cbranch_vccz .LBB23_2396
; %bb.2387:
	v_cmp_lt_i16_e64 s[16:17], s28, 24
	s_and_b64 vcc, exec, s[16:17]
	s_cbranch_vccnz .LBB23_2399
; %bb.2388:
	v_cmp_gt_i16_e64 s[16:17], s28, 24
	s_and_b64 vcc, exec, s[16:17]
	s_cbranch_vccz .LBB23_2400
; %bb.2389:
	global_load_ubyte v3, v[8:9], off
	s_movk_i32 s16, 0x7f
                                        ; implicit-def: $sgpr18_sgpr19
	s_waitcnt vmcnt(0)
	v_cmp_lt_i16_e32 vcc, s16, v3
	s_mov_b64 s[16:17], 0
	s_and_saveexec_b64 s[20:21], vcc
	s_xor_b64 s[20:21], exec, s[20:21]
	s_cbranch_execz .LBB23_2412
; %bb.2390:
	s_movk_i32 s16, 0x80
	v_cmp_eq_u16_e32 vcc, s16, v3
	s_mov_b64 s[22:23], -1
                                        ; implicit-def: $sgpr18_sgpr19
	s_and_saveexec_b64 s[16:17], vcc
; %bb.2391:
	s_mov_b32 s19, 0x7ff80000
	s_brev_b32 s18, 4
	s_xor_b64 s[22:23], exec, -1
; %bb.2392:
	s_or_b64 exec, exec, s[16:17]
	s_and_b64 s[16:17], s[22:23], exec
	s_or_saveexec_b64 s[20:21], s[20:21]
	v_pk_mov_b32 v[20:21], s[18:19], s[18:19] op_sel:[0,1]
	s_xor_b64 exec, exec, s[20:21]
	s_cbranch_execnz .LBB23_2413
.LBB23_2393:
	s_or_b64 exec, exec, s[20:21]
	s_and_saveexec_b64 s[18:19], s[16:17]
	s_cbranch_execz .LBB23_2395
.LBB23_2394:
	v_lshlrev_b32_e32 v7, 24, v3
	v_and_b32_e32 v3, 0xffff, v3
	v_and_b32_e32 v11, 3, v3
	v_ffbh_u32_e32 v15, v11
	v_min_u32_e32 v15, 32, v15
	v_subrev_u32_e32 v17, 29, v15
	v_bfe_u32 v13, v3, 2, 5
	v_lshlrev_b32_e32 v3, v17, v3
	v_sub_u32_e32 v15, 30, v15
	v_and_b32_e32 v3, 3, v3
	v_cmp_eq_u32_e32 vcc, 0, v13
	v_cndmask_b32_e32 v13, v13, v15, vcc
	v_cndmask_b32_e32 v3, v11, v3, vcc
	v_mov_b32_e32 v11, 0x37800000
	v_lshlrev_b32_e32 v3, 21, v3
	v_and_b32_e32 v7, 0x80000000, v7
	v_lshl_add_u32 v11, v13, 23, v11
	v_or3_b32 v3, v7, v11, v3
	v_cvt_f64_f32_e32 v[20:21], v3
.LBB23_2395:
	s_or_b64 exec, exec, s[18:19]
	s_mov_b64 s[16:17], 0
	s_branch .LBB23_2401
.LBB23_2396:
	s_mov_b64 s[16:17], -1
                                        ; implicit-def: $vgpr20_vgpr21
	s_branch .LBB23_2407
.LBB23_2397:
	s_or_saveexec_b64 s[22:23], s[22:23]
	v_pk_mov_b32 v[20:21], s[20:21], s[20:21] op_sel:[0,1]
	s_xor_b64 exec, exec, s[22:23]
	s_cbranch_execz .LBB23_2380
.LBB23_2398:
	v_cmp_ne_u16_e32 vcc, 0, v3
	s_andn2_b64 s[18:19], s[18:19], exec
	s_and_b64 s[20:21], vcc, exec
	v_pk_mov_b32 v[20:21], 0, 0
	s_or_b64 s[18:19], s[18:19], s[20:21]
	s_or_b64 exec, exec, s[22:23]
	s_and_saveexec_b64 s[20:21], s[18:19]
	s_cbranch_execnz .LBB23_2381
	s_branch .LBB23_2382
.LBB23_2399:
	s_mov_b64 s[16:17], -1
                                        ; implicit-def: $vgpr20_vgpr21
	s_branch .LBB23_2404
.LBB23_2400:
	s_mov_b64 s[16:17], -1
                                        ; implicit-def: $vgpr20_vgpr21
.LBB23_2401:
	s_and_b64 vcc, exec, s[16:17]
	s_cbranch_vccz .LBB23_2403
; %bb.2402:
	global_load_ubyte v3, v[8:9], off
	s_mov_b32 s16, 0x7f800000
	s_waitcnt vmcnt(0)
	v_lshlrev_b32_e32 v3, 24, v3
	v_and_b32_e32 v7, 0x7f000000, v3
	v_ffbh_u32_e32 v11, v7
	v_min_u32_e32 v11, 32, v11
	v_sub_u32_e64 v11, v11, 4 clamp
	v_lshlrev_b32_e32 v15, v11, v7
	v_lshlrev_b32_e32 v11, 23, v11
	v_lshrrev_b32_e32 v15, 4, v15
	v_add_u32_e32 v13, 0x1000000, v7
	v_sub_u32_e32 v11, v15, v11
	v_ashrrev_i32_e32 v13, 8, v13
	v_add_u32_e32 v11, 0x3c000000, v11
	v_and_or_b32 v11, v13, s16, v11
	v_cmp_ne_u32_e32 vcc, 0, v7
	v_cndmask_b32_e32 v7, 0, v11, vcc
	s_brev_b32 s16, 1
	v_and_or_b32 v3, v3, s16, v7
	v_cvt_f64_f32_e32 v[20:21], v3
.LBB23_2403:
	s_mov_b64 s[16:17], 0
.LBB23_2404:
	s_andn2_b64 vcc, exec, s[16:17]
	s_cbranch_vccnz .LBB23_2406
; %bb.2405:
	global_load_ubyte v3, v[8:9], off
	s_movk_i32 s16, 0x7f00
	s_brev_b32 s17, 16
	s_waitcnt vmcnt(0)
	v_lshlrev_b16_e32 v7, 8, v3
	v_lshlrev_b32_e32 v3, 25, v3
	v_lshrrev_b32_e32 v11, 4, v3
	v_and_or_b32 v13, v7, s16, 0.5
	v_or_b32_e32 v11, 0x70000000, v11
	v_add_f32_e32 v13, -0.5, v13
	v_mul_f32_e32 v11, 0x7800000, v11
	v_cmp_gt_u32_e32 vcc, s17, v3
	v_bfe_i32 v7, v7, 0, 16
	v_cndmask_b32_e32 v3, v11, v13, vcc
	s_brev_b32 s16, 1
	v_and_or_b32 v3, v7, s16, v3
	v_cvt_f64_f32_e32 v[20:21], v3
.LBB23_2406:
	s_mov_b64 s[16:17], 0
	s_mov_b64 s[18:19], -1
.LBB23_2407:
	s_andn2_b64 vcc, exec, s[16:17]
	s_mov_b64 s[16:17], 0
	s_cbranch_vccnz .LBB23_2418
; %bb.2408:
	v_cmp_gt_i16_e64 s[16:17], s28, 14
	s_and_b64 vcc, exec, s[16:17]
	s_cbranch_vccz .LBB23_2411
; %bb.2409:
	v_cmp_eq_u16_e64 s[6:7], s28, 15
	s_and_b64 vcc, exec, s[6:7]
	s_cbranch_vccz .LBB23_2414
; %bb.2410:
	global_load_ushort v3, v[8:9], off
	s_mov_b64 s[6:7], 0
	s_mov_b64 s[18:19], -1
	s_waitcnt vmcnt(0)
	v_lshlrev_b32_e32 v3, 16, v3
	v_cvt_f64_f32_e32 v[20:21], v3
	s_branch .LBB23_2415
.LBB23_2411:
	s_mov_b64 s[20:21], -1
                                        ; implicit-def: $vgpr20_vgpr21
	s_branch .LBB23_2416
.LBB23_2412:
	s_or_saveexec_b64 s[20:21], s[20:21]
	v_pk_mov_b32 v[20:21], s[18:19], s[18:19] op_sel:[0,1]
	s_xor_b64 exec, exec, s[20:21]
	s_cbranch_execz .LBB23_2393
.LBB23_2413:
	v_cmp_ne_u16_e32 vcc, 0, v3
	s_andn2_b64 s[16:17], s[16:17], exec
	s_and_b64 s[18:19], vcc, exec
	v_pk_mov_b32 v[20:21], 0, 0
	s_or_b64 s[16:17], s[16:17], s[18:19]
	s_or_b64 exec, exec, s[20:21]
	s_and_saveexec_b64 s[18:19], s[16:17]
	s_cbranch_execnz .LBB23_2394
	s_branch .LBB23_2395
.LBB23_2414:
	s_mov_b64 s[6:7], -1
                                        ; implicit-def: $vgpr20_vgpr21
.LBB23_2415:
	s_mov_b64 s[20:21], 0
.LBB23_2416:
	s_mov_b64 s[16:17], 0
	s_and_b64 vcc, exec, s[20:21]
	s_cbranch_vccz .LBB23_2418
; %bb.2417:
	v_cmp_ne_u16_e64 s[6:7], s28, 11
	s_mov_b64 s[16:17], -1
                                        ; implicit-def: $vgpr20_vgpr21
.LBB23_2418:
	s_and_b64 vcc, exec, s[6:7]
	s_cbranch_vccnz .LBB23_2495
; %bb.2419:
	s_andn2_b64 vcc, exec, s[16:17]
	s_cbranch_vccnz .LBB23_2421
.LBB23_2420:
	global_load_ubyte v3, v[8:9], off
	v_mov_b32_e32 v7, 0x3ff00000
	v_mov_b32_e32 v20, 0
	s_mov_b64 s[18:19], -1
	s_waitcnt vmcnt(0)
	v_cmp_ne_u16_e32 vcc, 0, v3
	v_cndmask_b32_e32 v21, 0, v7, vcc
.LBB23_2421:
	s_mov_b64 s[6:7], 0
.LBB23_2422:
	s_and_b64 vcc, exec, s[6:7]
	s_cbranch_vccz .LBB23_2471
; %bb.2423:
	v_cmp_lt_i16_e64 s[6:7], s28, 5
	s_and_b64 vcc, exec, s[6:7]
	s_cbranch_vccnz .LBB23_2428
; %bb.2424:
	v_cmp_lt_i16_e64 s[6:7], s28, 8
	s_and_b64 vcc, exec, s[6:7]
	s_cbranch_vccnz .LBB23_2429
	;; [unrolled: 4-line block ×3, first 2 shown]
; %bb.2426:
	v_cmp_gt_i16_e64 s[6:7], s28, 9
	s_and_b64 vcc, exec, s[6:7]
	s_cbranch_vccz .LBB23_2431
; %bb.2427:
	global_load_dwordx2 v[20:21], v[8:9], off
	s_mov_b64 s[6:7], 0
	s_branch .LBB23_2432
.LBB23_2428:
	s_mov_b64 s[6:7], -1
                                        ; implicit-def: $vgpr20_vgpr21
	s_branch .LBB23_2450
.LBB23_2429:
	s_mov_b64 s[6:7], -1
                                        ; implicit-def: $vgpr20_vgpr21
	s_branch .LBB23_2438
.LBB23_2430:
	s_mov_b64 s[6:7], -1
                                        ; implicit-def: $vgpr20_vgpr21
	s_branch .LBB23_2435
.LBB23_2431:
	s_mov_b64 s[6:7], -1
                                        ; implicit-def: $vgpr20_vgpr21
.LBB23_2432:
	s_andn2_b64 vcc, exec, s[6:7]
	s_cbranch_vccnz .LBB23_2434
; %bb.2433:
	global_load_dword v3, v[8:9], off
	s_waitcnt vmcnt(0)
	v_cvt_f64_f32_e32 v[20:21], v3
.LBB23_2434:
	s_mov_b64 s[6:7], 0
.LBB23_2435:
	s_andn2_b64 vcc, exec, s[6:7]
	s_cbranch_vccnz .LBB23_2437
; %bb.2436:
	global_load_dword v3, v[8:9], off
	s_waitcnt vmcnt(0)
	v_cvt_f32_f16_e32 v3, v3
	v_cvt_f64_f32_e32 v[20:21], v3
.LBB23_2437:
	s_mov_b64 s[6:7], 0
.LBB23_2438:
	s_andn2_b64 vcc, exec, s[6:7]
	s_cbranch_vccnz .LBB23_2449
; %bb.2439:
	v_cmp_lt_i16_e64 s[6:7], s28, 6
	s_and_b64 vcc, exec, s[6:7]
	s_cbranch_vccnz .LBB23_2442
; %bb.2440:
	v_cmp_gt_i16_e64 s[6:7], s28, 6
	s_and_b64 vcc, exec, s[6:7]
	s_cbranch_vccz .LBB23_2443
; %bb.2441:
	global_load_dwordx2 v[20:21], v[8:9], off
	s_mov_b64 s[6:7], 0
	s_branch .LBB23_2444
.LBB23_2442:
	s_mov_b64 s[6:7], -1
                                        ; implicit-def: $vgpr20_vgpr21
	s_branch .LBB23_2447
.LBB23_2443:
	s_mov_b64 s[6:7], -1
                                        ; implicit-def: $vgpr20_vgpr21
.LBB23_2444:
	s_andn2_b64 vcc, exec, s[6:7]
	s_cbranch_vccnz .LBB23_2446
; %bb.2445:
	global_load_dword v3, v[8:9], off
	s_waitcnt vmcnt(0)
	v_cvt_f64_f32_e32 v[20:21], v3
.LBB23_2446:
	s_mov_b64 s[6:7], 0
.LBB23_2447:
	s_andn2_b64 vcc, exec, s[6:7]
	s_cbranch_vccnz .LBB23_2449
; %bb.2448:
	global_load_ushort v3, v[8:9], off
	s_waitcnt vmcnt(0)
	v_cvt_f32_f16_e32 v3, v3
	v_cvt_f64_f32_e32 v[20:21], v3
.LBB23_2449:
	s_mov_b64 s[6:7], 0
.LBB23_2450:
	s_andn2_b64 vcc, exec, s[6:7]
	s_cbranch_vccnz .LBB23_2470
; %bb.2451:
	v_cmp_lt_i16_e64 s[6:7], s28, 2
	s_and_b64 vcc, exec, s[6:7]
	s_cbranch_vccnz .LBB23_2455
; %bb.2452:
	v_cmp_lt_i16_e64 s[6:7], s28, 3
	s_and_b64 vcc, exec, s[6:7]
	s_cbranch_vccnz .LBB23_2456
; %bb.2453:
	v_cmp_gt_i16_e64 s[6:7], s28, 3
	s_and_b64 vcc, exec, s[6:7]
	s_cbranch_vccz .LBB23_2457
; %bb.2454:
	global_load_dwordx2 v[20:21], v[8:9], off
	s_mov_b64 s[6:7], 0
	s_waitcnt vmcnt(0)
	v_cvt_f64_i32_e32 v[22:23], v21
	v_cvt_f64_u32_e32 v[20:21], v20
	v_ldexp_f64 v[22:23], v[22:23], 32
	v_add_f64 v[20:21], v[22:23], v[20:21]
	s_branch .LBB23_2458
.LBB23_2455:
	s_mov_b64 s[6:7], -1
                                        ; implicit-def: $vgpr20_vgpr21
	s_branch .LBB23_2464
.LBB23_2456:
	s_mov_b64 s[6:7], -1
                                        ; implicit-def: $vgpr20_vgpr21
	s_branch .LBB23_2461
.LBB23_2457:
	s_mov_b64 s[6:7], -1
                                        ; implicit-def: $vgpr20_vgpr21
.LBB23_2458:
	s_andn2_b64 vcc, exec, s[6:7]
	s_cbranch_vccnz .LBB23_2460
; %bb.2459:
	global_load_dword v3, v[8:9], off
	s_waitcnt vmcnt(0)
	v_cvt_f64_i32_e32 v[20:21], v3
.LBB23_2460:
	s_mov_b64 s[6:7], 0
.LBB23_2461:
	s_andn2_b64 vcc, exec, s[6:7]
	s_cbranch_vccnz .LBB23_2463
; %bb.2462:
	global_load_sshort v3, v[8:9], off
	s_waitcnt vmcnt(0)
	v_cvt_f64_i32_e32 v[20:21], v3
.LBB23_2463:
	s_mov_b64 s[6:7], 0
.LBB23_2464:
	s_andn2_b64 vcc, exec, s[6:7]
	s_cbranch_vccnz .LBB23_2470
; %bb.2465:
	v_cmp_gt_i16_e64 s[6:7], s28, 0
	s_and_b64 vcc, exec, s[6:7]
	s_cbranch_vccz .LBB23_2467
; %bb.2466:
	global_load_sbyte v3, v[8:9], off
	s_mov_b64 s[6:7], 0
	s_waitcnt vmcnt(0)
	v_cvt_f64_i32_e32 v[20:21], v3
	s_branch .LBB23_2468
.LBB23_2467:
	s_mov_b64 s[6:7], -1
                                        ; implicit-def: $vgpr20_vgpr21
.LBB23_2468:
	s_andn2_b64 vcc, exec, s[6:7]
	s_cbranch_vccnz .LBB23_2470
; %bb.2469:
	global_load_ubyte v3, v[8:9], off
	s_waitcnt vmcnt(0)
	v_cvt_f64_u32_e32 v[20:21], v3
.LBB23_2470:
	s_mov_b64 s[18:19], -1
.LBB23_2471:
	s_andn2_b64 vcc, exec, s[18:19]
	s_cbranch_vccnz .LBB23_2763
; %bb.2472:
	s_waitcnt vmcnt(0)
	v_trunc_f64_e32 v[8:9], v[20:21]
	s_movk_i32 s6, 0xffe0
	v_ldexp_f64 v[20:21], v[8:9], s6
	v_floor_f64_e32 v[22:23], v[20:21]
	v_fmac_f64_e32 v[8:9], 0xc1f00000, v[22:23]
	v_cvt_i32_f64_e32 v21, v[22:23]
	v_cvt_u32_f64_e32 v20, v[8:9]
	v_cmp_lt_i64_e32 vcc, -1, v[20:21]
	v_pk_mov_b32 v[8:9], 0, 0
	s_and_saveexec_b64 s[6:7], vcc
	s_cbranch_execz .LBB23_2484
; %bb.2473:
	v_mov_b32_e32 v8, 0
	v_cmp_lt_i64_e32 vcc, 0, v[20:21]
	v_mov_b32_e32 v9, 0x3ff00000
	s_and_saveexec_b64 s[16:17], vcc
	s_cbranch_execz .LBB23_2483
; %bb.2474:
	v_cmp_ne_u64_e32 vcc, 1, v[20:21]
                                        ; implicit-def: $vgpr8_vgpr9
	s_and_saveexec_b64 s[18:19], vcc
	s_xor_b64 s[18:19], exec, s[18:19]
	s_cbranch_execz .LBB23_2480
; %bb.2475:
	s_mov_b64 s[20:21], 0x201
	v_mov_b32_e32 v8, 0
	v_cmp_gt_u64_e32 vcc, s[20:21], v[20:21]
	v_mov_b32_e32 v9, 0x7ff80000
	s_and_saveexec_b64 s[20:21], vcc
	s_cbranch_execz .LBB23_2479
; %bb.2476:
	v_mov_b32_e32 v22, 0
	s_mov_b64 s[24:25], 1
	s_mov_b64 s[22:23], 0
	v_mov_b32_e32 v23, 0x3ff00000
	v_pk_mov_b32 v[8:9], v[18:19], v[18:19] op_sel:[0,1]
.LBB23_2477:                            ; =>This Inner Loop Header: Depth=1
	v_cvt_f64_u32_e32 v[24:25], s25
	v_cvt_f64_u32_e32 v[26:27], s24
	s_add_u32 s24, s24, 1
	v_ldexp_f64 v[24:25], v[24:25], 32
	s_addc_u32 s25, s25, 0
	v_add_f64 v[24:25], v[24:25], v[26:27]
	v_cmp_eq_u64_e32 vcc, s[24:25], v[20:21]
	v_mul_f64 v[24:25], v[22:23], v[24:25]
	s_or_b64 s[22:23], vcc, s[22:23]
	v_pk_mov_b32 v[22:23], v[8:9], v[8:9] op_sel:[0,1]
	v_fma_f64 v[8:9], v[18:19], v[8:9], -v[24:25]
	s_andn2_b64 exec, exec, s[22:23]
	s_cbranch_execnz .LBB23_2477
; %bb.2478:
	s_or_b64 exec, exec, s[22:23]
.LBB23_2479:
	s_or_b64 exec, exec, s[20:21]
                                        ; implicit-def: $vgpr18_vgpr19
.LBB23_2480:
	s_andn2_saveexec_b64 s[18:19], s[18:19]
; %bb.2481:
	v_pk_mov_b32 v[8:9], v[18:19], v[18:19] op_sel:[0,1]
; %bb.2482:
	s_or_b64 exec, exec, s[18:19]
.LBB23_2483:
	s_or_b64 exec, exec, s[16:17]
.LBB23_2484:
	s_or_b64 exec, exec, s[6:7]
	v_mov_b32_e32 v3, s11
	v_add_co_u32_e32 v18, vcc, s10, v16
	v_addc_co_u32_e32 v19, vcc, 0, v3, vcc
	v_mov_b32_e32 v3, 11
	v_cmp_lt_i16_sdwa s[6:7], s27, v3 src0_sel:BYTE_0 src1_sel:DWORD
	s_and_b64 vcc, exec, s[6:7]
	s_cbranch_vccnz .LBB23_2491
; %bb.2485:
	v_mov_b32_e32 v3, 25
	v_cmp_gt_i16_sdwa s[6:7], s27, v3 src0_sel:BYTE_0 src1_sel:DWORD
	s_mov_b64 s[10:11], 0
	s_and_b64 vcc, exec, s[6:7]
	s_cbranch_vccz .LBB23_2492
; %bb.2486:
	v_mov_b32_e32 v3, 28
	v_cmp_gt_i16_sdwa s[6:7], s27, v3 src0_sel:BYTE_0 src1_sel:DWORD
	s_and_b64 vcc, exec, s[6:7]
	s_cbranch_vccz .LBB23_2493
; %bb.2487:
	v_mov_b32_e32 v3, 43
	v_cmp_gt_i16_sdwa s[6:7], s27, v3 src0_sel:BYTE_0 src1_sel:DWORD
	;; [unrolled: 5-line block ×3, first 2 shown]
	s_and_b64 vcc, exec, s[6:7]
	s_cbranch_vccz .LBB23_2496
; %bb.2489:
	v_mov_b32_e32 v3, 46
	v_cmp_eq_u16_sdwa s[6:7], s27, v3 src0_sel:BYTE_0 src1_sel:DWORD
	s_mov_b64 s[18:19], 0
	s_and_b64 vcc, exec, s[6:7]
	s_cbranch_vccz .LBB23_2497
; %bb.2490:
	global_load_dword v3, v[18:19], off
	s_mov_b64 s[6:7], 0
	s_mov_b64 s[16:17], -1
	s_waitcnt vmcnt(0)
	v_lshlrev_b32_e32 v3, 16, v3
	v_cvt_f64_f32_e32 v[16:17], v3
	s_branch .LBB23_2498
.LBB23_2491:
	s_mov_b64 s[6:7], -1
	s_mov_b64 s[16:17], 0
                                        ; implicit-def: $vgpr16_vgpr17
	s_branch .LBB23_2564
.LBB23_2492:
	s_mov_b64 s[18:19], -1
	s_mov_b64 s[16:17], 0
	s_mov_b64 s[6:7], 0
                                        ; implicit-def: $vgpr16_vgpr17
	s_branch .LBB23_2527
.LBB23_2493:
	s_mov_b64 s[18:19], -1
	s_mov_b64 s[16:17], 0
	s_mov_b64 s[6:7], 0
                                        ; implicit-def: $vgpr16_vgpr17
	s_branch .LBB23_2508
.LBB23_2494:
	s_mov_b64 s[18:19], -1
	s_mov_b64 s[16:17], 0
	s_mov_b64 s[6:7], 0
                                        ; implicit-def: $vgpr16_vgpr17
	s_branch .LBB23_2503
.LBB23_2495:
	s_trap 2
	s_or_b64 s[4:5], s[4:5], exec
                                        ; implicit-def: $vgpr20_vgpr21
	s_cbranch_execz .LBB23_2420
	s_branch .LBB23_2421
.LBB23_2496:
	s_mov_b64 s[18:19], -1
	s_mov_b64 s[16:17], 0
	s_mov_b64 s[6:7], 0
                                        ; implicit-def: $vgpr16_vgpr17
	s_branch .LBB23_2498
.LBB23_2497:
	s_mov_b64 s[6:7], -1
                                        ; implicit-def: $vgpr16_vgpr17
	s_mov_b64 s[16:17], 0
.LBB23_2498:
	s_and_b64 vcc, exec, s[18:19]
	s_cbranch_vccz .LBB23_2502
; %bb.2499:
	v_mov_b32_e32 v3, 44
	v_cmp_eq_u16_sdwa s[6:7], s27, v3 src0_sel:BYTE_0 src1_sel:DWORD
	s_and_b64 vcc, exec, s[6:7]
	s_cbranch_vccz .LBB23_2501
; %bb.2500:
	global_load_ubyte v3, v[18:19], off
	s_movk_i32 s16, 0xff
	v_bfrev_b32_e32 v7, 4
	v_mov_b32_e32 v11, 0x7ff80000
	v_bfrev_b32_e32 v13, 28
	s_mov_b64 s[6:7], 0
	s_waitcnt vmcnt(0)
	v_lshlrev_b32_e32 v15, 23, v3
	v_cvt_f64_f32_e32 v[16:17], v15
	v_cmp_ne_u32_e32 vcc, s16, v3
	v_cndmask_b32_e32 v7, v7, v16, vcc
	v_cndmask_b32_e32 v11, v11, v17, vcc
	v_cmp_ne_u32_e32 vcc, 0, v3
	v_cndmask_b32_e32 v17, v13, v11, vcc
	v_cndmask_b32_e32 v16, 0, v7, vcc
	s_mov_b64 s[16:17], -1
	s_branch .LBB23_2502
.LBB23_2501:
	s_mov_b64 s[6:7], -1
                                        ; implicit-def: $vgpr16_vgpr17
.LBB23_2502:
	s_mov_b64 s[18:19], 0
.LBB23_2503:
	s_and_b64 vcc, exec, s[18:19]
	s_cbranch_vccz .LBB23_2507
; %bb.2504:
	v_mov_b32_e32 v3, 29
	v_cmp_eq_u16_sdwa s[6:7], s27, v3 src0_sel:BYTE_0 src1_sel:DWORD
	s_and_b64 vcc, exec, s[6:7]
	s_cbranch_vccz .LBB23_2506
; %bb.2505:
	global_load_dwordx2 v[16:17], v[18:19], off
	s_mov_b64 s[6:7], 0
	s_mov_b64 s[16:17], -1
	s_mov_b64 s[18:19], 0
	s_waitcnt vmcnt(0)
	v_cvt_f64_u32_e32 v[20:21], v17
	v_cvt_f64_u32_e32 v[16:17], v16
	v_ldexp_f64 v[20:21], v[20:21], 32
	v_add_f64 v[16:17], v[20:21], v[16:17]
	s_branch .LBB23_2508
.LBB23_2506:
	s_mov_b64 s[6:7], -1
                                        ; implicit-def: $vgpr16_vgpr17
.LBB23_2507:
	s_mov_b64 s[18:19], 0
.LBB23_2508:
	s_and_b64 vcc, exec, s[18:19]
	s_cbranch_vccz .LBB23_2526
; %bb.2509:
	v_mov_b32_e32 v3, 27
	v_cmp_lt_i16_sdwa s[16:17], s27, v3 src0_sel:BYTE_0 src1_sel:DWORD
	s_and_b64 vcc, exec, s[16:17]
	s_cbranch_vccnz .LBB23_2512
; %bb.2510:
	v_cmp_gt_i16_sdwa s[16:17], s27, v3 src0_sel:BYTE_0 src1_sel:DWORD
	s_and_b64 vcc, exec, s[16:17]
	s_cbranch_vccz .LBB23_2513
; %bb.2511:
	global_load_dword v3, v[18:19], off
	s_mov_b64 s[16:17], 0
	s_waitcnt vmcnt(0)
	v_cvt_f64_u32_e32 v[16:17], v3
	s_branch .LBB23_2514
.LBB23_2512:
	s_mov_b64 s[16:17], -1
                                        ; implicit-def: $vgpr16_vgpr17
	s_branch .LBB23_2517
.LBB23_2513:
	s_mov_b64 s[16:17], -1
                                        ; implicit-def: $vgpr16_vgpr17
.LBB23_2514:
	s_andn2_b64 vcc, exec, s[16:17]
	s_cbranch_vccnz .LBB23_2516
; %bb.2515:
	global_load_ushort v3, v[18:19], off
	s_waitcnt vmcnt(0)
	v_cvt_f64_u32_e32 v[16:17], v3
.LBB23_2516:
	s_mov_b64 s[16:17], 0
.LBB23_2517:
	s_andn2_b64 vcc, exec, s[16:17]
	s_cbranch_vccnz .LBB23_2525
; %bb.2518:
	global_load_ubyte v3, v[18:19], off
	s_movk_i32 s16, 0x7f
                                        ; implicit-def: $sgpr18_sgpr19
	s_waitcnt vmcnt(0)
	v_cmp_lt_i16_e32 vcc, s16, v3
	s_mov_b64 s[16:17], 0
	s_and_saveexec_b64 s[20:21], vcc
	s_xor_b64 s[20:21], exec, s[20:21]
	s_cbranch_execz .LBB23_2539
; %bb.2519:
	s_movk_i32 s16, 0x80
	v_cmp_eq_u16_e32 vcc, s16, v3
	s_mov_b64 s[22:23], -1
                                        ; implicit-def: $sgpr18_sgpr19
	s_and_saveexec_b64 s[16:17], vcc
; %bb.2520:
	s_mov_b32 s19, 0x7ff80000
	s_brev_b32 s18, 4
	s_xor_b64 s[22:23], exec, -1
; %bb.2521:
	s_or_b64 exec, exec, s[16:17]
	s_and_b64 s[16:17], s[22:23], exec
	s_or_saveexec_b64 s[20:21], s[20:21]
	v_pk_mov_b32 v[16:17], s[18:19], s[18:19] op_sel:[0,1]
	s_xor_b64 exec, exec, s[20:21]
	s_cbranch_execnz .LBB23_2540
.LBB23_2522:
	s_or_b64 exec, exec, s[20:21]
	s_and_saveexec_b64 s[18:19], s[16:17]
	s_cbranch_execz .LBB23_2524
.LBB23_2523:
	v_lshlrev_b32_e32 v7, 24, v3
	v_and_b32_e32 v3, 0xffff, v3
	v_and_b32_e32 v11, 7, v3
	v_ffbh_u32_e32 v15, v11
	v_min_u32_e32 v15, 32, v15
	v_subrev_u32_e32 v16, 28, v15
	v_bfe_u32 v13, v3, 3, 4
	v_lshlrev_b32_e32 v3, v16, v3
	v_sub_u32_e32 v15, 29, v15
	v_and_b32_e32 v3, 7, v3
	v_cmp_eq_u32_e32 vcc, 0, v13
	v_cndmask_b32_e32 v13, v13, v15, vcc
	v_cndmask_b32_e32 v3, v11, v3, vcc
	v_mov_b32_e32 v11, 0x3b800000
	v_lshlrev_b32_e32 v3, 20, v3
	v_and_b32_e32 v7, 0x80000000, v7
	v_lshl_add_u32 v11, v13, 23, v11
	v_or3_b32 v3, v7, v11, v3
	v_cvt_f64_f32_e32 v[16:17], v3
.LBB23_2524:
	s_or_b64 exec, exec, s[18:19]
.LBB23_2525:
	s_mov_b64 s[16:17], -1
.LBB23_2526:
	s_mov_b64 s[18:19], 0
.LBB23_2527:
	s_and_b64 vcc, exec, s[18:19]
	s_cbranch_vccz .LBB23_2560
; %bb.2528:
	v_mov_b32_e32 v3, 22
	v_cmp_gt_i16_sdwa s[10:11], s27, v3 src0_sel:BYTE_0 src1_sel:DWORD
	s_and_b64 vcc, exec, s[10:11]
	s_cbranch_vccz .LBB23_2538
; %bb.2529:
	v_mov_b32_e32 v3, 24
	v_cmp_lt_i16_sdwa s[10:11], s27, v3 src0_sel:BYTE_0 src1_sel:DWORD
	s_and_b64 vcc, exec, s[10:11]
	s_cbranch_vccnz .LBB23_2541
; %bb.2530:
	v_cmp_gt_i16_sdwa s[10:11], s27, v3 src0_sel:BYTE_0 src1_sel:DWORD
	s_and_b64 vcc, exec, s[10:11]
	s_cbranch_vccz .LBB23_2542
; %bb.2531:
	global_load_ubyte v3, v[18:19], off
	s_movk_i32 s10, 0x7f
                                        ; implicit-def: $sgpr16_sgpr17
	s_waitcnt vmcnt(0)
	v_cmp_lt_i16_e32 vcc, s10, v3
	s_mov_b64 s[10:11], 0
	s_and_saveexec_b64 s[18:19], vcc
	s_xor_b64 s[18:19], exec, s[18:19]
	s_cbranch_execz .LBB23_2554
; %bb.2532:
	s_movk_i32 s10, 0x80
	v_cmp_eq_u16_e32 vcc, s10, v3
	s_mov_b64 s[20:21], -1
                                        ; implicit-def: $sgpr16_sgpr17
	s_and_saveexec_b64 s[10:11], vcc
; %bb.2533:
	s_mov_b32 s17, 0x7ff80000
	s_brev_b32 s16, 4
	s_xor_b64 s[20:21], exec, -1
; %bb.2534:
	s_or_b64 exec, exec, s[10:11]
	s_and_b64 s[10:11], s[20:21], exec
	s_or_saveexec_b64 s[18:19], s[18:19]
	v_pk_mov_b32 v[16:17], s[16:17], s[16:17] op_sel:[0,1]
	s_xor_b64 exec, exec, s[18:19]
	s_cbranch_execnz .LBB23_2555
.LBB23_2535:
	s_or_b64 exec, exec, s[18:19]
	s_and_saveexec_b64 s[16:17], s[10:11]
	s_cbranch_execz .LBB23_2537
.LBB23_2536:
	v_lshlrev_b32_e32 v7, 24, v3
	v_and_b32_e32 v3, 0xffff, v3
	v_and_b32_e32 v11, 3, v3
	v_ffbh_u32_e32 v15, v11
	v_min_u32_e32 v15, 32, v15
	v_subrev_u32_e32 v16, 29, v15
	v_bfe_u32 v13, v3, 2, 5
	v_lshlrev_b32_e32 v3, v16, v3
	v_sub_u32_e32 v15, 30, v15
	v_and_b32_e32 v3, 3, v3
	v_cmp_eq_u32_e32 vcc, 0, v13
	v_cndmask_b32_e32 v13, v13, v15, vcc
	v_cndmask_b32_e32 v3, v11, v3, vcc
	v_mov_b32_e32 v11, 0x37800000
	v_lshlrev_b32_e32 v3, 21, v3
	v_and_b32_e32 v7, 0x80000000, v7
	v_lshl_add_u32 v11, v13, 23, v11
	v_or3_b32 v3, v7, v11, v3
	v_cvt_f64_f32_e32 v[16:17], v3
.LBB23_2537:
	s_or_b64 exec, exec, s[16:17]
	s_mov_b64 s[10:11], 0
	s_branch .LBB23_2543
.LBB23_2538:
	s_mov_b64 s[10:11], -1
                                        ; implicit-def: $vgpr16_vgpr17
	s_branch .LBB23_2549
.LBB23_2539:
	s_or_saveexec_b64 s[20:21], s[20:21]
	v_pk_mov_b32 v[16:17], s[18:19], s[18:19] op_sel:[0,1]
	s_xor_b64 exec, exec, s[20:21]
	s_cbranch_execz .LBB23_2522
.LBB23_2540:
	v_cmp_ne_u16_e32 vcc, 0, v3
	s_andn2_b64 s[16:17], s[16:17], exec
	s_and_b64 s[18:19], vcc, exec
	v_pk_mov_b32 v[16:17], 0, 0
	s_or_b64 s[16:17], s[16:17], s[18:19]
	s_or_b64 exec, exec, s[20:21]
	s_and_saveexec_b64 s[18:19], s[16:17]
	s_cbranch_execnz .LBB23_2523
	s_branch .LBB23_2524
.LBB23_2541:
	s_mov_b64 s[10:11], -1
                                        ; implicit-def: $vgpr16_vgpr17
	s_branch .LBB23_2546
.LBB23_2542:
	s_mov_b64 s[10:11], -1
                                        ; implicit-def: $vgpr16_vgpr17
.LBB23_2543:
	s_and_b64 vcc, exec, s[10:11]
	s_cbranch_vccz .LBB23_2545
; %bb.2544:
	global_load_ubyte v3, v[18:19], off
	s_mov_b32 s10, 0x7f800000
	s_waitcnt vmcnt(0)
	v_lshlrev_b32_e32 v3, 24, v3
	v_and_b32_e32 v7, 0x7f000000, v3
	v_ffbh_u32_e32 v11, v7
	v_min_u32_e32 v11, 32, v11
	v_sub_u32_e64 v11, v11, 4 clamp
	v_lshlrev_b32_e32 v15, v11, v7
	v_lshlrev_b32_e32 v11, 23, v11
	v_lshrrev_b32_e32 v15, 4, v15
	v_add_u32_e32 v13, 0x1000000, v7
	v_sub_u32_e32 v11, v15, v11
	v_ashrrev_i32_e32 v13, 8, v13
	v_add_u32_e32 v11, 0x3c000000, v11
	v_and_or_b32 v11, v13, s10, v11
	v_cmp_ne_u32_e32 vcc, 0, v7
	v_cndmask_b32_e32 v7, 0, v11, vcc
	s_brev_b32 s10, 1
	v_and_or_b32 v3, v3, s10, v7
	v_cvt_f64_f32_e32 v[16:17], v3
.LBB23_2545:
	s_mov_b64 s[10:11], 0
.LBB23_2546:
	s_andn2_b64 vcc, exec, s[10:11]
	s_cbranch_vccnz .LBB23_2548
; %bb.2547:
	global_load_ubyte v3, v[18:19], off
	s_movk_i32 s10, 0x7f00
	s_brev_b32 s11, 16
	s_waitcnt vmcnt(0)
	v_lshlrev_b16_e32 v7, 8, v3
	v_lshlrev_b32_e32 v3, 25, v3
	v_lshrrev_b32_e32 v11, 4, v3
	v_and_or_b32 v13, v7, s10, 0.5
	v_or_b32_e32 v11, 0x70000000, v11
	v_add_f32_e32 v13, -0.5, v13
	v_mul_f32_e32 v11, 0x7800000, v11
	v_cmp_gt_u32_e32 vcc, s11, v3
	v_bfe_i32 v7, v7, 0, 16
	v_cndmask_b32_e32 v3, v11, v13, vcc
	s_brev_b32 s10, 1
	v_and_or_b32 v3, v7, s10, v3
	v_cvt_f64_f32_e32 v[16:17], v3
.LBB23_2548:
	s_mov_b64 s[10:11], 0
	s_mov_b64 s[16:17], -1
.LBB23_2549:
	s_andn2_b64 vcc, exec, s[10:11]
	s_mov_b64 s[10:11], 0
	s_cbranch_vccnz .LBB23_2560
; %bb.2550:
	v_mov_b32_e32 v3, 14
	v_cmp_gt_i16_sdwa s[10:11], s27, v3 src0_sel:BYTE_0 src1_sel:DWORD
	s_and_b64 vcc, exec, s[10:11]
	s_cbranch_vccz .LBB23_2553
; %bb.2551:
	v_mov_b32_e32 v3, 15
	v_cmp_eq_u16_sdwa s[6:7], s27, v3 src0_sel:BYTE_0 src1_sel:DWORD
	s_and_b64 vcc, exec, s[6:7]
	s_cbranch_vccz .LBB23_2556
; %bb.2552:
	global_load_ushort v3, v[18:19], off
	s_mov_b64 s[6:7], 0
	s_mov_b64 s[16:17], -1
	s_waitcnt vmcnt(0)
	v_lshlrev_b32_e32 v3, 16, v3
	v_cvt_f64_f32_e32 v[16:17], v3
	s_branch .LBB23_2557
.LBB23_2553:
	s_mov_b64 s[18:19], -1
                                        ; implicit-def: $vgpr16_vgpr17
	s_branch .LBB23_2558
.LBB23_2554:
	s_or_saveexec_b64 s[18:19], s[18:19]
	v_pk_mov_b32 v[16:17], s[16:17], s[16:17] op_sel:[0,1]
	s_xor_b64 exec, exec, s[18:19]
	s_cbranch_execz .LBB23_2535
.LBB23_2555:
	v_cmp_ne_u16_e32 vcc, 0, v3
	s_andn2_b64 s[10:11], s[10:11], exec
	s_and_b64 s[16:17], vcc, exec
	v_pk_mov_b32 v[16:17], 0, 0
	s_or_b64 s[10:11], s[10:11], s[16:17]
	s_or_b64 exec, exec, s[18:19]
	s_and_saveexec_b64 s[16:17], s[10:11]
	s_cbranch_execnz .LBB23_2536
	s_branch .LBB23_2537
.LBB23_2556:
	s_mov_b64 s[6:7], -1
                                        ; implicit-def: $vgpr16_vgpr17
.LBB23_2557:
	s_mov_b64 s[18:19], 0
.LBB23_2558:
	s_mov_b64 s[10:11], 0
	s_and_b64 vcc, exec, s[18:19]
	s_cbranch_vccz .LBB23_2560
; %bb.2559:
	v_mov_b32_e32 v3, 11
	v_cmp_ne_u16_sdwa s[6:7], s27, v3 src0_sel:BYTE_0 src1_sel:DWORD
	s_mov_b64 s[10:11], -1
                                        ; implicit-def: $vgpr16_vgpr17
.LBB23_2560:
	s_and_b64 vcc, exec, s[6:7]
	s_cbranch_vccnz .LBB23_2625
; %bb.2561:
	s_andn2_b64 vcc, exec, s[10:11]
	s_cbranch_vccnz .LBB23_2563
.LBB23_2562:
	global_load_ubyte v3, v[18:19], off
	v_mov_b32_e32 v7, 0x3ff00000
	v_mov_b32_e32 v16, 0
	s_mov_b64 s[16:17], -1
	s_waitcnt vmcnt(0)
	v_cmp_ne_u16_e32 vcc, 0, v3
	v_cndmask_b32_e32 v17, 0, v7, vcc
.LBB23_2563:
	s_mov_b64 s[6:7], 0
.LBB23_2564:
	s_and_b64 vcc, exec, s[6:7]
	s_cbranch_vccz .LBB23_2613
; %bb.2565:
	v_mov_b32_e32 v3, 5
	v_cmp_lt_i16_sdwa s[6:7], s27, v3 src0_sel:BYTE_0 src1_sel:DWORD
	s_and_b64 vcc, exec, s[6:7]
	s_cbranch_vccnz .LBB23_2570
; %bb.2566:
	v_mov_b32_e32 v3, 8
	v_cmp_lt_i16_sdwa s[6:7], s27, v3 src0_sel:BYTE_0 src1_sel:DWORD
	s_and_b64 vcc, exec, s[6:7]
	s_cbranch_vccnz .LBB23_2571
	;; [unrolled: 5-line block ×3, first 2 shown]
; %bb.2568:
	v_cmp_gt_i16_sdwa s[6:7], s27, v3 src0_sel:BYTE_0 src1_sel:DWORD
	s_and_b64 vcc, exec, s[6:7]
	s_cbranch_vccz .LBB23_2573
; %bb.2569:
	global_load_dwordx2 v[16:17], v[18:19], off
	s_mov_b64 s[6:7], 0
	s_branch .LBB23_2574
.LBB23_2570:
	s_mov_b64 s[6:7], -1
                                        ; implicit-def: $vgpr16_vgpr17
	s_branch .LBB23_2592
.LBB23_2571:
	s_mov_b64 s[6:7], -1
                                        ; implicit-def: $vgpr16_vgpr17
	s_branch .LBB23_2580
.LBB23_2572:
	s_mov_b64 s[6:7], -1
                                        ; implicit-def: $vgpr16_vgpr17
	s_branch .LBB23_2577
.LBB23_2573:
	s_mov_b64 s[6:7], -1
                                        ; implicit-def: $vgpr16_vgpr17
.LBB23_2574:
	s_andn2_b64 vcc, exec, s[6:7]
	s_cbranch_vccnz .LBB23_2576
; %bb.2575:
	global_load_dword v3, v[18:19], off
	s_waitcnt vmcnt(0)
	v_cvt_f64_f32_e32 v[16:17], v3
.LBB23_2576:
	s_mov_b64 s[6:7], 0
.LBB23_2577:
	s_andn2_b64 vcc, exec, s[6:7]
	s_cbranch_vccnz .LBB23_2579
; %bb.2578:
	global_load_dword v3, v[18:19], off
	s_waitcnt vmcnt(0)
	v_cvt_f32_f16_e32 v3, v3
	v_cvt_f64_f32_e32 v[16:17], v3
.LBB23_2579:
	s_mov_b64 s[6:7], 0
.LBB23_2580:
	s_andn2_b64 vcc, exec, s[6:7]
	s_cbranch_vccnz .LBB23_2591
; %bb.2581:
	v_mov_b32_e32 v3, 6
	v_cmp_lt_i16_sdwa s[6:7], s27, v3 src0_sel:BYTE_0 src1_sel:DWORD
	s_and_b64 vcc, exec, s[6:7]
	s_cbranch_vccnz .LBB23_2584
; %bb.2582:
	v_cmp_gt_i16_sdwa s[6:7], s27, v3 src0_sel:BYTE_0 src1_sel:DWORD
	s_and_b64 vcc, exec, s[6:7]
	s_cbranch_vccz .LBB23_2585
; %bb.2583:
	global_load_dwordx2 v[16:17], v[18:19], off
	s_mov_b64 s[6:7], 0
	s_branch .LBB23_2586
.LBB23_2584:
	s_mov_b64 s[6:7], -1
                                        ; implicit-def: $vgpr16_vgpr17
	s_branch .LBB23_2589
.LBB23_2585:
	s_mov_b64 s[6:7], -1
                                        ; implicit-def: $vgpr16_vgpr17
.LBB23_2586:
	s_andn2_b64 vcc, exec, s[6:7]
	s_cbranch_vccnz .LBB23_2588
; %bb.2587:
	global_load_dword v3, v[18:19], off
	s_waitcnt vmcnt(0)
	v_cvt_f64_f32_e32 v[16:17], v3
.LBB23_2588:
	s_mov_b64 s[6:7], 0
.LBB23_2589:
	s_andn2_b64 vcc, exec, s[6:7]
	s_cbranch_vccnz .LBB23_2591
; %bb.2590:
	global_load_ushort v3, v[18:19], off
	s_waitcnt vmcnt(0)
	v_cvt_f32_f16_e32 v3, v3
	v_cvt_f64_f32_e32 v[16:17], v3
.LBB23_2591:
	s_mov_b64 s[6:7], 0
.LBB23_2592:
	s_andn2_b64 vcc, exec, s[6:7]
	s_cbranch_vccnz .LBB23_2612
; %bb.2593:
	v_mov_b32_e32 v3, 2
	v_cmp_lt_i16_sdwa s[6:7], s27, v3 src0_sel:BYTE_0 src1_sel:DWORD
	s_and_b64 vcc, exec, s[6:7]
	s_cbranch_vccnz .LBB23_2597
; %bb.2594:
	v_mov_b32_e32 v3, 3
	v_cmp_lt_i16_sdwa s[6:7], s27, v3 src0_sel:BYTE_0 src1_sel:DWORD
	s_and_b64 vcc, exec, s[6:7]
	s_cbranch_vccnz .LBB23_2598
; %bb.2595:
	v_cmp_gt_i16_sdwa s[6:7], s27, v3 src0_sel:BYTE_0 src1_sel:DWORD
	s_and_b64 vcc, exec, s[6:7]
	s_cbranch_vccz .LBB23_2599
; %bb.2596:
	global_load_dwordx2 v[16:17], v[18:19], off
	s_mov_b64 s[6:7], 0
	s_waitcnt vmcnt(0)
	v_cvt_f64_i32_e32 v[20:21], v17
	v_cvt_f64_u32_e32 v[16:17], v16
	v_ldexp_f64 v[20:21], v[20:21], 32
	v_add_f64 v[16:17], v[20:21], v[16:17]
	s_branch .LBB23_2600
.LBB23_2597:
	s_mov_b64 s[6:7], -1
                                        ; implicit-def: $vgpr16_vgpr17
	s_branch .LBB23_2606
.LBB23_2598:
	s_mov_b64 s[6:7], -1
                                        ; implicit-def: $vgpr16_vgpr17
	s_branch .LBB23_2603
.LBB23_2599:
	s_mov_b64 s[6:7], -1
                                        ; implicit-def: $vgpr16_vgpr17
.LBB23_2600:
	s_andn2_b64 vcc, exec, s[6:7]
	s_cbranch_vccnz .LBB23_2602
; %bb.2601:
	global_load_dword v3, v[18:19], off
	s_waitcnt vmcnt(0)
	v_cvt_f64_i32_e32 v[16:17], v3
.LBB23_2602:
	s_mov_b64 s[6:7], 0
.LBB23_2603:
	s_andn2_b64 vcc, exec, s[6:7]
	s_cbranch_vccnz .LBB23_2605
; %bb.2604:
	global_load_sshort v3, v[18:19], off
	s_waitcnt vmcnt(0)
	v_cvt_f64_i32_e32 v[16:17], v3
.LBB23_2605:
	s_mov_b64 s[6:7], 0
.LBB23_2606:
	s_andn2_b64 vcc, exec, s[6:7]
	s_cbranch_vccnz .LBB23_2612
; %bb.2607:
	v_mov_b32_e32 v3, 0
	v_cmp_gt_i16_sdwa s[6:7], s27, v3 src0_sel:BYTE_0 src1_sel:DWORD
	s_and_b64 vcc, exec, s[6:7]
	s_cbranch_vccz .LBB23_2609
; %bb.2608:
	global_load_sbyte v3, v[18:19], off
	s_mov_b64 s[6:7], 0
	s_waitcnt vmcnt(0)
	v_cvt_f64_i32_e32 v[16:17], v3
	s_branch .LBB23_2610
.LBB23_2609:
	s_mov_b64 s[6:7], -1
                                        ; implicit-def: $vgpr16_vgpr17
.LBB23_2610:
	s_andn2_b64 vcc, exec, s[6:7]
	s_cbranch_vccnz .LBB23_2612
; %bb.2611:
	global_load_ubyte v3, v[18:19], off
	s_waitcnt vmcnt(0)
	v_cvt_f64_u32_e32 v[16:17], v3
.LBB23_2612:
	s_mov_b64 s[16:17], -1
.LBB23_2613:
	s_andn2_b64 vcc, exec, s[16:17]
	s_cbranch_vccnz .LBB23_2763
; %bb.2614:
	v_mov_b32_e32 v3, s1
	v_add_co_u32_e32 v12, vcc, s0, v12
	v_addc_co_u32_e32 v13, vcc, 0, v3, vcc
	s_and_b64 vcc, exec, s[2:3]
	s_cbranch_vccnz .LBB23_2621
; %bb.2615:
	v_cmp_gt_i16_e64 s[0:1], s28, 25
	s_mov_b64 s[2:3], 0
	s_and_b64 vcc, exec, s[0:1]
	s_cbranch_vccz .LBB23_2622
; %bb.2616:
	v_cmp_gt_i16_e64 s[0:1], s28, 28
	s_and_b64 vcc, exec, s[0:1]
	s_cbranch_vccz .LBB23_2623
; %bb.2617:
	v_cmp_gt_i16_e64 s[0:1], s28, 43
	;; [unrolled: 4-line block ×3, first 2 shown]
	s_and_b64 vcc, exec, s[0:1]
	s_cbranch_vccz .LBB23_2626
; %bb.2619:
	v_cmp_eq_u16_e64 s[0:1], s28, 46
	s_mov_b64 s[10:11], 0
	s_and_b64 vcc, exec, s[0:1]
	s_cbranch_vccz .LBB23_2627
; %bb.2620:
	global_load_dword v3, v[12:13], off
	s_mov_b64 s[0:1], 0
	s_mov_b64 s[6:7], -1
	s_waitcnt vmcnt(0)
	v_lshlrev_b32_e32 v3, 16, v3
	v_cvt_f64_f32_e32 v[18:19], v3
	s_branch .LBB23_2628
.LBB23_2621:
	s_mov_b64 s[0:1], -1
	s_mov_b64 s[6:7], 0
                                        ; implicit-def: $vgpr18_vgpr19
	s_branch .LBB23_2694
.LBB23_2622:
	s_mov_b64 s[10:11], -1
	s_mov_b64 s[6:7], 0
	s_mov_b64 s[0:1], 0
                                        ; implicit-def: $vgpr18_vgpr19
	s_branch .LBB23_2657
.LBB23_2623:
	s_mov_b64 s[10:11], -1
	s_mov_b64 s[6:7], 0
	s_mov_b64 s[0:1], 0
                                        ; implicit-def: $vgpr18_vgpr19
	s_branch .LBB23_2638
.LBB23_2624:
	s_mov_b64 s[10:11], -1
	s_mov_b64 s[6:7], 0
	s_mov_b64 s[0:1], 0
                                        ; implicit-def: $vgpr18_vgpr19
	s_branch .LBB23_2633
.LBB23_2625:
	s_trap 2
	s_or_b64 s[4:5], s[4:5], exec
                                        ; implicit-def: $vgpr16_vgpr17
	s_cbranch_execz .LBB23_2562
	s_branch .LBB23_2563
.LBB23_2626:
	s_mov_b64 s[10:11], -1
	s_mov_b64 s[6:7], 0
	s_mov_b64 s[0:1], 0
                                        ; implicit-def: $vgpr18_vgpr19
	s_branch .LBB23_2628
.LBB23_2627:
	s_mov_b64 s[0:1], -1
                                        ; implicit-def: $vgpr18_vgpr19
	s_mov_b64 s[6:7], 0
.LBB23_2628:
	s_and_b64 vcc, exec, s[10:11]
	s_cbranch_vccz .LBB23_2632
; %bb.2629:
	v_cmp_eq_u16_e64 s[0:1], s28, 44
	s_and_b64 vcc, exec, s[0:1]
	s_cbranch_vccz .LBB23_2631
; %bb.2630:
	global_load_ubyte v3, v[12:13], off
	s_movk_i32 s6, 0xff
	v_bfrev_b32_e32 v7, 4
	v_mov_b32_e32 v11, 0x7ff80000
	v_bfrev_b32_e32 v15, 28
	s_mov_b64 s[0:1], 0
	s_waitcnt vmcnt(0)
	v_lshlrev_b32_e32 v18, 23, v3
	v_cvt_f64_f32_e32 v[18:19], v18
	v_cmp_ne_u32_e32 vcc, s6, v3
	v_cndmask_b32_e32 v7, v7, v18, vcc
	v_cndmask_b32_e32 v11, v11, v19, vcc
	v_cmp_ne_u32_e32 vcc, 0, v3
	v_cndmask_b32_e32 v19, v15, v11, vcc
	v_cndmask_b32_e32 v18, 0, v7, vcc
	s_mov_b64 s[6:7], -1
	s_branch .LBB23_2632
.LBB23_2631:
	s_mov_b64 s[0:1], -1
                                        ; implicit-def: $vgpr18_vgpr19
.LBB23_2632:
	s_mov_b64 s[10:11], 0
.LBB23_2633:
	s_and_b64 vcc, exec, s[10:11]
	s_cbranch_vccz .LBB23_2637
; %bb.2634:
	v_cmp_eq_u16_e64 s[0:1], s28, 29
	s_and_b64 vcc, exec, s[0:1]
	s_cbranch_vccz .LBB23_2636
; %bb.2635:
	global_load_dwordx2 v[18:19], v[12:13], off
	s_mov_b64 s[0:1], 0
	s_mov_b64 s[6:7], -1
	s_mov_b64 s[10:11], 0
	s_waitcnt vmcnt(0)
	v_cvt_f64_u32_e32 v[20:21], v19
	v_cvt_f64_u32_e32 v[18:19], v18
	v_ldexp_f64 v[20:21], v[20:21], 32
	v_add_f64 v[18:19], v[20:21], v[18:19]
	s_branch .LBB23_2638
.LBB23_2636:
	s_mov_b64 s[0:1], -1
                                        ; implicit-def: $vgpr18_vgpr19
.LBB23_2637:
	s_mov_b64 s[10:11], 0
.LBB23_2638:
	s_and_b64 vcc, exec, s[10:11]
	s_cbranch_vccz .LBB23_2656
; %bb.2639:
	v_cmp_lt_i16_e64 s[6:7], s28, 27
	s_and_b64 vcc, exec, s[6:7]
	s_cbranch_vccnz .LBB23_2642
; %bb.2640:
	v_cmp_gt_i16_e64 s[6:7], s28, 27
	s_and_b64 vcc, exec, s[6:7]
	s_cbranch_vccz .LBB23_2643
; %bb.2641:
	global_load_dword v3, v[12:13], off
	s_mov_b64 s[6:7], 0
	s_waitcnt vmcnt(0)
	v_cvt_f64_u32_e32 v[18:19], v3
	s_branch .LBB23_2644
.LBB23_2642:
	s_mov_b64 s[6:7], -1
                                        ; implicit-def: $vgpr18_vgpr19
	s_branch .LBB23_2647
.LBB23_2643:
	s_mov_b64 s[6:7], -1
                                        ; implicit-def: $vgpr18_vgpr19
.LBB23_2644:
	s_andn2_b64 vcc, exec, s[6:7]
	s_cbranch_vccnz .LBB23_2646
; %bb.2645:
	global_load_ushort v3, v[12:13], off
	s_waitcnt vmcnt(0)
	v_cvt_f64_u32_e32 v[18:19], v3
.LBB23_2646:
	s_mov_b64 s[6:7], 0
.LBB23_2647:
	s_andn2_b64 vcc, exec, s[6:7]
	s_cbranch_vccnz .LBB23_2655
; %bb.2648:
	global_load_ubyte v3, v[12:13], off
	s_movk_i32 s6, 0x7f
                                        ; implicit-def: $sgpr10_sgpr11
	s_waitcnt vmcnt(0)
	v_cmp_lt_i16_e32 vcc, s6, v3
	s_mov_b64 s[6:7], 0
	s_and_saveexec_b64 s[16:17], vcc
	s_xor_b64 s[16:17], exec, s[16:17]
	s_cbranch_execz .LBB23_2669
; %bb.2649:
	s_movk_i32 s6, 0x80
	v_cmp_eq_u16_e32 vcc, s6, v3
	s_mov_b64 s[18:19], -1
                                        ; implicit-def: $sgpr10_sgpr11
	s_and_saveexec_b64 s[6:7], vcc
; %bb.2650:
	s_mov_b32 s11, 0x7ff80000
	s_brev_b32 s10, 4
	s_xor_b64 s[18:19], exec, -1
; %bb.2651:
	s_or_b64 exec, exec, s[6:7]
	s_and_b64 s[6:7], s[18:19], exec
	s_or_saveexec_b64 s[16:17], s[16:17]
	v_pk_mov_b32 v[18:19], s[10:11], s[10:11] op_sel:[0,1]
	s_xor_b64 exec, exec, s[16:17]
	s_cbranch_execnz .LBB23_2670
.LBB23_2652:
	s_or_b64 exec, exec, s[16:17]
	s_and_saveexec_b64 s[10:11], s[6:7]
	s_cbranch_execz .LBB23_2654
.LBB23_2653:
	v_lshlrev_b32_e32 v7, 24, v3
	v_and_b32_e32 v3, 0xffff, v3
	v_and_b32_e32 v11, 7, v3
	v_ffbh_u32_e32 v18, v11
	v_min_u32_e32 v18, 32, v18
	v_subrev_u32_e32 v19, 28, v18
	v_bfe_u32 v15, v3, 3, 4
	v_lshlrev_b32_e32 v3, v19, v3
	v_sub_u32_e32 v18, 29, v18
	v_and_b32_e32 v3, 7, v3
	v_cmp_eq_u32_e32 vcc, 0, v15
	v_cndmask_b32_e32 v15, v15, v18, vcc
	v_cndmask_b32_e32 v3, v11, v3, vcc
	v_mov_b32_e32 v11, 0x3b800000
	v_lshlrev_b32_e32 v3, 20, v3
	v_and_b32_e32 v7, 0x80000000, v7
	v_lshl_add_u32 v11, v15, 23, v11
	v_or3_b32 v3, v7, v11, v3
	v_cvt_f64_f32_e32 v[18:19], v3
.LBB23_2654:
	s_or_b64 exec, exec, s[10:11]
.LBB23_2655:
	s_mov_b64 s[6:7], -1
.LBB23_2656:
	s_mov_b64 s[10:11], 0
.LBB23_2657:
	s_and_b64 vcc, exec, s[10:11]
	s_cbranch_vccz .LBB23_2690
; %bb.2658:
	v_cmp_gt_i16_e64 s[2:3], s28, 22
	s_and_b64 vcc, exec, s[2:3]
	s_cbranch_vccz .LBB23_2668
; %bb.2659:
	v_cmp_lt_i16_e64 s[2:3], s28, 24
	s_and_b64 vcc, exec, s[2:3]
	s_cbranch_vccnz .LBB23_2671
; %bb.2660:
	v_cmp_gt_i16_e64 s[2:3], s28, 24
	s_and_b64 vcc, exec, s[2:3]
	s_cbranch_vccz .LBB23_2672
; %bb.2661:
	global_load_ubyte v3, v[12:13], off
	s_movk_i32 s2, 0x7f
                                        ; implicit-def: $sgpr6_sgpr7
	s_waitcnt vmcnt(0)
	v_cmp_lt_i16_e32 vcc, s2, v3
	s_mov_b64 s[2:3], 0
	s_and_saveexec_b64 s[10:11], vcc
	s_xor_b64 s[10:11], exec, s[10:11]
	s_cbranch_execz .LBB23_2684
; %bb.2662:
	s_movk_i32 s2, 0x80
	v_cmp_eq_u16_e32 vcc, s2, v3
	s_mov_b64 s[16:17], -1
                                        ; implicit-def: $sgpr6_sgpr7
	s_and_saveexec_b64 s[2:3], vcc
; %bb.2663:
	s_mov_b32 s7, 0x7ff80000
	s_brev_b32 s6, 4
	s_xor_b64 s[16:17], exec, -1
; %bb.2664:
	s_or_b64 exec, exec, s[2:3]
	s_and_b64 s[2:3], s[16:17], exec
	s_or_saveexec_b64 s[10:11], s[10:11]
	v_pk_mov_b32 v[18:19], s[6:7], s[6:7] op_sel:[0,1]
	s_xor_b64 exec, exec, s[10:11]
	s_cbranch_execnz .LBB23_2685
.LBB23_2665:
	s_or_b64 exec, exec, s[10:11]
	s_and_saveexec_b64 s[6:7], s[2:3]
	s_cbranch_execz .LBB23_2667
.LBB23_2666:
	v_lshlrev_b32_e32 v7, 24, v3
	v_and_b32_e32 v3, 0xffff, v3
	v_and_b32_e32 v11, 3, v3
	v_ffbh_u32_e32 v18, v11
	v_min_u32_e32 v18, 32, v18
	v_subrev_u32_e32 v19, 29, v18
	v_bfe_u32 v15, v3, 2, 5
	v_lshlrev_b32_e32 v3, v19, v3
	v_sub_u32_e32 v18, 30, v18
	v_and_b32_e32 v3, 3, v3
	v_cmp_eq_u32_e32 vcc, 0, v15
	v_cndmask_b32_e32 v15, v15, v18, vcc
	v_cndmask_b32_e32 v3, v11, v3, vcc
	v_mov_b32_e32 v11, 0x37800000
	v_lshlrev_b32_e32 v3, 21, v3
	v_and_b32_e32 v7, 0x80000000, v7
	v_lshl_add_u32 v11, v15, 23, v11
	v_or3_b32 v3, v7, v11, v3
	v_cvt_f64_f32_e32 v[18:19], v3
.LBB23_2667:
	s_or_b64 exec, exec, s[6:7]
	s_mov_b64 s[2:3], 0
	s_branch .LBB23_2673
.LBB23_2668:
	s_mov_b64 s[2:3], -1
                                        ; implicit-def: $vgpr18_vgpr19
	s_branch .LBB23_2679
.LBB23_2669:
	s_or_saveexec_b64 s[16:17], s[16:17]
	v_pk_mov_b32 v[18:19], s[10:11], s[10:11] op_sel:[0,1]
	s_xor_b64 exec, exec, s[16:17]
	s_cbranch_execz .LBB23_2652
.LBB23_2670:
	v_cmp_ne_u16_e32 vcc, 0, v3
	s_andn2_b64 s[6:7], s[6:7], exec
	s_and_b64 s[10:11], vcc, exec
	v_pk_mov_b32 v[18:19], 0, 0
	s_or_b64 s[6:7], s[6:7], s[10:11]
	s_or_b64 exec, exec, s[16:17]
	s_and_saveexec_b64 s[10:11], s[6:7]
	s_cbranch_execnz .LBB23_2653
	s_branch .LBB23_2654
.LBB23_2671:
	s_mov_b64 s[2:3], -1
                                        ; implicit-def: $vgpr18_vgpr19
	s_branch .LBB23_2676
.LBB23_2672:
	s_mov_b64 s[2:3], -1
                                        ; implicit-def: $vgpr18_vgpr19
.LBB23_2673:
	s_and_b64 vcc, exec, s[2:3]
	s_cbranch_vccz .LBB23_2675
; %bb.2674:
	global_load_ubyte v3, v[12:13], off
	s_mov_b32 s2, 0x7f800000
	s_waitcnt vmcnt(0)
	v_lshlrev_b32_e32 v3, 24, v3
	v_and_b32_e32 v7, 0x7f000000, v3
	v_ffbh_u32_e32 v11, v7
	v_min_u32_e32 v11, 32, v11
	v_sub_u32_e64 v11, v11, 4 clamp
	v_lshlrev_b32_e32 v18, v11, v7
	v_lshlrev_b32_e32 v11, 23, v11
	v_lshrrev_b32_e32 v18, 4, v18
	v_add_u32_e32 v15, 0x1000000, v7
	v_sub_u32_e32 v11, v18, v11
	v_ashrrev_i32_e32 v15, 8, v15
	v_add_u32_e32 v11, 0x3c000000, v11
	v_and_or_b32 v11, v15, s2, v11
	v_cmp_ne_u32_e32 vcc, 0, v7
	v_cndmask_b32_e32 v7, 0, v11, vcc
	s_brev_b32 s2, 1
	v_and_or_b32 v3, v3, s2, v7
	v_cvt_f64_f32_e32 v[18:19], v3
.LBB23_2675:
	s_mov_b64 s[2:3], 0
.LBB23_2676:
	s_andn2_b64 vcc, exec, s[2:3]
	s_cbranch_vccnz .LBB23_2678
; %bb.2677:
	global_load_ubyte v3, v[12:13], off
	s_movk_i32 s2, 0x7f00
	s_brev_b32 s3, 16
	s_waitcnt vmcnt(0)
	v_lshlrev_b16_e32 v7, 8, v3
	v_lshlrev_b32_e32 v3, 25, v3
	v_lshrrev_b32_e32 v11, 4, v3
	v_and_or_b32 v15, v7, s2, 0.5
	v_or_b32_e32 v11, 0x70000000, v11
	v_add_f32_e32 v15, -0.5, v15
	v_mul_f32_e32 v11, 0x7800000, v11
	v_cmp_gt_u32_e32 vcc, s3, v3
	v_bfe_i32 v7, v7, 0, 16
	v_cndmask_b32_e32 v3, v11, v15, vcc
	s_brev_b32 s2, 1
	v_and_or_b32 v3, v7, s2, v3
	v_cvt_f64_f32_e32 v[18:19], v3
.LBB23_2678:
	s_mov_b64 s[2:3], 0
	s_mov_b64 s[6:7], -1
.LBB23_2679:
	s_andn2_b64 vcc, exec, s[2:3]
	s_mov_b64 s[2:3], 0
	s_cbranch_vccnz .LBB23_2690
; %bb.2680:
	v_cmp_gt_i16_e64 s[2:3], s28, 14
	s_and_b64 vcc, exec, s[2:3]
	s_cbranch_vccz .LBB23_2683
; %bb.2681:
	v_cmp_eq_u16_e64 s[0:1], s28, 15
	s_and_b64 vcc, exec, s[0:1]
	s_cbranch_vccz .LBB23_2686
; %bb.2682:
	global_load_ushort v3, v[12:13], off
	s_mov_b64 s[0:1], 0
	s_mov_b64 s[6:7], -1
	s_waitcnt vmcnt(0)
	v_lshlrev_b32_e32 v3, 16, v3
	v_cvt_f64_f32_e32 v[18:19], v3
	s_branch .LBB23_2687
.LBB23_2683:
	s_mov_b64 s[10:11], -1
                                        ; implicit-def: $vgpr18_vgpr19
	s_branch .LBB23_2688
.LBB23_2684:
	s_or_saveexec_b64 s[10:11], s[10:11]
	v_pk_mov_b32 v[18:19], s[6:7], s[6:7] op_sel:[0,1]
	s_xor_b64 exec, exec, s[10:11]
	s_cbranch_execz .LBB23_2665
.LBB23_2685:
	v_cmp_ne_u16_e32 vcc, 0, v3
	s_andn2_b64 s[2:3], s[2:3], exec
	s_and_b64 s[6:7], vcc, exec
	v_pk_mov_b32 v[18:19], 0, 0
	s_or_b64 s[2:3], s[2:3], s[6:7]
	s_or_b64 exec, exec, s[10:11]
	s_and_saveexec_b64 s[6:7], s[2:3]
	s_cbranch_execnz .LBB23_2666
	s_branch .LBB23_2667
.LBB23_2686:
	s_mov_b64 s[0:1], -1
                                        ; implicit-def: $vgpr18_vgpr19
.LBB23_2687:
	s_mov_b64 s[10:11], 0
.LBB23_2688:
	s_mov_b64 s[2:3], 0
	s_and_b64 vcc, exec, s[10:11]
	s_cbranch_vccz .LBB23_2690
; %bb.2689:
	v_cmp_ne_u16_e64 s[0:1], s28, 11
	s_mov_b64 s[2:3], -1
                                        ; implicit-def: $vgpr18_vgpr19
.LBB23_2690:
	s_and_b64 vcc, exec, s[0:1]
	s_cbranch_vccnz .LBB23_2812
; %bb.2691:
	s_andn2_b64 vcc, exec, s[2:3]
	s_cbranch_vccnz .LBB23_2693
.LBB23_2692:
	global_load_ubyte v3, v[12:13], off
	v_mov_b32_e32 v7, 0x3ff00000
	v_mov_b32_e32 v18, 0
	s_mov_b64 s[6:7], -1
	s_waitcnt vmcnt(0)
	v_cmp_ne_u16_e32 vcc, 0, v3
	v_cndmask_b32_e32 v19, 0, v7, vcc
.LBB23_2693:
	s_mov_b64 s[0:1], 0
.LBB23_2694:
	s_and_b64 vcc, exec, s[0:1]
	s_cbranch_vccz .LBB23_2743
; %bb.2695:
	v_cmp_lt_i16_e64 s[0:1], s28, 5
	s_and_b64 vcc, exec, s[0:1]
	s_cbranch_vccnz .LBB23_2700
; %bb.2696:
	v_cmp_lt_i16_e64 s[0:1], s28, 8
	s_and_b64 vcc, exec, s[0:1]
	s_cbranch_vccnz .LBB23_2701
	;; [unrolled: 4-line block ×3, first 2 shown]
; %bb.2698:
	v_cmp_gt_i16_e64 s[0:1], s28, 9
	s_and_b64 vcc, exec, s[0:1]
	s_cbranch_vccz .LBB23_2703
; %bb.2699:
	global_load_dwordx2 v[18:19], v[12:13], off
	s_mov_b64 s[0:1], 0
	s_branch .LBB23_2704
.LBB23_2700:
	s_mov_b64 s[0:1], -1
                                        ; implicit-def: $vgpr18_vgpr19
	s_branch .LBB23_2722
.LBB23_2701:
	s_mov_b64 s[0:1], -1
                                        ; implicit-def: $vgpr18_vgpr19
	s_branch .LBB23_2710
.LBB23_2702:
	s_mov_b64 s[0:1], -1
                                        ; implicit-def: $vgpr18_vgpr19
	s_branch .LBB23_2707
.LBB23_2703:
	s_mov_b64 s[0:1], -1
                                        ; implicit-def: $vgpr18_vgpr19
.LBB23_2704:
	s_andn2_b64 vcc, exec, s[0:1]
	s_cbranch_vccnz .LBB23_2706
; %bb.2705:
	global_load_dword v3, v[12:13], off
	s_waitcnt vmcnt(0)
	v_cvt_f64_f32_e32 v[18:19], v3
.LBB23_2706:
	s_mov_b64 s[0:1], 0
.LBB23_2707:
	s_andn2_b64 vcc, exec, s[0:1]
	s_cbranch_vccnz .LBB23_2709
; %bb.2708:
	global_load_dword v3, v[12:13], off
	s_waitcnt vmcnt(0)
	v_cvt_f32_f16_e32 v3, v3
	v_cvt_f64_f32_e32 v[18:19], v3
.LBB23_2709:
	s_mov_b64 s[0:1], 0
.LBB23_2710:
	s_andn2_b64 vcc, exec, s[0:1]
	s_cbranch_vccnz .LBB23_2721
; %bb.2711:
	v_cmp_lt_i16_e64 s[0:1], s28, 6
	s_and_b64 vcc, exec, s[0:1]
	s_cbranch_vccnz .LBB23_2714
; %bb.2712:
	v_cmp_gt_i16_e64 s[0:1], s28, 6
	s_and_b64 vcc, exec, s[0:1]
	s_cbranch_vccz .LBB23_2715
; %bb.2713:
	global_load_dwordx2 v[18:19], v[12:13], off
	s_mov_b64 s[0:1], 0
	s_branch .LBB23_2716
.LBB23_2714:
	s_mov_b64 s[0:1], -1
                                        ; implicit-def: $vgpr18_vgpr19
	s_branch .LBB23_2719
.LBB23_2715:
	s_mov_b64 s[0:1], -1
                                        ; implicit-def: $vgpr18_vgpr19
.LBB23_2716:
	s_andn2_b64 vcc, exec, s[0:1]
	s_cbranch_vccnz .LBB23_2718
; %bb.2717:
	global_load_dword v3, v[12:13], off
	s_waitcnt vmcnt(0)
	v_cvt_f64_f32_e32 v[18:19], v3
.LBB23_2718:
	s_mov_b64 s[0:1], 0
.LBB23_2719:
	s_andn2_b64 vcc, exec, s[0:1]
	s_cbranch_vccnz .LBB23_2721
; %bb.2720:
	global_load_ushort v3, v[12:13], off
	s_waitcnt vmcnt(0)
	v_cvt_f32_f16_e32 v3, v3
	v_cvt_f64_f32_e32 v[18:19], v3
.LBB23_2721:
	s_mov_b64 s[0:1], 0
.LBB23_2722:
	s_andn2_b64 vcc, exec, s[0:1]
	s_cbranch_vccnz .LBB23_2742
; %bb.2723:
	v_cmp_lt_i16_e64 s[0:1], s28, 2
	s_and_b64 vcc, exec, s[0:1]
	s_cbranch_vccnz .LBB23_2727
; %bb.2724:
	v_cmp_lt_i16_e64 s[0:1], s28, 3
	s_and_b64 vcc, exec, s[0:1]
	s_cbranch_vccnz .LBB23_2728
; %bb.2725:
	v_cmp_gt_i16_e64 s[0:1], s28, 3
	s_and_b64 vcc, exec, s[0:1]
	s_cbranch_vccz .LBB23_2729
; %bb.2726:
	global_load_dwordx2 v[18:19], v[12:13], off
	s_mov_b64 s[0:1], 0
	s_waitcnt vmcnt(0)
	v_cvt_f64_i32_e32 v[20:21], v19
	v_cvt_f64_u32_e32 v[18:19], v18
	v_ldexp_f64 v[20:21], v[20:21], 32
	v_add_f64 v[18:19], v[20:21], v[18:19]
	s_branch .LBB23_2730
.LBB23_2727:
	s_mov_b64 s[0:1], -1
                                        ; implicit-def: $vgpr18_vgpr19
	s_branch .LBB23_2736
.LBB23_2728:
	s_mov_b64 s[0:1], -1
                                        ; implicit-def: $vgpr18_vgpr19
	s_branch .LBB23_2733
.LBB23_2729:
	s_mov_b64 s[0:1], -1
                                        ; implicit-def: $vgpr18_vgpr19
.LBB23_2730:
	s_andn2_b64 vcc, exec, s[0:1]
	s_cbranch_vccnz .LBB23_2732
; %bb.2731:
	global_load_dword v3, v[12:13], off
	s_waitcnt vmcnt(0)
	v_cvt_f64_i32_e32 v[18:19], v3
.LBB23_2732:
	s_mov_b64 s[0:1], 0
.LBB23_2733:
	s_andn2_b64 vcc, exec, s[0:1]
	s_cbranch_vccnz .LBB23_2735
; %bb.2734:
	global_load_sshort v3, v[12:13], off
	s_waitcnt vmcnt(0)
	v_cvt_f64_i32_e32 v[18:19], v3
.LBB23_2735:
	s_mov_b64 s[0:1], 0
.LBB23_2736:
	s_andn2_b64 vcc, exec, s[0:1]
	s_cbranch_vccnz .LBB23_2742
; %bb.2737:
	v_cmp_gt_i16_e64 s[0:1], s28, 0
	s_and_b64 vcc, exec, s[0:1]
	s_cbranch_vccz .LBB23_2739
; %bb.2738:
	global_load_sbyte v3, v[12:13], off
	s_mov_b64 s[0:1], 0
	s_waitcnt vmcnt(0)
	v_cvt_f64_i32_e32 v[18:19], v3
	s_branch .LBB23_2740
.LBB23_2739:
	s_mov_b64 s[0:1], -1
                                        ; implicit-def: $vgpr18_vgpr19
.LBB23_2740:
	s_andn2_b64 vcc, exec, s[0:1]
	s_cbranch_vccnz .LBB23_2742
; %bb.2741:
	global_load_ubyte v3, v[12:13], off
	s_waitcnt vmcnt(0)
	v_cvt_f64_u32_e32 v[18:19], v3
.LBB23_2742:
	s_mov_b64 s[6:7], -1
.LBB23_2743:
	s_andn2_b64 vcc, exec, s[6:7]
	s_cbranch_vccnz .LBB23_2763
; %bb.2744:
	s_waitcnt vmcnt(0)
	v_trunc_f64_e32 v[12:13], v[18:19]
	s_movk_i32 s0, 0xffe0
	v_ldexp_f64 v[18:19], v[12:13], s0
	v_floor_f64_e32 v[20:21], v[18:19]
	v_fmac_f64_e32 v[12:13], 0xc1f00000, v[20:21]
	v_cvt_i32_f64_e32 v19, v[20:21]
	v_cvt_u32_f64_e32 v18, v[12:13]
	v_cmp_lt_i64_e32 vcc, -1, v[18:19]
	v_pk_mov_b32 v[12:13], 0, 0
	s_and_saveexec_b64 s[0:1], vcc
	s_cbranch_execz .LBB23_2756
; %bb.2745:
	v_mov_b32_e32 v12, 0
	v_cmp_lt_i64_e32 vcc, 0, v[18:19]
	v_mov_b32_e32 v13, 0x3ff00000
	s_and_saveexec_b64 s[2:3], vcc
	s_cbranch_execz .LBB23_2755
; %bb.2746:
	v_cmp_ne_u64_e32 vcc, 1, v[18:19]
                                        ; implicit-def: $vgpr12_vgpr13
	s_and_saveexec_b64 s[6:7], vcc
	s_xor_b64 s[6:7], exec, s[6:7]
	s_cbranch_execz .LBB23_2752
; %bb.2747:
	s_mov_b64 s[10:11], 0x201
	v_mov_b32_e32 v12, 0
	v_cmp_gt_u64_e32 vcc, s[10:11], v[18:19]
	v_mov_b32_e32 v13, 0x7ff80000
	s_and_saveexec_b64 s[10:11], vcc
	s_cbranch_execz .LBB23_2751
; %bb.2748:
	v_mov_b32_e32 v20, 0
	s_mov_b64 s[18:19], 1
	s_mov_b64 s[16:17], 0
	v_mov_b32_e32 v21, 0x3ff00000
	v_pk_mov_b32 v[12:13], v[16:17], v[16:17] op_sel:[0,1]
.LBB23_2749:                            ; =>This Inner Loop Header: Depth=1
	v_cvt_f64_u32_e32 v[22:23], s19
	v_cvt_f64_u32_e32 v[24:25], s18
	s_add_u32 s18, s18, 1
	v_ldexp_f64 v[22:23], v[22:23], 32
	s_addc_u32 s19, s19, 0
	v_add_f64 v[22:23], v[22:23], v[24:25]
	v_cmp_eq_u64_e32 vcc, s[18:19], v[18:19]
	v_mul_f64 v[22:23], v[20:21], v[22:23]
	s_or_b64 s[16:17], vcc, s[16:17]
	v_pk_mov_b32 v[20:21], v[12:13], v[12:13] op_sel:[0,1]
	v_fma_f64 v[12:13], v[16:17], v[12:13], -v[22:23]
	s_andn2_b64 exec, exec, s[16:17]
	s_cbranch_execnz .LBB23_2749
; %bb.2750:
	s_or_b64 exec, exec, s[16:17]
.LBB23_2751:
	s_or_b64 exec, exec, s[10:11]
                                        ; implicit-def: $vgpr16_vgpr17
.LBB23_2752:
	s_andn2_saveexec_b64 s[6:7], s[6:7]
; %bb.2753:
	v_pk_mov_b32 v[12:13], v[16:17], v[16:17] op_sel:[0,1]
; %bb.2754:
	s_or_b64 exec, exec, s[6:7]
.LBB23_2755:
	s_or_b64 exec, exec, s[2:3]
.LBB23_2756:
	s_or_b64 exec, exec, s[0:1]
	s_lshr_b32 s18, s26, 8
	v_mov_b32_e32 v3, s9
	v_add_co_u32_e32 v16, vcc, s8, v2
	v_mov_b32_e32 v2, 11
	v_addc_co_u32_e32 v17, vcc, 0, v3, vcc
	v_cmp_lt_i16_sdwa s[0:1], s18, v2 src0_sel:BYTE_0 src1_sel:DWORD
	s_and_b64 vcc, exec, s[0:1]
	s_cbranch_vccnz .LBB23_2809
; %bb.2757:
	v_mov_b32_e32 v2, 25
	v_cmp_gt_i16_sdwa s[0:1], s18, v2 src0_sel:BYTE_0 src1_sel:DWORD
	s_mov_b64 s[10:11], -1
	s_mov_b64 s[2:3], 0
	s_and_b64 vcc, exec, s[0:1]
	s_mov_b64 s[6:7], 0
	s_mov_b64 s[0:1], 0
	s_cbranch_vccz .LBB23_2841
; %bb.2758:
	v_mov_b32_e32 v2, 28
	v_cmp_gt_i16_sdwa s[0:1], s18, v2 src0_sel:BYTE_0 src1_sel:DWORD
	s_and_b64 vcc, exec, s[0:1]
	s_cbranch_vccz .LBB23_2810
; %bb.2759:
	v_mov_b32_e32 v2, 43
	v_cmp_gt_i16_sdwa s[0:1], s18, v2 src0_sel:BYTE_0 src1_sel:DWORD
	s_and_b64 vcc, exec, s[0:1]
	;; [unrolled: 5-line block ×3, first 2 shown]
	s_cbranch_vccz .LBB23_2813
; %bb.2761:
	v_mov_b32_e32 v2, 46
	v_cmp_eq_u16_sdwa s[6:7], s18, v2 src0_sel:BYTE_0 src1_sel:DWORD
	s_mov_b64 s[0:1], -1
	s_mov_b64 s[10:11], 0
	s_and_b64 vcc, exec, s[6:7]
	s_mov_b64 s[6:7], 0
	s_cbranch_vccz .LBB23_2814
; %bb.2762:
	v_cvt_f32_f64_e32 v2, v[0:1]
	v_bfe_u32 v3, v2, 16, 1
	s_movk_i32 s0, 0x7fff
	v_add3_u32 v3, v2, v3, s0
	v_lshrrev_b32_e32 v3, 16, v3
	v_mov_b32_e32 v7, 0x7fc0
	v_cmp_o_f32_e32 vcc, v2, v2
	v_cndmask_b32_e32 v2, v7, v3, vcc
	global_store_dword v[16:17], v2, off
	s_mov_b64 s[0:1], 0
	s_mov_b64 s[6:7], -1
	s_branch .LBB23_2814
.LBB23_2763:
	s_mov_b64 s[0:1], 0
                                        ; implicit-def: $vgpr0_vgpr1
                                        ; implicit-def: $vgpr2
                                        ; implicit-def: $vgpr12_vgpr13
.LBB23_2764:
	s_mov_b64 s[2:3], 0
.LBB23_2765:
	s_and_b64 s[6:7], s[2:3], exec
	s_andn2_b64 s[2:3], s[12:13], exec
	s_and_b64 s[4:5], s[4:5], exec
	s_and_b64 s[0:1], s[0:1], exec
	s_or_b64 s[12:13], s[2:3], s[4:5]
.LBB23_2766:
	s_or_b64 exec, exec, s[14:15]
	s_and_saveexec_b64 s[2:3], s[12:13]
	s_cbranch_execz .LBB23_2769
; %bb.2767:
	; divergent unreachable
	s_or_b64 exec, exec, s[2:3]
	s_and_saveexec_b64 s[2:3], s[6:7]
	s_xor_b64 s[2:3], exec, s[2:3]
	s_cbranch_execnz .LBB23_2770
.LBB23_2768:
	s_or_b64 exec, exec, s[2:3]
	s_and_saveexec_b64 s[2:3], s[0:1]
	s_cbranch_execnz .LBB23_2771
	s_branch .LBB23_2808
.LBB23_2769:
	s_or_b64 exec, exec, s[2:3]
	s_and_saveexec_b64 s[2:3], s[6:7]
	s_xor_b64 s[2:3], exec, s[2:3]
	s_cbranch_execz .LBB23_2768
.LBB23_2770:
	v_cmp_neq_f64_e32 vcc, 0, v[12:13]
	v_cndmask_b32_e64 v3, 0, 1, vcc
	global_store_byte v[0:1], v3, off
	s_or_b64 exec, exec, s[2:3]
	s_and_saveexec_b64 s[2:3], s[0:1]
	s_cbranch_execz .LBB23_2808
.LBB23_2771:
	v_cmp_gt_i16_e32 vcc, 5, v2
	s_mov_b64 s[0:1], -1
	s_cbranch_vccnz .LBB23_2792
; %bb.2772:
	v_cmp_gt_i16_e32 vcc, 8, v2
	s_cbranch_vccnz .LBB23_2782
; %bb.2773:
	v_cmp_gt_i16_e32 vcc, 9, v2
	s_cbranch_vccnz .LBB23_2779
; %bb.2774:
	v_cmp_lt_i16_e32 vcc, 9, v2
	s_cbranch_vccz .LBB23_2776
; %bb.2775:
	v_mov_b32_e32 v14, 0
	v_mov_b32_e32 v15, v14
	global_store_dwordx4 v[0:1], v[12:15], off
	s_mov_b64 s[0:1], 0
.LBB23_2776:
	s_andn2_b64 vcc, exec, s[0:1]
	s_cbranch_vccnz .LBB23_2778
; %bb.2777:
	s_waitcnt vmcnt(0)
	v_cvt_f32_f64_e32 v4, v[12:13]
	v_mov_b32_e32 v5, 0
	global_store_dwordx2 v[0:1], v[4:5], off
.LBB23_2778:
	s_mov_b64 s[0:1], 0
.LBB23_2779:
	s_andn2_b64 vcc, exec, s[0:1]
	s_cbranch_vccnz .LBB23_2781
; %bb.2780:
	v_cvt_f32_f64_e32 v3, v[12:13]
	v_cvt_f16_f32_e32 v3, v3
	global_store_dword v[0:1], v3, off
.LBB23_2781:
	s_mov_b64 s[0:1], 0
.LBB23_2782:
	s_andn2_b64 vcc, exec, s[0:1]
	s_cbranch_vccnz .LBB23_2791
; %bb.2783:
	v_cmp_gt_i16_e32 vcc, 6, v2
	s_mov_b64 s[0:1], -1
	s_cbranch_vccnz .LBB23_2789
; %bb.2784:
	v_cmp_lt_i16_e32 vcc, 6, v2
	s_cbranch_vccz .LBB23_2786
; %bb.2785:
	global_store_dwordx2 v[0:1], v[12:13], off
	s_mov_b64 s[0:1], 0
.LBB23_2786:
	s_andn2_b64 vcc, exec, s[0:1]
	s_cbranch_vccnz .LBB23_2788
; %bb.2787:
	v_cvt_f32_f64_e32 v3, v[12:13]
	global_store_dword v[0:1], v3, off
.LBB23_2788:
	s_mov_b64 s[0:1], 0
.LBB23_2789:
	s_andn2_b64 vcc, exec, s[0:1]
	s_cbranch_vccnz .LBB23_2791
; %bb.2790:
	v_cvt_f32_f64_e32 v3, v[12:13]
	v_cvt_f16_f32_e32 v3, v3
	global_store_short v[0:1], v3, off
.LBB23_2791:
	s_mov_b64 s[0:1], 0
.LBB23_2792:
	s_andn2_b64 vcc, exec, s[0:1]
	s_cbranch_vccnz .LBB23_2808
; %bb.2793:
	v_cmp_gt_i16_e32 vcc, 2, v2
	s_mov_b64 s[0:1], -1
	s_cbranch_vccnz .LBB23_2803
; %bb.2794:
	v_cmp_gt_i16_e32 vcc, 3, v2
	s_cbranch_vccnz .LBB23_2800
; %bb.2795:
	v_cmp_lt_i16_e32 vcc, 3, v2
	s_cbranch_vccz .LBB23_2797
; %bb.2796:
	s_waitcnt vmcnt(0)
	v_trunc_f64_e32 v[4:5], v[12:13]
	s_movk_i32 s0, 0xffe0
	v_ldexp_f64 v[6:7], v[4:5], s0
	v_floor_f64_e32 v[6:7], v[6:7]
	v_fmac_f64_e32 v[4:5], 0xc1f00000, v[6:7]
	v_cvt_i32_f64_e32 v9, v[6:7]
	v_cvt_u32_f64_e32 v8, v[4:5]
	global_store_dwordx2 v[0:1], v[8:9], off
	s_mov_b64 s[0:1], 0
.LBB23_2797:
	s_andn2_b64 vcc, exec, s[0:1]
	s_cbranch_vccnz .LBB23_2799
; %bb.2798:
	v_cvt_i32_f64_e32 v3, v[12:13]
	global_store_dword v[0:1], v3, off
.LBB23_2799:
	s_mov_b64 s[0:1], 0
.LBB23_2800:
	s_andn2_b64 vcc, exec, s[0:1]
	s_cbranch_vccnz .LBB23_2802
; %bb.2801:
	v_cvt_i32_f64_e32 v3, v[12:13]
	global_store_short v[0:1], v3, off
.LBB23_2802:
	s_mov_b64 s[0:1], 0
.LBB23_2803:
	s_andn2_b64 vcc, exec, s[0:1]
	s_cbranch_vccnz .LBB23_2808
; %bb.2804:
	v_cmp_lt_i16_e32 vcc, 0, v2
	s_mov_b64 s[0:1], -1
	s_cbranch_vccz .LBB23_2806
; %bb.2805:
	v_cvt_i32_f64_e32 v2, v[12:13]
	global_store_byte v[0:1], v2, off
	s_mov_b64 s[0:1], 0
.LBB23_2806:
	s_andn2_b64 vcc, exec, s[0:1]
	s_cbranch_vccnz .LBB23_2808
; %bb.2807:
	v_trunc_f64_e32 v[2:3], v[12:13]
	s_movk_i32 s0, 0xffe0
	s_waitcnt vmcnt(0)
	v_ldexp_f64 v[4:5], v[2:3], s0
	v_floor_f64_e32 v[4:5], v[4:5]
	v_fmac_f64_e32 v[2:3], 0xc1f00000, v[4:5]
	v_cvt_u32_f64_e32 v2, v[2:3]
	global_store_byte v[0:1], v2, off
	s_endpgm
.LBB23_2808:
	s_endpgm
.LBB23_2809:
	s_mov_b64 s[0:1], -1
	s_mov_b64 s[6:7], 0
	s_branch .LBB23_2885
.LBB23_2810:
	s_mov_b64 s[0:1], 0
	s_branch .LBB23_2824
.LBB23_2811:
	s_mov_b64 s[0:1], 0
	s_branch .LBB23_2820
.LBB23_2812:
	s_trap 2
	s_or_b64 s[4:5], s[4:5], exec
                                        ; implicit-def: $vgpr18_vgpr19
	s_cbranch_execz .LBB23_2692
	s_branch .LBB23_2693
.LBB23_2813:
	s_mov_b64 s[0:1], 0
.LBB23_2814:
	s_and_b64 vcc, exec, s[10:11]
	s_cbranch_vccz .LBB23_2819
; %bb.2815:
	v_mov_b32_e32 v2, 44
	v_cmp_eq_u16_sdwa s[10:11], s18, v2 src0_sel:BYTE_0 src1_sel:DWORD
	s_mov_b64 s[0:1], -1
	s_and_b64 vcc, exec, s[10:11]
	s_cbranch_vccz .LBB23_2819
; %bb.2816:
	v_cvt_f32_f64_e32 v2, v[0:1]
	v_bfe_u32 v3, v2, 23, 8
	s_movk_i32 s0, 0xff
	v_cmp_ne_u32_e32 vcc, s0, v3
	v_mov_b32_e32 v7, 0xff
	s_and_saveexec_b64 s[6:7], vcc
; %bb.2817:
	s_mov_b32 s0, 0x3fffff
	v_lshrrev_b32_e32 v7, 23, v2
	v_and_b32_e32 v11, 0x400000, v2
	v_and_or_b32 v2, v2, s0, v3
	v_cmp_ne_u32_e32 vcc, 0, v11
	v_cmp_ne_u32_e64 s[0:1], 0, v2
	s_and_b64 s[0:1], vcc, s[0:1]
	v_cndmask_b32_e64 v2, 0, 1, s[0:1]
	v_add_u32_e32 v7, v7, v2
; %bb.2818:
	s_or_b64 exec, exec, s[6:7]
	s_mov_b64 s[0:1], 0
	s_mov_b64 s[6:7], -1
	global_store_byte v[16:17], v7, off
.LBB23_2819:
	s_mov_b64 s[10:11], 0
.LBB23_2820:
	s_and_b64 vcc, exec, s[10:11]
	s_cbranch_vccz .LBB23_2823
; %bb.2821:
	v_mov_b32_e32 v2, 29
	v_cmp_eq_u16_sdwa s[10:11], s18, v2 src0_sel:BYTE_0 src1_sel:DWORD
	s_mov_b64 s[0:1], -1
	s_and_b64 vcc, exec, s[10:11]
	s_cbranch_vccz .LBB23_2823
; %bb.2822:
	v_trunc_f64_e32 v[2:3], v[0:1]
	s_movk_i32 s0, 0xffe0
	v_ldexp_f64 v[18:19], v[2:3], s0
	v_floor_f64_e32 v[18:19], v[18:19]
	v_fmac_f64_e32 v[2:3], 0xc1f00000, v[18:19]
	v_cvt_u32_f64_e32 v21, v[18:19]
	v_cvt_u32_f64_e32 v20, v[2:3]
	global_store_dwordx2 v[16:17], v[20:21], off
	s_mov_b64 s[0:1], 0
	s_mov_b64 s[6:7], -1
.LBB23_2823:
	s_mov_b64 s[10:11], 0
.LBB23_2824:
	s_and_b64 vcc, exec, s[10:11]
	s_cbranch_vccz .LBB23_2840
; %bb.2825:
	v_mov_b32_e32 v2, 27
	v_cmp_lt_i16_sdwa s[10:11], s18, v2 src0_sel:BYTE_0 src1_sel:DWORD
	s_mov_b64 s[6:7], -1
	s_and_b64 vcc, exec, s[10:11]
	s_cbranch_vccnz .LBB23_2831
; %bb.2826:
	v_cmp_gt_i16_sdwa s[10:11], s18, v2 src0_sel:BYTE_0 src1_sel:DWORD
	s_and_b64 vcc, exec, s[10:11]
	v_cvt_u32_f64_e32 v2, v[0:1]
	s_cbranch_vccz .LBB23_2828
; %bb.2827:
	s_mov_b64 s[6:7], 0
	global_store_dword v[16:17], v2, off
.LBB23_2828:
	s_andn2_b64 vcc, exec, s[6:7]
	s_cbranch_vccnz .LBB23_2830
; %bb.2829:
	global_store_short v[16:17], v2, off
.LBB23_2830:
	s_mov_b64 s[6:7], 0
.LBB23_2831:
	s_andn2_b64 vcc, exec, s[6:7]
	s_cbranch_vccnz .LBB23_2839
; %bb.2832:
	v_cvt_f32_f64_e32 v2, v[0:1]
	v_and_b32_e32 v3, 0x7fffffff, v2
	s_mov_b32 s6, 0x43800000
	v_cmp_gt_u32_e32 vcc, s6, v3
	v_mov_b32_e32 v7, 0x80
	s_and_saveexec_b64 s[6:7], vcc
	s_cbranch_execz .LBB23_2838
; %bb.2833:
	s_mov_b32 s10, 0x3bffffff
	v_cmp_lt_u32_e32 vcc, s10, v3
	s_mov_b64 s[10:11], 0
                                        ; implicit-def: $vgpr3
	s_and_saveexec_b64 s[16:17], vcc
	s_xor_b64 s[16:17], exec, s[16:17]
	s_cbranch_execz .LBB23_2934
; %bb.2834:
	v_bfe_u32 v3, v2, 20, 1
	s_mov_b32 s19, 0x487ffff
	v_add3_u32 v3, v2, v3, s19
	s_mov_b64 s[10:11], exec
	v_lshrrev_b32_e32 v3, 20, v3
	s_or_saveexec_b64 s[16:17], s[16:17]
                                        ; implicit-def: $sgpr19
	s_xor_b64 exec, exec, s[16:17]
	s_cbranch_execnz .LBB23_2935
.LBB23_2835:
	s_or_b64 exec, exec, s[16:17]
	v_mov_b32_e32 v7, s19
	s_and_saveexec_b64 s[16:17], s[10:11]
.LBB23_2836:
	v_lshrrev_b32_e32 v2, 24, v2
	s_movk_i32 s10, 0x80
	v_and_or_b32 v7, v2, s10, v3
.LBB23_2837:
	s_or_b64 exec, exec, s[16:17]
.LBB23_2838:
	s_or_b64 exec, exec, s[6:7]
	global_store_byte v[16:17], v7, off
.LBB23_2839:
	s_mov_b64 s[6:7], -1
.LBB23_2840:
	s_mov_b64 s[10:11], 0
.LBB23_2841:
	s_and_b64 vcc, exec, s[10:11]
	s_cbranch_vccz .LBB23_2881
; %bb.2842:
	v_mov_b32_e32 v2, 22
	v_cmp_gt_i16_sdwa s[10:11], s18, v2 src0_sel:BYTE_0 src1_sel:DWORD
	s_mov_b64 s[2:3], -1
	s_and_b64 vcc, exec, s[10:11]
	s_cbranch_vccz .LBB23_2874
; %bb.2843:
	v_mov_b32_e32 v2, 24
	v_cmp_lt_i16_sdwa s[6:7], s18, v2 src0_sel:BYTE_0 src1_sel:DWORD
	s_and_b64 vcc, exec, s[6:7]
	s_cbranch_vccnz .LBB23_2863
; %bb.2844:
	v_cmp_gt_i16_sdwa s[6:7], s18, v2 src0_sel:BYTE_0 src1_sel:DWORD
	s_and_b64 vcc, exec, s[6:7]
	s_cbranch_vccz .LBB23_2852
; %bb.2845:
	v_cvt_f32_f64_e32 v2, v[0:1]
	v_and_b32_e32 v3, 0x7fffffff, v2
	s_mov_b32 s2, 0x47800000
	v_cmp_gt_u32_e32 vcc, s2, v3
	v_mov_b32_e32 v7, 0x80
	s_and_saveexec_b64 s[2:3], vcc
	s_cbranch_execz .LBB23_2851
; %bb.2846:
	s_mov_b32 s6, 0x37ffffff
	v_cmp_lt_u32_e32 vcc, s6, v3
	s_mov_b64 s[6:7], 0
                                        ; implicit-def: $vgpr3
	s_and_saveexec_b64 s[10:11], vcc
	s_xor_b64 s[10:11], exec, s[10:11]
	s_cbranch_execz .LBB23_2938
; %bb.2847:
	v_bfe_u32 v3, v2, 21, 1
	s_mov_b32 s16, 0x88fffff
	v_add3_u32 v3, v2, v3, s16
	s_mov_b64 s[6:7], exec
	v_lshrrev_b32_e32 v3, 21, v3
	s_or_saveexec_b64 s[10:11], s[10:11]
                                        ; implicit-def: $sgpr16
	s_xor_b64 exec, exec, s[10:11]
	s_cbranch_execnz .LBB23_2939
.LBB23_2848:
	s_or_b64 exec, exec, s[10:11]
	v_mov_b32_e32 v7, s16
	s_and_saveexec_b64 s[10:11], s[6:7]
.LBB23_2849:
	v_lshrrev_b32_e32 v2, 24, v2
	s_movk_i32 s6, 0x80
	v_and_or_b32 v7, v2, s6, v3
.LBB23_2850:
	s_or_b64 exec, exec, s[10:11]
.LBB23_2851:
	s_or_b64 exec, exec, s[2:3]
	s_mov_b64 s[2:3], 0
	global_store_byte v[16:17], v7, off
.LBB23_2852:
	s_and_b64 vcc, exec, s[2:3]
	s_cbranch_vccz .LBB23_2862
; %bb.2853:
	v_cvt_f32_f64_e32 v2, v[0:1]
	v_and_b32_e32 v7, 0x7fffffff, v2
	s_mov_b32 s2, 0x43f00000
	v_cmp_gt_u32_e32 vcc, s2, v7
                                        ; implicit-def: $vgpr3
	s_and_saveexec_b64 s[2:3], vcc
	s_xor_b64 s[2:3], exec, s[2:3]
	s_cbranch_execz .LBB23_2859
; %bb.2854:
	s_mov_b32 s6, 0x3c7fffff
	v_cmp_lt_u32_e32 vcc, s6, v7
                                        ; implicit-def: $vgpr3
	s_and_saveexec_b64 s[6:7], vcc
	s_xor_b64 s[6:7], exec, s[6:7]
; %bb.2855:
	v_bfe_u32 v3, v2, 20, 1
	s_mov_b32 s10, 0x407ffff
	v_add3_u32 v3, v2, v3, s10
	v_lshrrev_b32_e32 v7, 20, v3
	v_and_b32_e32 v3, 0xff00000, v3
	s_mov_b32 s10, 0x7f00000
	v_mov_b32_e32 v11, 0x7e
	v_cmp_ne_u32_e32 vcc, s10, v3
	v_cndmask_b32_e32 v3, v11, v7, vcc
; %bb.2856:
	s_andn2_saveexec_b64 s[6:7], s[6:7]
; %bb.2857:
	s_mov_b32 s10, 0x46800000
	v_add_f32_e64 v3, |v2|, s10
; %bb.2858:
	s_or_b64 exec, exec, s[6:7]
                                        ; implicit-def: $vgpr7
.LBB23_2859:
	s_andn2_saveexec_b64 s[2:3], s[2:3]
; %bb.2860:
	s_mov_b32 s6, 0x7f800000
	v_mov_b32_e32 v3, 0x7e
	v_mov_b32_e32 v11, 0x7f
	v_cmp_lt_u32_e32 vcc, s6, v7
	v_cndmask_b32_e32 v3, v3, v11, vcc
; %bb.2861:
	s_or_b64 exec, exec, s[2:3]
	v_lshrrev_b32_e32 v2, 24, v2
	s_movk_i32 s2, 0x80
	v_and_or_b32 v2, v2, s2, v3
	global_store_byte v[16:17], v2, off
.LBB23_2862:
	s_mov_b64 s[2:3], 0
.LBB23_2863:
	s_andn2_b64 vcc, exec, s[2:3]
	s_cbranch_vccnz .LBB23_2873
; %bb.2864:
	v_cvt_f32_f64_e32 v2, v[0:1]
	v_and_b32_e32 v7, 0x7fffffff, v2
	s_mov_b32 s2, 0x47800000
	v_cmp_gt_u32_e32 vcc, s2, v7
                                        ; implicit-def: $vgpr3
	s_and_saveexec_b64 s[2:3], vcc
	s_xor_b64 s[2:3], exec, s[2:3]
	s_cbranch_execz .LBB23_2870
; %bb.2865:
	s_mov_b32 s6, 0x387fffff
	v_cmp_lt_u32_e32 vcc, s6, v7
                                        ; implicit-def: $vgpr3
	s_and_saveexec_b64 s[6:7], vcc
	s_xor_b64 s[6:7], exec, s[6:7]
; %bb.2866:
	v_bfe_u32 v3, v2, 21, 1
	s_mov_b32 s10, 0x80fffff
	v_add3_u32 v3, v2, v3, s10
	v_lshrrev_b32_e32 v3, 21, v3
; %bb.2867:
	s_andn2_saveexec_b64 s[6:7], s[6:7]
; %bb.2868:
	s_mov_b32 s10, 0x43000000
	v_add_f32_e64 v3, |v2|, s10
; %bb.2869:
	s_or_b64 exec, exec, s[6:7]
                                        ; implicit-def: $vgpr7
.LBB23_2870:
	s_andn2_saveexec_b64 s[2:3], s[2:3]
; %bb.2871:
	s_mov_b32 s6, 0x7f800000
	v_mov_b32_e32 v3, 0x7c
	v_mov_b32_e32 v11, 0x7f
	v_cmp_lt_u32_e32 vcc, s6, v7
	v_cndmask_b32_e32 v3, v3, v11, vcc
; %bb.2872:
	s_or_b64 exec, exec, s[2:3]
	v_lshrrev_b32_e32 v2, 24, v2
	s_movk_i32 s2, 0x80
	v_and_or_b32 v2, v2, s2, v3
	global_store_byte v[16:17], v2, off
.LBB23_2873:
	s_mov_b64 s[2:3], 0
	s_mov_b64 s[6:7], -1
.LBB23_2874:
	s_andn2_b64 vcc, exec, s[2:3]
	s_mov_b64 s[2:3], 0
	s_cbranch_vccnz .LBB23_2881
; %bb.2875:
	v_mov_b32_e32 v2, 14
	v_cmp_gt_i16_sdwa s[2:3], s18, v2 src0_sel:BYTE_0 src1_sel:DWORD
	s_mov_b64 s[10:11], -1
	s_and_b64 vcc, exec, s[2:3]
	s_cbranch_vccz .LBB23_2879
; %bb.2876:
	v_mov_b32_e32 v2, 15
	v_cmp_eq_u16_sdwa s[2:3], s18, v2 src0_sel:BYTE_0 src1_sel:DWORD
	s_mov_b64 s[0:1], -1
	s_and_b64 vcc, exec, s[2:3]
	s_cbranch_vccz .LBB23_2878
; %bb.2877:
	v_cvt_f32_f64_e32 v2, v[0:1]
	v_bfe_u32 v3, v2, 16, 1
	s_movk_i32 s0, 0x7fff
	v_add3_u32 v3, v2, v3, s0
	v_lshrrev_b32_e32 v3, 16, v3
	v_mov_b32_e32 v7, 0x7fc0
	v_cmp_o_f32_e32 vcc, v2, v2
	v_cndmask_b32_e32 v2, v7, v3, vcc
	global_store_short v[16:17], v2, off
	s_mov_b64 s[0:1], 0
	s_mov_b64 s[6:7], -1
.LBB23_2878:
	s_mov_b64 s[10:11], 0
.LBB23_2879:
	s_mov_b64 s[2:3], 0
	s_and_b64 vcc, exec, s[10:11]
	s_cbranch_vccz .LBB23_2881
; %bb.2880:
	v_mov_b32_e32 v2, 11
	v_cmp_ne_u16_sdwa s[0:1], s18, v2 src0_sel:BYTE_0 src1_sel:DWORD
	s_mov_b64 s[2:3], -1
.LBB23_2881:
	s_and_b64 vcc, exec, s[0:1]
	s_cbranch_vccnz .LBB23_2937
; %bb.2882:
	s_andn2_b64 vcc, exec, s[2:3]
	s_cbranch_vccnz .LBB23_2884
.LBB23_2883:
	v_cmp_neq_f64_e32 vcc, 0, v[0:1]
	v_cndmask_b32_e64 v2, 0, 1, vcc
	s_mov_b64 s[6:7], -1
	global_store_byte v[16:17], v2, off
.LBB23_2884:
	s_mov_b64 s[0:1], 0
.LBB23_2885:
	s_and_b64 vcc, exec, s[0:1]
	s_cbranch_vccz .LBB23_2924
; %bb.2886:
	v_mov_b32_e32 v2, 5
	v_cmp_lt_i16_sdwa s[2:3], s18, v2 src0_sel:BYTE_0 src1_sel:DWORD
	s_mov_b64 s[0:1], -1
	s_and_b64 vcc, exec, s[2:3]
	s_cbranch_vccnz .LBB23_2907
; %bb.2887:
	v_mov_b32_e32 v2, 8
	v_cmp_lt_i16_sdwa s[2:3], s18, v2 src0_sel:BYTE_0 src1_sel:DWORD
	s_and_b64 vcc, exec, s[2:3]
	s_cbranch_vccnz .LBB23_2897
; %bb.2888:
	v_mov_b32_e32 v2, 9
	v_cmp_lt_i16_sdwa s[2:3], s18, v2 src0_sel:BYTE_0 src1_sel:DWORD
	s_and_b64 vcc, exec, s[2:3]
	s_cbranch_vccnz .LBB23_2894
; %bb.2889:
	v_cmp_gt_i16_sdwa s[2:3], s18, v2 src0_sel:BYTE_0 src1_sel:DWORD
	s_and_b64 vcc, exec, s[2:3]
	s_cbranch_vccz .LBB23_2891
; %bb.2890:
	v_mov_b32_e32 v2, 0
	v_mov_b32_e32 v3, v2
	global_store_dwordx4 v[16:17], v[0:3], off
	s_mov_b64 s[0:1], 0
.LBB23_2891:
	s_andn2_b64 vcc, exec, s[0:1]
	s_cbranch_vccnz .LBB23_2893
; %bb.2892:
	v_cvt_f32_f64_e32 v2, v[0:1]
	v_mov_b32_e32 v3, 0
	global_store_dwordx2 v[16:17], v[2:3], off
.LBB23_2893:
	s_mov_b64 s[0:1], 0
.LBB23_2894:
	s_andn2_b64 vcc, exec, s[0:1]
	s_cbranch_vccnz .LBB23_2896
; %bb.2895:
	v_cvt_f32_f64_e32 v2, v[0:1]
	v_cvt_f16_f32_e32 v2, v2
	global_store_dword v[16:17], v2, off
.LBB23_2896:
	s_mov_b64 s[0:1], 0
.LBB23_2897:
	s_andn2_b64 vcc, exec, s[0:1]
	s_cbranch_vccnz .LBB23_2906
; %bb.2898:
	v_mov_b32_e32 v2, 6
	v_cmp_lt_i16_sdwa s[2:3], s18, v2 src0_sel:BYTE_0 src1_sel:DWORD
	s_mov_b64 s[0:1], -1
	s_and_b64 vcc, exec, s[2:3]
	s_cbranch_vccnz .LBB23_2904
; %bb.2899:
	v_cmp_gt_i16_sdwa s[2:3], s18, v2 src0_sel:BYTE_0 src1_sel:DWORD
	s_and_b64 vcc, exec, s[2:3]
	s_cbranch_vccz .LBB23_2901
; %bb.2900:
	global_store_dwordx2 v[16:17], v[0:1], off
	s_mov_b64 s[0:1], 0
.LBB23_2901:
	s_andn2_b64 vcc, exec, s[0:1]
	s_cbranch_vccnz .LBB23_2903
; %bb.2902:
	v_cvt_f32_f64_e32 v2, v[0:1]
	global_store_dword v[16:17], v2, off
.LBB23_2903:
	s_mov_b64 s[0:1], 0
.LBB23_2904:
	s_andn2_b64 vcc, exec, s[0:1]
	s_cbranch_vccnz .LBB23_2906
; %bb.2905:
	v_cvt_f32_f64_e32 v2, v[0:1]
	v_cvt_f16_f32_e32 v2, v2
	global_store_short v[16:17], v2, off
.LBB23_2906:
	s_mov_b64 s[0:1], 0
.LBB23_2907:
	s_andn2_b64 vcc, exec, s[0:1]
	s_cbranch_vccnz .LBB23_2923
; %bb.2908:
	v_mov_b32_e32 v2, 2
	v_cmp_lt_i16_sdwa s[2:3], s18, v2 src0_sel:BYTE_0 src1_sel:DWORD
	s_mov_b64 s[0:1], -1
	s_and_b64 vcc, exec, s[2:3]
	s_cbranch_vccnz .LBB23_2918
; %bb.2909:
	v_mov_b32_e32 v2, 3
	v_cmp_lt_i16_sdwa s[2:3], s18, v2 src0_sel:BYTE_0 src1_sel:DWORD
	s_and_b64 vcc, exec, s[2:3]
	s_cbranch_vccnz .LBB23_2915
; %bb.2910:
	v_cmp_gt_i16_sdwa s[2:3], s18, v2 src0_sel:BYTE_0 src1_sel:DWORD
	s_and_b64 vcc, exec, s[2:3]
	s_cbranch_vccz .LBB23_2912
; %bb.2911:
	v_trunc_f64_e32 v[2:3], v[0:1]
	s_movk_i32 s0, 0xffe0
	v_ldexp_f64 v[18:19], v[2:3], s0
	v_floor_f64_e32 v[18:19], v[18:19]
	v_fmac_f64_e32 v[2:3], 0xc1f00000, v[18:19]
	v_cvt_i32_f64_e32 v21, v[18:19]
	v_cvt_u32_f64_e32 v20, v[2:3]
	global_store_dwordx2 v[16:17], v[20:21], off
	s_mov_b64 s[0:1], 0
.LBB23_2912:
	s_andn2_b64 vcc, exec, s[0:1]
	s_cbranch_vccnz .LBB23_2914
; %bb.2913:
	v_cvt_i32_f64_e32 v2, v[0:1]
	global_store_dword v[16:17], v2, off
.LBB23_2914:
	s_mov_b64 s[0:1], 0
.LBB23_2915:
	s_andn2_b64 vcc, exec, s[0:1]
	s_cbranch_vccnz .LBB23_2917
; %bb.2916:
	v_cvt_i32_f64_e32 v2, v[0:1]
	global_store_short v[16:17], v2, off
.LBB23_2917:
	s_mov_b64 s[0:1], 0
.LBB23_2918:
	s_andn2_b64 vcc, exec, s[0:1]
	s_cbranch_vccnz .LBB23_2923
; %bb.2919:
	v_mov_b32_e32 v2, 0
	v_cmp_gt_i16_sdwa s[2:3], s18, v2 src0_sel:BYTE_0 src1_sel:DWORD
	s_mov_b64 s[0:1], -1
	s_and_b64 vcc, exec, s[2:3]
	s_cbranch_vccz .LBB23_2921
; %bb.2920:
	v_cvt_i32_f64_e32 v2, v[0:1]
	global_store_byte v[16:17], v2, off
	s_mov_b64 s[0:1], 0
.LBB23_2921:
	s_andn2_b64 vcc, exec, s[0:1]
	s_cbranch_vccnz .LBB23_2923
; %bb.2922:
	v_trunc_f64_e32 v[0:1], v[0:1]
	s_movk_i32 s0, 0xffe0
	v_ldexp_f64 v[2:3], v[0:1], s0
	v_floor_f64_e32 v[2:3], v[2:3]
	v_fmac_f64_e32 v[0:1], 0xc1f00000, v[2:3]
	v_cvt_u32_f64_e32 v0, v[0:1]
	global_store_byte v[16:17], v0, off
.LBB23_2923:
	s_mov_b64 s[6:7], -1
.LBB23_2924:
	s_andn2_b64 vcc, exec, s[6:7]
	s_cbranch_vccnz .LBB23_3255
; %bb.2925:
	v_mov_b32_e32 v1, s9
	v_add_co_u32_e32 v0, vcc, s8, v6
	v_mov_b32_e32 v2, 11
	v_addc_co_u32_e32 v1, vcc, 0, v1, vcc
	v_cmp_lt_i16_sdwa s[0:1], s18, v2 src0_sel:BYTE_0 src1_sel:DWORD
	s_and_b64 vcc, exec, s[0:1]
	s_cbranch_vccnz .LBB23_2932
; %bb.2926:
	v_mov_b32_e32 v2, 25
	v_cmp_gt_i16_sdwa s[0:1], s18, v2 src0_sel:BYTE_0 src1_sel:DWORD
	s_mov_b64 s[10:11], -1
	s_mov_b64 s[2:3], 0
	s_and_b64 vcc, exec, s[0:1]
	s_mov_b64 s[6:7], 0
	s_mov_b64 s[0:1], 0
	s_cbranch_vccz .LBB23_2968
; %bb.2927:
	v_mov_b32_e32 v2, 28
	v_cmp_gt_i16_sdwa s[0:1], s18, v2 src0_sel:BYTE_0 src1_sel:DWORD
	s_and_b64 vcc, exec, s[0:1]
	s_cbranch_vccz .LBB23_2933
; %bb.2928:
	v_mov_b32_e32 v2, 43
	v_cmp_gt_i16_sdwa s[0:1], s18, v2 src0_sel:BYTE_0 src1_sel:DWORD
	s_and_b64 vcc, exec, s[0:1]
	;; [unrolled: 5-line block ×3, first 2 shown]
	s_cbranch_vccz .LBB23_2940
; %bb.2930:
	v_mov_b32_e32 v2, 46
	v_cmp_eq_u16_sdwa s[6:7], s18, v2 src0_sel:BYTE_0 src1_sel:DWORD
	s_mov_b64 s[0:1], -1
	s_mov_b64 s[10:11], 0
	s_and_b64 vcc, exec, s[6:7]
	s_mov_b64 s[6:7], 0
	s_cbranch_vccz .LBB23_2941
; %bb.2931:
	v_cvt_f32_f64_e32 v2, v[4:5]
	v_bfe_u32 v3, v2, 16, 1
	s_movk_i32 s0, 0x7fff
	v_add3_u32 v3, v2, v3, s0
	v_lshrrev_b32_e32 v3, 16, v3
	v_mov_b32_e32 v6, 0x7fc0
	v_cmp_o_f32_e32 vcc, v2, v2
	v_cndmask_b32_e32 v2, v6, v3, vcc
	global_store_dword v[0:1], v2, off
	s_mov_b64 s[0:1], 0
	s_mov_b64 s[6:7], -1
	s_branch .LBB23_2941
.LBB23_2932:
	s_mov_b64 s[0:1], -1
	s_mov_b64 s[6:7], 0
	s_branch .LBB23_3012
.LBB23_2933:
	s_mov_b64 s[0:1], 0
	s_branch .LBB23_2951
.LBB23_2934:
	s_or_saveexec_b64 s[16:17], s[16:17]
                                        ; implicit-def: $sgpr19
	s_xor_b64 exec, exec, s[16:17]
	s_cbranch_execz .LBB23_2835
.LBB23_2935:
	s_mov_b32 s19, 0x46000000
	v_add_f32_e64 v3, |v2|, s19
	v_and_b32_e32 v3, 0xff, v3
	v_cmp_ne_u32_e32 vcc, 0, v3
	s_andn2_b64 s[10:11], s[10:11], exec
	s_and_b64 s[20:21], vcc, exec
	s_mov_b32 s19, 0
	s_or_b64 s[10:11], s[10:11], s[20:21]
	s_or_b64 exec, exec, s[16:17]
	v_mov_b32_e32 v7, s19
	s_and_saveexec_b64 s[16:17], s[10:11]
	s_cbranch_execnz .LBB23_2836
	s_branch .LBB23_2837
.LBB23_2936:
	s_mov_b64 s[0:1], 0
	s_branch .LBB23_2947
.LBB23_2937:
	s_trap 2
	s_or_b64 s[4:5], s[4:5], exec
	s_cbranch_execz .LBB23_2883
	s_branch .LBB23_2884
.LBB23_2938:
	s_or_saveexec_b64 s[10:11], s[10:11]
                                        ; implicit-def: $sgpr16
	s_xor_b64 exec, exec, s[10:11]
	s_cbranch_execz .LBB23_2848
.LBB23_2939:
	s_mov_b32 s16, 0x42800000
	v_add_f32_e64 v3, |v2|, s16
	v_and_b32_e32 v3, 0xff, v3
	v_cmp_ne_u32_e32 vcc, 0, v3
	s_andn2_b64 s[6:7], s[6:7], exec
	s_and_b64 s[20:21], vcc, exec
	s_mov_b32 s16, 0
	s_or_b64 s[6:7], s[6:7], s[20:21]
	s_or_b64 exec, exec, s[10:11]
	v_mov_b32_e32 v7, s16
	s_and_saveexec_b64 s[10:11], s[6:7]
	s_cbranch_execnz .LBB23_2849
	s_branch .LBB23_2850
.LBB23_2940:
	s_mov_b64 s[0:1], 0
.LBB23_2941:
	s_and_b64 vcc, exec, s[10:11]
	s_cbranch_vccz .LBB23_2946
; %bb.2942:
	v_mov_b32_e32 v2, 44
	v_cmp_eq_u16_sdwa s[10:11], s18, v2 src0_sel:BYTE_0 src1_sel:DWORD
	s_mov_b64 s[0:1], -1
	s_and_b64 vcc, exec, s[10:11]
	s_cbranch_vccz .LBB23_2946
; %bb.2943:
	v_cvt_f32_f64_e32 v2, v[4:5]
	v_bfe_u32 v3, v2, 23, 8
	s_movk_i32 s0, 0xff
	v_cmp_ne_u32_e32 vcc, s0, v3
	v_mov_b32_e32 v6, 0xff
	s_and_saveexec_b64 s[6:7], vcc
; %bb.2944:
	s_mov_b32 s0, 0x3fffff
	v_lshrrev_b32_e32 v6, 23, v2
	v_and_b32_e32 v7, 0x400000, v2
	v_and_or_b32 v2, v2, s0, v3
	v_cmp_ne_u32_e32 vcc, 0, v7
	v_cmp_ne_u32_e64 s[0:1], 0, v2
	s_and_b64 s[0:1], vcc, s[0:1]
	v_cndmask_b32_e64 v2, 0, 1, s[0:1]
	v_add_u32_e32 v6, v6, v2
; %bb.2945:
	s_or_b64 exec, exec, s[6:7]
	s_mov_b64 s[0:1], 0
	s_mov_b64 s[6:7], -1
	global_store_byte v[0:1], v6, off
.LBB23_2946:
	s_mov_b64 s[10:11], 0
.LBB23_2947:
	s_and_b64 vcc, exec, s[10:11]
	s_cbranch_vccz .LBB23_2950
; %bb.2948:
	v_mov_b32_e32 v2, 29
	v_cmp_eq_u16_sdwa s[10:11], s18, v2 src0_sel:BYTE_0 src1_sel:DWORD
	s_mov_b64 s[0:1], -1
	s_and_b64 vcc, exec, s[10:11]
	s_cbranch_vccz .LBB23_2950
; %bb.2949:
	v_trunc_f64_e32 v[2:3], v[4:5]
	s_movk_i32 s0, 0xffe0
	v_ldexp_f64 v[6:7], v[2:3], s0
	v_floor_f64_e32 v[6:7], v[6:7]
	v_fmac_f64_e32 v[2:3], 0xc1f00000, v[6:7]
	v_cvt_u32_f64_e32 v17, v[6:7]
	v_cvt_u32_f64_e32 v16, v[2:3]
	global_store_dwordx2 v[0:1], v[16:17], off
	s_mov_b64 s[0:1], 0
	s_mov_b64 s[6:7], -1
.LBB23_2950:
	s_mov_b64 s[10:11], 0
.LBB23_2951:
	s_and_b64 vcc, exec, s[10:11]
	s_cbranch_vccz .LBB23_2967
; %bb.2952:
	v_mov_b32_e32 v2, 27
	v_cmp_lt_i16_sdwa s[10:11], s18, v2 src0_sel:BYTE_0 src1_sel:DWORD
	s_mov_b64 s[6:7], -1
	s_and_b64 vcc, exec, s[10:11]
	s_cbranch_vccnz .LBB23_2958
; %bb.2953:
	v_cmp_gt_i16_sdwa s[10:11], s18, v2 src0_sel:BYTE_0 src1_sel:DWORD
	s_and_b64 vcc, exec, s[10:11]
	s_cbranch_vccz .LBB23_2955
; %bb.2954:
	v_cvt_u32_f64_e32 v2, v[4:5]
	s_mov_b64 s[6:7], 0
	global_store_dword v[0:1], v2, off
.LBB23_2955:
	s_andn2_b64 vcc, exec, s[6:7]
	s_cbranch_vccnz .LBB23_2957
; %bb.2956:
	v_cvt_u32_f64_e32 v2, v[4:5]
	global_store_short v[0:1], v2, off
.LBB23_2957:
	s_mov_b64 s[6:7], 0
.LBB23_2958:
	s_andn2_b64 vcc, exec, s[6:7]
	s_cbranch_vccnz .LBB23_2966
; %bb.2959:
	v_cvt_f32_f64_e32 v2, v[4:5]
	v_and_b32_e32 v3, 0x7fffffff, v2
	s_mov_b32 s6, 0x43800000
	v_cmp_gt_u32_e32 vcc, s6, v3
	v_mov_b32_e32 v6, 0x80
	s_and_saveexec_b64 s[6:7], vcc
	s_cbranch_execz .LBB23_2965
; %bb.2960:
	s_mov_b32 s10, 0x3bffffff
	v_cmp_lt_u32_e32 vcc, s10, v3
	s_mov_b64 s[10:11], 0
                                        ; implicit-def: $vgpr3
	s_and_saveexec_b64 s[16:17], vcc
	s_xor_b64 s[16:17], exec, s[16:17]
	s_cbranch_execz .LBB23_3061
; %bb.2961:
	v_bfe_u32 v3, v2, 20, 1
	s_mov_b32 s19, 0x487ffff
	v_add3_u32 v3, v2, v3, s19
	s_mov_b64 s[10:11], exec
	v_lshrrev_b32_e32 v3, 20, v3
	s_or_saveexec_b64 s[16:17], s[16:17]
                                        ; implicit-def: $sgpr19
	s_xor_b64 exec, exec, s[16:17]
	s_cbranch_execnz .LBB23_3062
.LBB23_2962:
	s_or_b64 exec, exec, s[16:17]
	v_mov_b32_e32 v6, s19
	s_and_saveexec_b64 s[16:17], s[10:11]
.LBB23_2963:
	v_lshrrev_b32_e32 v2, 24, v2
	s_movk_i32 s10, 0x80
	v_and_or_b32 v6, v2, s10, v3
.LBB23_2964:
	s_or_b64 exec, exec, s[16:17]
.LBB23_2965:
	s_or_b64 exec, exec, s[6:7]
	global_store_byte v[0:1], v6, off
.LBB23_2966:
	s_mov_b64 s[6:7], -1
.LBB23_2967:
	s_mov_b64 s[10:11], 0
.LBB23_2968:
	s_and_b64 vcc, exec, s[10:11]
	s_cbranch_vccz .LBB23_3008
; %bb.2969:
	v_mov_b32_e32 v2, 22
	v_cmp_gt_i16_sdwa s[10:11], s18, v2 src0_sel:BYTE_0 src1_sel:DWORD
	s_mov_b64 s[2:3], -1
	s_and_b64 vcc, exec, s[10:11]
	s_cbranch_vccz .LBB23_3001
; %bb.2970:
	v_mov_b32_e32 v2, 24
	v_cmp_lt_i16_sdwa s[6:7], s18, v2 src0_sel:BYTE_0 src1_sel:DWORD
	s_and_b64 vcc, exec, s[6:7]
	s_cbranch_vccnz .LBB23_2990
; %bb.2971:
	v_cmp_gt_i16_sdwa s[6:7], s18, v2 src0_sel:BYTE_0 src1_sel:DWORD
	s_and_b64 vcc, exec, s[6:7]
	s_cbranch_vccz .LBB23_2979
; %bb.2972:
	v_cvt_f32_f64_e32 v2, v[4:5]
	v_and_b32_e32 v3, 0x7fffffff, v2
	s_mov_b32 s2, 0x47800000
	v_cmp_gt_u32_e32 vcc, s2, v3
	v_mov_b32_e32 v6, 0x80
	s_and_saveexec_b64 s[2:3], vcc
	s_cbranch_execz .LBB23_2978
; %bb.2973:
	s_mov_b32 s6, 0x37ffffff
	v_cmp_lt_u32_e32 vcc, s6, v3
	s_mov_b64 s[6:7], 0
                                        ; implicit-def: $vgpr3
	s_and_saveexec_b64 s[10:11], vcc
	s_xor_b64 s[10:11], exec, s[10:11]
	s_cbranch_execz .LBB23_3065
; %bb.2974:
	v_bfe_u32 v3, v2, 21, 1
	s_mov_b32 s16, 0x88fffff
	v_add3_u32 v3, v2, v3, s16
	s_mov_b64 s[6:7], exec
	v_lshrrev_b32_e32 v3, 21, v3
	s_or_saveexec_b64 s[10:11], s[10:11]
                                        ; implicit-def: $sgpr16
	s_xor_b64 exec, exec, s[10:11]
	s_cbranch_execnz .LBB23_3066
.LBB23_2975:
	s_or_b64 exec, exec, s[10:11]
	v_mov_b32_e32 v6, s16
	s_and_saveexec_b64 s[10:11], s[6:7]
.LBB23_2976:
	v_lshrrev_b32_e32 v2, 24, v2
	s_movk_i32 s6, 0x80
	v_and_or_b32 v6, v2, s6, v3
.LBB23_2977:
	s_or_b64 exec, exec, s[10:11]
.LBB23_2978:
	s_or_b64 exec, exec, s[2:3]
	s_mov_b64 s[2:3], 0
	global_store_byte v[0:1], v6, off
.LBB23_2979:
	s_and_b64 vcc, exec, s[2:3]
	s_cbranch_vccz .LBB23_2989
; %bb.2980:
	v_cvt_f32_f64_e32 v2, v[4:5]
	v_and_b32_e32 v6, 0x7fffffff, v2
	s_mov_b32 s2, 0x43f00000
	v_cmp_gt_u32_e32 vcc, s2, v6
                                        ; implicit-def: $vgpr3
	s_and_saveexec_b64 s[2:3], vcc
	s_xor_b64 s[2:3], exec, s[2:3]
	s_cbranch_execz .LBB23_2986
; %bb.2981:
	s_mov_b32 s6, 0x3c7fffff
	v_cmp_lt_u32_e32 vcc, s6, v6
                                        ; implicit-def: $vgpr3
	s_and_saveexec_b64 s[6:7], vcc
	s_xor_b64 s[6:7], exec, s[6:7]
; %bb.2982:
	v_bfe_u32 v3, v2, 20, 1
	s_mov_b32 s10, 0x407ffff
	v_add3_u32 v3, v2, v3, s10
	v_lshrrev_b32_e32 v6, 20, v3
	v_and_b32_e32 v3, 0xff00000, v3
	s_mov_b32 s10, 0x7f00000
	v_mov_b32_e32 v7, 0x7e
	v_cmp_ne_u32_e32 vcc, s10, v3
	v_cndmask_b32_e32 v3, v7, v6, vcc
; %bb.2983:
	s_andn2_saveexec_b64 s[6:7], s[6:7]
; %bb.2984:
	s_mov_b32 s10, 0x46800000
	v_add_f32_e64 v3, |v2|, s10
; %bb.2985:
	s_or_b64 exec, exec, s[6:7]
                                        ; implicit-def: $vgpr6
.LBB23_2986:
	s_andn2_saveexec_b64 s[2:3], s[2:3]
; %bb.2987:
	s_mov_b32 s6, 0x7f800000
	v_mov_b32_e32 v3, 0x7e
	v_mov_b32_e32 v7, 0x7f
	v_cmp_lt_u32_e32 vcc, s6, v6
	v_cndmask_b32_e32 v3, v3, v7, vcc
; %bb.2988:
	s_or_b64 exec, exec, s[2:3]
	v_lshrrev_b32_e32 v2, 24, v2
	s_movk_i32 s2, 0x80
	v_and_or_b32 v2, v2, s2, v3
	global_store_byte v[0:1], v2, off
.LBB23_2989:
	s_mov_b64 s[2:3], 0
.LBB23_2990:
	s_andn2_b64 vcc, exec, s[2:3]
	s_cbranch_vccnz .LBB23_3000
; %bb.2991:
	v_cvt_f32_f64_e32 v2, v[4:5]
	v_and_b32_e32 v6, 0x7fffffff, v2
	s_mov_b32 s2, 0x47800000
	v_cmp_gt_u32_e32 vcc, s2, v6
                                        ; implicit-def: $vgpr3
	s_and_saveexec_b64 s[2:3], vcc
	s_xor_b64 s[2:3], exec, s[2:3]
	s_cbranch_execz .LBB23_2997
; %bb.2992:
	s_mov_b32 s6, 0x387fffff
	v_cmp_lt_u32_e32 vcc, s6, v6
                                        ; implicit-def: $vgpr3
	s_and_saveexec_b64 s[6:7], vcc
	s_xor_b64 s[6:7], exec, s[6:7]
; %bb.2993:
	v_bfe_u32 v3, v2, 21, 1
	s_mov_b32 s10, 0x80fffff
	v_add3_u32 v3, v2, v3, s10
	v_lshrrev_b32_e32 v3, 21, v3
; %bb.2994:
	s_andn2_saveexec_b64 s[6:7], s[6:7]
; %bb.2995:
	s_mov_b32 s10, 0x43000000
	v_add_f32_e64 v3, |v2|, s10
; %bb.2996:
	s_or_b64 exec, exec, s[6:7]
                                        ; implicit-def: $vgpr6
.LBB23_2997:
	s_andn2_saveexec_b64 s[2:3], s[2:3]
; %bb.2998:
	s_mov_b32 s6, 0x7f800000
	v_mov_b32_e32 v3, 0x7c
	v_mov_b32_e32 v7, 0x7f
	v_cmp_lt_u32_e32 vcc, s6, v6
	v_cndmask_b32_e32 v3, v3, v7, vcc
; %bb.2999:
	s_or_b64 exec, exec, s[2:3]
	v_lshrrev_b32_e32 v2, 24, v2
	s_movk_i32 s2, 0x80
	v_and_or_b32 v2, v2, s2, v3
	global_store_byte v[0:1], v2, off
.LBB23_3000:
	s_mov_b64 s[2:3], 0
	s_mov_b64 s[6:7], -1
.LBB23_3001:
	s_andn2_b64 vcc, exec, s[2:3]
	s_mov_b64 s[2:3], 0
	s_cbranch_vccnz .LBB23_3008
; %bb.3002:
	v_mov_b32_e32 v2, 14
	v_cmp_gt_i16_sdwa s[2:3], s18, v2 src0_sel:BYTE_0 src1_sel:DWORD
	s_mov_b64 s[10:11], -1
	s_and_b64 vcc, exec, s[2:3]
	s_cbranch_vccz .LBB23_3006
; %bb.3003:
	v_mov_b32_e32 v2, 15
	v_cmp_eq_u16_sdwa s[2:3], s18, v2 src0_sel:BYTE_0 src1_sel:DWORD
	s_mov_b64 s[0:1], -1
	s_and_b64 vcc, exec, s[2:3]
	s_cbranch_vccz .LBB23_3005
; %bb.3004:
	v_cvt_f32_f64_e32 v2, v[4:5]
	v_bfe_u32 v3, v2, 16, 1
	s_movk_i32 s0, 0x7fff
	v_add3_u32 v3, v2, v3, s0
	v_lshrrev_b32_e32 v3, 16, v3
	v_mov_b32_e32 v6, 0x7fc0
	v_cmp_o_f32_e32 vcc, v2, v2
	v_cndmask_b32_e32 v2, v6, v3, vcc
	global_store_short v[0:1], v2, off
	s_mov_b64 s[0:1], 0
	s_mov_b64 s[6:7], -1
.LBB23_3005:
	s_mov_b64 s[10:11], 0
.LBB23_3006:
	s_mov_b64 s[2:3], 0
	s_and_b64 vcc, exec, s[10:11]
	s_cbranch_vccz .LBB23_3008
; %bb.3007:
	v_mov_b32_e32 v2, 11
	v_cmp_ne_u16_sdwa s[0:1], s18, v2 src0_sel:BYTE_0 src1_sel:DWORD
	s_mov_b64 s[2:3], -1
.LBB23_3008:
	s_and_b64 vcc, exec, s[0:1]
	s_cbranch_vccnz .LBB23_3064
; %bb.3009:
	s_andn2_b64 vcc, exec, s[2:3]
	s_cbranch_vccnz .LBB23_3011
.LBB23_3010:
	v_cmp_neq_f64_e32 vcc, 0, v[4:5]
	v_cndmask_b32_e64 v2, 0, 1, vcc
	s_mov_b64 s[6:7], -1
	global_store_byte v[0:1], v2, off
.LBB23_3011:
	s_mov_b64 s[0:1], 0
.LBB23_3012:
	s_and_b64 vcc, exec, s[0:1]
	s_cbranch_vccz .LBB23_3051
; %bb.3013:
	v_mov_b32_e32 v2, 5
	v_cmp_lt_i16_sdwa s[2:3], s18, v2 src0_sel:BYTE_0 src1_sel:DWORD
	s_mov_b64 s[0:1], -1
	s_and_b64 vcc, exec, s[2:3]
	s_cbranch_vccnz .LBB23_3034
; %bb.3014:
	v_mov_b32_e32 v2, 8
	v_cmp_lt_i16_sdwa s[2:3], s18, v2 src0_sel:BYTE_0 src1_sel:DWORD
	s_and_b64 vcc, exec, s[2:3]
	s_cbranch_vccnz .LBB23_3024
; %bb.3015:
	v_mov_b32_e32 v2, 9
	v_cmp_lt_i16_sdwa s[2:3], s18, v2 src0_sel:BYTE_0 src1_sel:DWORD
	s_and_b64 vcc, exec, s[2:3]
	s_cbranch_vccnz .LBB23_3021
; %bb.3016:
	v_cmp_gt_i16_sdwa s[2:3], s18, v2 src0_sel:BYTE_0 src1_sel:DWORD
	s_and_b64 vcc, exec, s[2:3]
	s_cbranch_vccz .LBB23_3018
; %bb.3017:
	v_mov_b32_e32 v6, 0
	v_mov_b32_e32 v7, v6
	global_store_dwordx4 v[0:1], v[4:7], off
	s_mov_b64 s[0:1], 0
.LBB23_3018:
	s_andn2_b64 vcc, exec, s[0:1]
	s_cbranch_vccnz .LBB23_3020
; %bb.3019:
	v_cvt_f32_f64_e32 v2, v[4:5]
	v_mov_b32_e32 v3, 0
	global_store_dwordx2 v[0:1], v[2:3], off
.LBB23_3020:
	s_mov_b64 s[0:1], 0
.LBB23_3021:
	s_andn2_b64 vcc, exec, s[0:1]
	s_cbranch_vccnz .LBB23_3023
; %bb.3022:
	v_cvt_f32_f64_e32 v2, v[4:5]
	v_cvt_f16_f32_e32 v2, v2
	global_store_dword v[0:1], v2, off
.LBB23_3023:
	s_mov_b64 s[0:1], 0
.LBB23_3024:
	s_andn2_b64 vcc, exec, s[0:1]
	s_cbranch_vccnz .LBB23_3033
; %bb.3025:
	v_mov_b32_e32 v2, 6
	v_cmp_lt_i16_sdwa s[2:3], s18, v2 src0_sel:BYTE_0 src1_sel:DWORD
	s_mov_b64 s[0:1], -1
	s_and_b64 vcc, exec, s[2:3]
	s_cbranch_vccnz .LBB23_3031
; %bb.3026:
	v_cmp_gt_i16_sdwa s[2:3], s18, v2 src0_sel:BYTE_0 src1_sel:DWORD
	s_and_b64 vcc, exec, s[2:3]
	s_cbranch_vccz .LBB23_3028
; %bb.3027:
	global_store_dwordx2 v[0:1], v[4:5], off
	s_mov_b64 s[0:1], 0
.LBB23_3028:
	s_andn2_b64 vcc, exec, s[0:1]
	s_cbranch_vccnz .LBB23_3030
; %bb.3029:
	v_cvt_f32_f64_e32 v2, v[4:5]
	global_store_dword v[0:1], v2, off
.LBB23_3030:
	s_mov_b64 s[0:1], 0
.LBB23_3031:
	s_andn2_b64 vcc, exec, s[0:1]
	s_cbranch_vccnz .LBB23_3033
; %bb.3032:
	v_cvt_f32_f64_e32 v2, v[4:5]
	v_cvt_f16_f32_e32 v2, v2
	global_store_short v[0:1], v2, off
.LBB23_3033:
	s_mov_b64 s[0:1], 0
.LBB23_3034:
	s_andn2_b64 vcc, exec, s[0:1]
	s_cbranch_vccnz .LBB23_3050
; %bb.3035:
	v_mov_b32_e32 v2, 2
	v_cmp_lt_i16_sdwa s[2:3], s18, v2 src0_sel:BYTE_0 src1_sel:DWORD
	s_mov_b64 s[0:1], -1
	s_and_b64 vcc, exec, s[2:3]
	s_cbranch_vccnz .LBB23_3045
; %bb.3036:
	v_mov_b32_e32 v2, 3
	v_cmp_lt_i16_sdwa s[2:3], s18, v2 src0_sel:BYTE_0 src1_sel:DWORD
	s_and_b64 vcc, exec, s[2:3]
	s_cbranch_vccnz .LBB23_3042
; %bb.3037:
	v_cmp_gt_i16_sdwa s[2:3], s18, v2 src0_sel:BYTE_0 src1_sel:DWORD
	s_and_b64 vcc, exec, s[2:3]
	s_cbranch_vccz .LBB23_3039
; %bb.3038:
	v_trunc_f64_e32 v[2:3], v[4:5]
	s_movk_i32 s0, 0xffe0
	v_ldexp_f64 v[6:7], v[2:3], s0
	v_floor_f64_e32 v[6:7], v[6:7]
	v_fmac_f64_e32 v[2:3], 0xc1f00000, v[6:7]
	v_cvt_i32_f64_e32 v17, v[6:7]
	v_cvt_u32_f64_e32 v16, v[2:3]
	global_store_dwordx2 v[0:1], v[16:17], off
	s_mov_b64 s[0:1], 0
.LBB23_3039:
	s_andn2_b64 vcc, exec, s[0:1]
	s_cbranch_vccnz .LBB23_3041
; %bb.3040:
	v_cvt_i32_f64_e32 v2, v[4:5]
	global_store_dword v[0:1], v2, off
.LBB23_3041:
	s_mov_b64 s[0:1], 0
.LBB23_3042:
	s_andn2_b64 vcc, exec, s[0:1]
	s_cbranch_vccnz .LBB23_3044
; %bb.3043:
	v_cvt_i32_f64_e32 v2, v[4:5]
	global_store_short v[0:1], v2, off
.LBB23_3044:
	s_mov_b64 s[0:1], 0
.LBB23_3045:
	s_andn2_b64 vcc, exec, s[0:1]
	s_cbranch_vccnz .LBB23_3050
; %bb.3046:
	v_mov_b32_e32 v2, 0
	v_cmp_gt_i16_sdwa s[2:3], s18, v2 src0_sel:BYTE_0 src1_sel:DWORD
	s_mov_b64 s[0:1], -1
	s_and_b64 vcc, exec, s[2:3]
	s_cbranch_vccz .LBB23_3048
; %bb.3047:
	v_cvt_i32_f64_e32 v2, v[4:5]
	global_store_byte v[0:1], v2, off
	s_mov_b64 s[0:1], 0
.LBB23_3048:
	s_andn2_b64 vcc, exec, s[0:1]
	s_cbranch_vccnz .LBB23_3050
; %bb.3049:
	v_trunc_f64_e32 v[2:3], v[4:5]
	s_movk_i32 s0, 0xffe0
	v_ldexp_f64 v[4:5], v[2:3], s0
	v_floor_f64_e32 v[4:5], v[4:5]
	v_fmac_f64_e32 v[2:3], 0xc1f00000, v[4:5]
	v_cvt_u32_f64_e32 v2, v[2:3]
	global_store_byte v[0:1], v2, off
.LBB23_3050:
	s_mov_b64 s[6:7], -1
.LBB23_3051:
	s_andn2_b64 vcc, exec, s[6:7]
	s_cbranch_vccnz .LBB23_3255
; %bb.3052:
	v_mov_b32_e32 v1, s9
	v_add_co_u32_e32 v0, vcc, s8, v10
	v_mov_b32_e32 v2, 11
	v_addc_co_u32_e32 v1, vcc, 0, v1, vcc
	v_cmp_lt_i16_sdwa s[0:1], s18, v2 src0_sel:BYTE_0 src1_sel:DWORD
	s_and_b64 vcc, exec, s[0:1]
	s_cbranch_vccnz .LBB23_3059
; %bb.3053:
	v_mov_b32_e32 v2, 25
	v_cmp_gt_i16_sdwa s[0:1], s18, v2 src0_sel:BYTE_0 src1_sel:DWORD
	s_mov_b64 s[10:11], -1
	s_mov_b64 s[2:3], 0
	s_and_b64 vcc, exec, s[0:1]
	s_mov_b64 s[6:7], 0
	s_mov_b64 s[0:1], 0
	s_cbranch_vccz .LBB23_3095
; %bb.3054:
	v_mov_b32_e32 v2, 28
	v_cmp_gt_i16_sdwa s[0:1], s18, v2 src0_sel:BYTE_0 src1_sel:DWORD
	s_and_b64 vcc, exec, s[0:1]
	s_cbranch_vccz .LBB23_3060
; %bb.3055:
	v_mov_b32_e32 v2, 43
	v_cmp_gt_i16_sdwa s[0:1], s18, v2 src0_sel:BYTE_0 src1_sel:DWORD
	s_and_b64 vcc, exec, s[0:1]
	s_cbranch_vccz .LBB23_3063
; %bb.3056:
	v_mov_b32_e32 v2, 45
	v_cmp_gt_i16_sdwa s[0:1], s18, v2 src0_sel:BYTE_0 src1_sel:DWORD
	s_and_b64 vcc, exec, s[0:1]
	s_cbranch_vccz .LBB23_3067
; %bb.3057:
	v_mov_b32_e32 v2, 46
	v_cmp_eq_u16_sdwa s[6:7], s18, v2 src0_sel:BYTE_0 src1_sel:DWORD
	s_mov_b64 s[0:1], -1
	s_mov_b64 s[10:11], 0
	s_and_b64 vcc, exec, s[6:7]
	s_mov_b64 s[6:7], 0
	s_cbranch_vccz .LBB23_3068
; %bb.3058:
	v_cvt_f32_f64_e32 v2, v[8:9]
	v_bfe_u32 v3, v2, 16, 1
	s_movk_i32 s0, 0x7fff
	v_add3_u32 v3, v2, v3, s0
	v_lshrrev_b32_e32 v3, 16, v3
	v_mov_b32_e32 v4, 0x7fc0
	v_cmp_o_f32_e32 vcc, v2, v2
	v_cndmask_b32_e32 v2, v4, v3, vcc
	global_store_dword v[0:1], v2, off
	s_mov_b64 s[0:1], 0
	s_mov_b64 s[6:7], -1
	s_branch .LBB23_3068
.LBB23_3059:
	s_mov_b64 s[0:1], -1
	s_mov_b64 s[6:7], 0
	s_branch .LBB23_3139
.LBB23_3060:
	s_mov_b64 s[0:1], 0
	s_branch .LBB23_3078
.LBB23_3061:
	s_or_saveexec_b64 s[16:17], s[16:17]
                                        ; implicit-def: $sgpr19
	s_xor_b64 exec, exec, s[16:17]
	s_cbranch_execz .LBB23_2962
.LBB23_3062:
	s_mov_b32 s19, 0x46000000
	v_add_f32_e64 v3, |v2|, s19
	v_and_b32_e32 v3, 0xff, v3
	v_cmp_ne_u32_e32 vcc, 0, v3
	s_andn2_b64 s[10:11], s[10:11], exec
	s_and_b64 s[20:21], vcc, exec
	s_mov_b32 s19, 0
	s_or_b64 s[10:11], s[10:11], s[20:21]
	s_or_b64 exec, exec, s[16:17]
	v_mov_b32_e32 v6, s19
	s_and_saveexec_b64 s[16:17], s[10:11]
	s_cbranch_execnz .LBB23_2963
	s_branch .LBB23_2964
.LBB23_3063:
	s_mov_b64 s[0:1], 0
	s_branch .LBB23_3074
.LBB23_3064:
	s_trap 2
	s_or_b64 s[4:5], s[4:5], exec
	s_cbranch_execz .LBB23_3010
	s_branch .LBB23_3011
.LBB23_3065:
	s_or_saveexec_b64 s[10:11], s[10:11]
                                        ; implicit-def: $sgpr16
	s_xor_b64 exec, exec, s[10:11]
	s_cbranch_execz .LBB23_2975
.LBB23_3066:
	s_mov_b32 s16, 0x42800000
	v_add_f32_e64 v3, |v2|, s16
	v_and_b32_e32 v3, 0xff, v3
	v_cmp_ne_u32_e32 vcc, 0, v3
	s_andn2_b64 s[6:7], s[6:7], exec
	s_and_b64 s[20:21], vcc, exec
	s_mov_b32 s16, 0
	s_or_b64 s[6:7], s[6:7], s[20:21]
	s_or_b64 exec, exec, s[10:11]
	v_mov_b32_e32 v6, s16
	s_and_saveexec_b64 s[10:11], s[6:7]
	s_cbranch_execnz .LBB23_2976
	s_branch .LBB23_2977
.LBB23_3067:
	s_mov_b64 s[0:1], 0
.LBB23_3068:
	s_and_b64 vcc, exec, s[10:11]
	s_cbranch_vccz .LBB23_3073
; %bb.3069:
	v_mov_b32_e32 v2, 44
	v_cmp_eq_u16_sdwa s[10:11], s18, v2 src0_sel:BYTE_0 src1_sel:DWORD
	s_mov_b64 s[0:1], -1
	s_and_b64 vcc, exec, s[10:11]
	s_cbranch_vccz .LBB23_3073
; %bb.3070:
	v_cvt_f32_f64_e32 v2, v[8:9]
	v_bfe_u32 v3, v2, 23, 8
	s_movk_i32 s0, 0xff
	v_cmp_ne_u32_e32 vcc, s0, v3
	v_mov_b32_e32 v4, 0xff
	s_and_saveexec_b64 s[6:7], vcc
; %bb.3071:
	s_mov_b32 s0, 0x3fffff
	v_lshrrev_b32_e32 v4, 23, v2
	v_and_b32_e32 v5, 0x400000, v2
	v_and_or_b32 v2, v2, s0, v3
	v_cmp_ne_u32_e32 vcc, 0, v5
	v_cmp_ne_u32_e64 s[0:1], 0, v2
	s_and_b64 s[0:1], vcc, s[0:1]
	v_cndmask_b32_e64 v2, 0, 1, s[0:1]
	v_add_u32_e32 v4, v4, v2
; %bb.3072:
	s_or_b64 exec, exec, s[6:7]
	s_mov_b64 s[0:1], 0
	s_mov_b64 s[6:7], -1
	global_store_byte v[0:1], v4, off
.LBB23_3073:
	s_mov_b64 s[10:11], 0
.LBB23_3074:
	s_and_b64 vcc, exec, s[10:11]
	s_cbranch_vccz .LBB23_3077
; %bb.3075:
	v_mov_b32_e32 v2, 29
	v_cmp_eq_u16_sdwa s[10:11], s18, v2 src0_sel:BYTE_0 src1_sel:DWORD
	s_mov_b64 s[0:1], -1
	s_and_b64 vcc, exec, s[10:11]
	s_cbranch_vccz .LBB23_3077
; %bb.3076:
	v_trunc_f64_e32 v[2:3], v[8:9]
	s_movk_i32 s0, 0xffe0
	v_ldexp_f64 v[4:5], v[2:3], s0
	v_floor_f64_e32 v[4:5], v[4:5]
	v_fmac_f64_e32 v[2:3], 0xc1f00000, v[4:5]
	v_cvt_u32_f64_e32 v7, v[4:5]
	v_cvt_u32_f64_e32 v6, v[2:3]
	global_store_dwordx2 v[0:1], v[6:7], off
	s_mov_b64 s[0:1], 0
	s_mov_b64 s[6:7], -1
.LBB23_3077:
	s_mov_b64 s[10:11], 0
.LBB23_3078:
	s_and_b64 vcc, exec, s[10:11]
	s_cbranch_vccz .LBB23_3094
; %bb.3079:
	v_mov_b32_e32 v2, 27
	v_cmp_lt_i16_sdwa s[10:11], s18, v2 src0_sel:BYTE_0 src1_sel:DWORD
	s_mov_b64 s[6:7], -1
	s_and_b64 vcc, exec, s[10:11]
	s_cbranch_vccnz .LBB23_3085
; %bb.3080:
	v_cmp_gt_i16_sdwa s[10:11], s18, v2 src0_sel:BYTE_0 src1_sel:DWORD
	s_and_b64 vcc, exec, s[10:11]
	s_cbranch_vccz .LBB23_3082
; %bb.3081:
	v_cvt_u32_f64_e32 v2, v[8:9]
	s_mov_b64 s[6:7], 0
	global_store_dword v[0:1], v2, off
.LBB23_3082:
	s_andn2_b64 vcc, exec, s[6:7]
	s_cbranch_vccnz .LBB23_3084
; %bb.3083:
	v_cvt_u32_f64_e32 v2, v[8:9]
	global_store_short v[0:1], v2, off
.LBB23_3084:
	s_mov_b64 s[6:7], 0
.LBB23_3085:
	s_andn2_b64 vcc, exec, s[6:7]
	s_cbranch_vccnz .LBB23_3093
; %bb.3086:
	v_cvt_f32_f64_e32 v2, v[8:9]
	v_and_b32_e32 v3, 0x7fffffff, v2
	s_mov_b32 s6, 0x43800000
	v_cmp_gt_u32_e32 vcc, s6, v3
	v_mov_b32_e32 v4, 0x80
	s_and_saveexec_b64 s[6:7], vcc
	s_cbranch_execz .LBB23_3092
; %bb.3087:
	s_mov_b32 s10, 0x3bffffff
	v_cmp_lt_u32_e32 vcc, s10, v3
	s_mov_b64 s[10:11], 0
                                        ; implicit-def: $vgpr3
	s_and_saveexec_b64 s[16:17], vcc
	s_xor_b64 s[16:17], exec, s[16:17]
	s_cbranch_execz .LBB23_3257
; %bb.3088:
	v_bfe_u32 v3, v2, 20, 1
	s_mov_b32 s19, 0x487ffff
	v_add3_u32 v3, v2, v3, s19
	s_mov_b64 s[10:11], exec
	v_lshrrev_b32_e32 v3, 20, v3
	s_or_saveexec_b64 s[16:17], s[16:17]
                                        ; implicit-def: $sgpr19
	s_xor_b64 exec, exec, s[16:17]
	s_cbranch_execnz .LBB23_3258
.LBB23_3089:
	s_or_b64 exec, exec, s[16:17]
	v_mov_b32_e32 v4, s19
	s_and_saveexec_b64 s[16:17], s[10:11]
.LBB23_3090:
	v_lshrrev_b32_e32 v2, 24, v2
	s_movk_i32 s10, 0x80
	v_and_or_b32 v4, v2, s10, v3
.LBB23_3091:
	s_or_b64 exec, exec, s[16:17]
.LBB23_3092:
	s_or_b64 exec, exec, s[6:7]
	global_store_byte v[0:1], v4, off
.LBB23_3093:
	s_mov_b64 s[6:7], -1
.LBB23_3094:
	s_mov_b64 s[10:11], 0
.LBB23_3095:
	s_and_b64 vcc, exec, s[10:11]
	s_cbranch_vccz .LBB23_3135
; %bb.3096:
	v_mov_b32_e32 v2, 22
	v_cmp_gt_i16_sdwa s[10:11], s18, v2 src0_sel:BYTE_0 src1_sel:DWORD
	s_mov_b64 s[2:3], -1
	s_and_b64 vcc, exec, s[10:11]
	s_cbranch_vccz .LBB23_3128
; %bb.3097:
	v_mov_b32_e32 v2, 24
	v_cmp_lt_i16_sdwa s[6:7], s18, v2 src0_sel:BYTE_0 src1_sel:DWORD
	s_and_b64 vcc, exec, s[6:7]
	s_cbranch_vccnz .LBB23_3117
; %bb.3098:
	v_cmp_gt_i16_sdwa s[6:7], s18, v2 src0_sel:BYTE_0 src1_sel:DWORD
	s_and_b64 vcc, exec, s[6:7]
	s_cbranch_vccz .LBB23_3106
; %bb.3099:
	v_cvt_f32_f64_e32 v2, v[8:9]
	v_and_b32_e32 v3, 0x7fffffff, v2
	s_mov_b32 s2, 0x47800000
	v_cmp_gt_u32_e32 vcc, s2, v3
	v_mov_b32_e32 v4, 0x80
	s_and_saveexec_b64 s[2:3], vcc
	s_cbranch_execz .LBB23_3105
; %bb.3100:
	s_mov_b32 s6, 0x37ffffff
	v_cmp_lt_u32_e32 vcc, s6, v3
	s_mov_b64 s[6:7], 0
                                        ; implicit-def: $vgpr3
	s_and_saveexec_b64 s[10:11], vcc
	s_xor_b64 s[10:11], exec, s[10:11]
	s_cbranch_execz .LBB23_3260
; %bb.3101:
	v_bfe_u32 v3, v2, 21, 1
	s_mov_b32 s16, 0x88fffff
	v_add3_u32 v3, v2, v3, s16
	s_mov_b64 s[6:7], exec
	v_lshrrev_b32_e32 v3, 21, v3
	s_or_saveexec_b64 s[10:11], s[10:11]
                                        ; implicit-def: $sgpr16
	s_xor_b64 exec, exec, s[10:11]
	s_cbranch_execnz .LBB23_3261
.LBB23_3102:
	s_or_b64 exec, exec, s[10:11]
	v_mov_b32_e32 v4, s16
	s_and_saveexec_b64 s[10:11], s[6:7]
.LBB23_3103:
	v_lshrrev_b32_e32 v2, 24, v2
	s_movk_i32 s6, 0x80
	v_and_or_b32 v4, v2, s6, v3
.LBB23_3104:
	s_or_b64 exec, exec, s[10:11]
.LBB23_3105:
	s_or_b64 exec, exec, s[2:3]
	s_mov_b64 s[2:3], 0
	global_store_byte v[0:1], v4, off
.LBB23_3106:
	s_and_b64 vcc, exec, s[2:3]
	s_cbranch_vccz .LBB23_3116
; %bb.3107:
	v_cvt_f32_f64_e32 v2, v[8:9]
	v_and_b32_e32 v4, 0x7fffffff, v2
	s_mov_b32 s2, 0x43f00000
	v_cmp_gt_u32_e32 vcc, s2, v4
                                        ; implicit-def: $vgpr3
	s_and_saveexec_b64 s[2:3], vcc
	s_xor_b64 s[2:3], exec, s[2:3]
	s_cbranch_execz .LBB23_3113
; %bb.3108:
	s_mov_b32 s6, 0x3c7fffff
	v_cmp_lt_u32_e32 vcc, s6, v4
                                        ; implicit-def: $vgpr3
	s_and_saveexec_b64 s[6:7], vcc
	s_xor_b64 s[6:7], exec, s[6:7]
; %bb.3109:
	v_bfe_u32 v3, v2, 20, 1
	s_mov_b32 s10, 0x407ffff
	v_add3_u32 v3, v2, v3, s10
	v_lshrrev_b32_e32 v4, 20, v3
	v_and_b32_e32 v3, 0xff00000, v3
	s_mov_b32 s10, 0x7f00000
	v_mov_b32_e32 v5, 0x7e
	v_cmp_ne_u32_e32 vcc, s10, v3
	v_cndmask_b32_e32 v3, v5, v4, vcc
; %bb.3110:
	s_andn2_saveexec_b64 s[6:7], s[6:7]
; %bb.3111:
	s_mov_b32 s10, 0x46800000
	v_add_f32_e64 v3, |v2|, s10
; %bb.3112:
	s_or_b64 exec, exec, s[6:7]
                                        ; implicit-def: $vgpr4
.LBB23_3113:
	s_andn2_saveexec_b64 s[2:3], s[2:3]
; %bb.3114:
	s_mov_b32 s6, 0x7f800000
	v_mov_b32_e32 v3, 0x7e
	v_mov_b32_e32 v5, 0x7f
	v_cmp_lt_u32_e32 vcc, s6, v4
	v_cndmask_b32_e32 v3, v3, v5, vcc
; %bb.3115:
	s_or_b64 exec, exec, s[2:3]
	v_lshrrev_b32_e32 v2, 24, v2
	s_movk_i32 s2, 0x80
	v_and_or_b32 v2, v2, s2, v3
	global_store_byte v[0:1], v2, off
.LBB23_3116:
	s_mov_b64 s[2:3], 0
.LBB23_3117:
	s_andn2_b64 vcc, exec, s[2:3]
	s_cbranch_vccnz .LBB23_3127
; %bb.3118:
	v_cvt_f32_f64_e32 v2, v[8:9]
	v_and_b32_e32 v4, 0x7fffffff, v2
	s_mov_b32 s2, 0x47800000
	v_cmp_gt_u32_e32 vcc, s2, v4
                                        ; implicit-def: $vgpr3
	s_and_saveexec_b64 s[2:3], vcc
	s_xor_b64 s[2:3], exec, s[2:3]
	s_cbranch_execz .LBB23_3124
; %bb.3119:
	s_mov_b32 s6, 0x387fffff
	v_cmp_lt_u32_e32 vcc, s6, v4
                                        ; implicit-def: $vgpr3
	s_and_saveexec_b64 s[6:7], vcc
	s_xor_b64 s[6:7], exec, s[6:7]
; %bb.3120:
	v_bfe_u32 v3, v2, 21, 1
	s_mov_b32 s10, 0x80fffff
	v_add3_u32 v3, v2, v3, s10
	v_lshrrev_b32_e32 v3, 21, v3
; %bb.3121:
	s_andn2_saveexec_b64 s[6:7], s[6:7]
; %bb.3122:
	s_mov_b32 s10, 0x43000000
	v_add_f32_e64 v3, |v2|, s10
; %bb.3123:
	s_or_b64 exec, exec, s[6:7]
                                        ; implicit-def: $vgpr4
.LBB23_3124:
	s_andn2_saveexec_b64 s[2:3], s[2:3]
; %bb.3125:
	s_mov_b32 s6, 0x7f800000
	v_mov_b32_e32 v3, 0x7c
	v_mov_b32_e32 v5, 0x7f
	v_cmp_lt_u32_e32 vcc, s6, v4
	v_cndmask_b32_e32 v3, v3, v5, vcc
; %bb.3126:
	s_or_b64 exec, exec, s[2:3]
	v_lshrrev_b32_e32 v2, 24, v2
	s_movk_i32 s2, 0x80
	v_and_or_b32 v2, v2, s2, v3
	global_store_byte v[0:1], v2, off
.LBB23_3127:
	s_mov_b64 s[2:3], 0
	s_mov_b64 s[6:7], -1
.LBB23_3128:
	s_andn2_b64 vcc, exec, s[2:3]
	s_mov_b64 s[2:3], 0
	s_cbranch_vccnz .LBB23_3135
; %bb.3129:
	v_mov_b32_e32 v2, 14
	v_cmp_gt_i16_sdwa s[2:3], s18, v2 src0_sel:BYTE_0 src1_sel:DWORD
	s_mov_b64 s[10:11], -1
	s_and_b64 vcc, exec, s[2:3]
	s_cbranch_vccz .LBB23_3133
; %bb.3130:
	v_mov_b32_e32 v2, 15
	v_cmp_eq_u16_sdwa s[2:3], s18, v2 src0_sel:BYTE_0 src1_sel:DWORD
	s_mov_b64 s[0:1], -1
	s_and_b64 vcc, exec, s[2:3]
	s_cbranch_vccz .LBB23_3132
; %bb.3131:
	v_cvt_f32_f64_e32 v2, v[8:9]
	v_bfe_u32 v3, v2, 16, 1
	s_movk_i32 s0, 0x7fff
	v_add3_u32 v3, v2, v3, s0
	v_lshrrev_b32_e32 v3, 16, v3
	v_mov_b32_e32 v4, 0x7fc0
	v_cmp_o_f32_e32 vcc, v2, v2
	v_cndmask_b32_e32 v2, v4, v3, vcc
	global_store_short v[0:1], v2, off
	s_mov_b64 s[0:1], 0
	s_mov_b64 s[6:7], -1
.LBB23_3132:
	s_mov_b64 s[10:11], 0
.LBB23_3133:
	s_mov_b64 s[2:3], 0
	s_and_b64 vcc, exec, s[10:11]
	s_cbranch_vccz .LBB23_3135
; %bb.3134:
	v_mov_b32_e32 v2, 11
	v_cmp_ne_u16_sdwa s[0:1], s18, v2 src0_sel:BYTE_0 src1_sel:DWORD
	s_mov_b64 s[2:3], -1
.LBB23_3135:
	s_and_b64 vcc, exec, s[0:1]
	s_cbranch_vccnz .LBB23_3259
; %bb.3136:
	s_andn2_b64 vcc, exec, s[2:3]
	s_cbranch_vccnz .LBB23_3138
.LBB23_3137:
	v_cmp_neq_f64_e32 vcc, 0, v[8:9]
	v_cndmask_b32_e64 v2, 0, 1, vcc
	s_mov_b64 s[6:7], -1
	global_store_byte v[0:1], v2, off
.LBB23_3138:
	s_mov_b64 s[0:1], 0
.LBB23_3139:
	s_and_b64 vcc, exec, s[0:1]
	s_cbranch_vccz .LBB23_3178
; %bb.3140:
	v_mov_b32_e32 v2, 5
	v_cmp_lt_i16_sdwa s[2:3], s18, v2 src0_sel:BYTE_0 src1_sel:DWORD
	s_mov_b64 s[0:1], -1
	s_and_b64 vcc, exec, s[2:3]
	s_cbranch_vccnz .LBB23_3161
; %bb.3141:
	v_mov_b32_e32 v2, 8
	v_cmp_lt_i16_sdwa s[2:3], s18, v2 src0_sel:BYTE_0 src1_sel:DWORD
	s_and_b64 vcc, exec, s[2:3]
	s_cbranch_vccnz .LBB23_3151
; %bb.3142:
	v_mov_b32_e32 v2, 9
	v_cmp_lt_i16_sdwa s[2:3], s18, v2 src0_sel:BYTE_0 src1_sel:DWORD
	s_and_b64 vcc, exec, s[2:3]
	s_cbranch_vccnz .LBB23_3148
; %bb.3143:
	v_cmp_gt_i16_sdwa s[2:3], s18, v2 src0_sel:BYTE_0 src1_sel:DWORD
	s_and_b64 vcc, exec, s[2:3]
	s_cbranch_vccz .LBB23_3145
; %bb.3144:
	v_mov_b32_e32 v10, 0
	v_mov_b32_e32 v11, v10
	global_store_dwordx4 v[0:1], v[8:11], off
	s_mov_b64 s[0:1], 0
.LBB23_3145:
	s_andn2_b64 vcc, exec, s[0:1]
	s_cbranch_vccnz .LBB23_3147
; %bb.3146:
	v_cvt_f32_f64_e32 v2, v[8:9]
	v_mov_b32_e32 v3, 0
	global_store_dwordx2 v[0:1], v[2:3], off
.LBB23_3147:
	s_mov_b64 s[0:1], 0
.LBB23_3148:
	s_andn2_b64 vcc, exec, s[0:1]
	s_cbranch_vccnz .LBB23_3150
; %bb.3149:
	v_cvt_f32_f64_e32 v2, v[8:9]
	v_cvt_f16_f32_e32 v2, v2
	global_store_dword v[0:1], v2, off
.LBB23_3150:
	s_mov_b64 s[0:1], 0
.LBB23_3151:
	s_andn2_b64 vcc, exec, s[0:1]
	s_cbranch_vccnz .LBB23_3160
; %bb.3152:
	v_mov_b32_e32 v2, 6
	v_cmp_lt_i16_sdwa s[2:3], s18, v2 src0_sel:BYTE_0 src1_sel:DWORD
	s_mov_b64 s[0:1], -1
	s_and_b64 vcc, exec, s[2:3]
	s_cbranch_vccnz .LBB23_3158
; %bb.3153:
	v_cmp_gt_i16_sdwa s[2:3], s18, v2 src0_sel:BYTE_0 src1_sel:DWORD
	s_and_b64 vcc, exec, s[2:3]
	s_cbranch_vccz .LBB23_3155
; %bb.3154:
	global_store_dwordx2 v[0:1], v[8:9], off
	s_mov_b64 s[0:1], 0
.LBB23_3155:
	s_andn2_b64 vcc, exec, s[0:1]
	s_cbranch_vccnz .LBB23_3157
; %bb.3156:
	v_cvt_f32_f64_e32 v2, v[8:9]
	global_store_dword v[0:1], v2, off
.LBB23_3157:
	s_mov_b64 s[0:1], 0
.LBB23_3158:
	s_andn2_b64 vcc, exec, s[0:1]
	s_cbranch_vccnz .LBB23_3160
; %bb.3159:
	v_cvt_f32_f64_e32 v2, v[8:9]
	v_cvt_f16_f32_e32 v2, v2
	global_store_short v[0:1], v2, off
.LBB23_3160:
	s_mov_b64 s[0:1], 0
.LBB23_3161:
	s_andn2_b64 vcc, exec, s[0:1]
	s_cbranch_vccnz .LBB23_3177
; %bb.3162:
	v_mov_b32_e32 v2, 2
	v_cmp_lt_i16_sdwa s[2:3], s18, v2 src0_sel:BYTE_0 src1_sel:DWORD
	s_mov_b64 s[0:1], -1
	s_and_b64 vcc, exec, s[2:3]
	s_cbranch_vccnz .LBB23_3172
; %bb.3163:
	v_mov_b32_e32 v2, 3
	v_cmp_lt_i16_sdwa s[2:3], s18, v2 src0_sel:BYTE_0 src1_sel:DWORD
	s_and_b64 vcc, exec, s[2:3]
	s_cbranch_vccnz .LBB23_3169
; %bb.3164:
	v_cmp_gt_i16_sdwa s[2:3], s18, v2 src0_sel:BYTE_0 src1_sel:DWORD
	s_and_b64 vcc, exec, s[2:3]
	s_cbranch_vccz .LBB23_3166
; %bb.3165:
	v_trunc_f64_e32 v[2:3], v[8:9]
	s_movk_i32 s0, 0xffe0
	v_ldexp_f64 v[4:5], v[2:3], s0
	v_floor_f64_e32 v[4:5], v[4:5]
	v_fmac_f64_e32 v[2:3], 0xc1f00000, v[4:5]
	v_cvt_i32_f64_e32 v7, v[4:5]
	v_cvt_u32_f64_e32 v6, v[2:3]
	global_store_dwordx2 v[0:1], v[6:7], off
	s_mov_b64 s[0:1], 0
.LBB23_3166:
	s_andn2_b64 vcc, exec, s[0:1]
	s_cbranch_vccnz .LBB23_3168
; %bb.3167:
	v_cvt_i32_f64_e32 v2, v[8:9]
	global_store_dword v[0:1], v2, off
.LBB23_3168:
	s_mov_b64 s[0:1], 0
.LBB23_3169:
	s_andn2_b64 vcc, exec, s[0:1]
	s_cbranch_vccnz .LBB23_3171
; %bb.3170:
	v_cvt_i32_f64_e32 v2, v[8:9]
	global_store_short v[0:1], v2, off
.LBB23_3171:
	s_mov_b64 s[0:1], 0
.LBB23_3172:
	s_andn2_b64 vcc, exec, s[0:1]
	s_cbranch_vccnz .LBB23_3177
; %bb.3173:
	v_mov_b32_e32 v2, 0
	v_cmp_gt_i16_sdwa s[2:3], s18, v2 src0_sel:BYTE_0 src1_sel:DWORD
	s_mov_b64 s[0:1], -1
	s_and_b64 vcc, exec, s[2:3]
	s_cbranch_vccz .LBB23_3175
; %bb.3174:
	v_cvt_i32_f64_e32 v2, v[8:9]
	global_store_byte v[0:1], v2, off
	s_mov_b64 s[0:1], 0
.LBB23_3175:
	s_andn2_b64 vcc, exec, s[0:1]
	s_cbranch_vccnz .LBB23_3177
; %bb.3176:
	v_trunc_f64_e32 v[2:3], v[8:9]
	s_movk_i32 s0, 0xffe0
	v_ldexp_f64 v[4:5], v[2:3], s0
	v_floor_f64_e32 v[4:5], v[4:5]
	v_fmac_f64_e32 v[2:3], 0xc1f00000, v[4:5]
	v_cvt_u32_f64_e32 v2, v[2:3]
	global_store_byte v[0:1], v2, off
.LBB23_3177:
	s_mov_b64 s[6:7], -1
.LBB23_3178:
	s_andn2_b64 vcc, exec, s[6:7]
	s_cbranch_vccnz .LBB23_3255
; %bb.3179:
	v_mov_b32_e32 v0, 0xff
	v_and_b32_e32 v2, s18, v0
	v_mov_b32_e32 v1, s9
	v_add_co_u32_e32 v0, vcc, s8, v14
	v_addc_co_u32_e32 v1, vcc, 0, v1, vcc
	v_cmp_gt_i16_e32 vcc, 11, v2
	s_cbranch_vccnz .LBB23_3256
; %bb.3180:
	v_cmp_lt_i16_e32 vcc, 25, v2
	s_mov_b64 s[6:7], -1
	s_mov_b64 s[2:3], 0
	s_mov_b64 s[0:1], 0
	s_cbranch_vccz .LBB23_3213
; %bb.3181:
	v_cmp_lt_i16_e32 vcc, 28, v2
	s_cbranch_vccz .LBB23_3197
; %bb.3182:
	v_cmp_lt_i16_e32 vcc, 43, v2
	;; [unrolled: 3-line block ×3, first 2 shown]
	s_cbranch_vccz .LBB23_3187
; %bb.3184:
	v_cmp_eq_u16_e32 vcc, 46, v2
	s_mov_b64 s[0:1], -1
	s_cbranch_vccz .LBB23_3186
; %bb.3185:
	v_cvt_f32_f64_e32 v3, v[12:13]
	v_bfe_u32 v4, v3, 16, 1
	s_movk_i32 s0, 0x7fff
	v_add3_u32 v4, v3, v4, s0
	v_lshrrev_b32_e32 v4, 16, v4
	v_mov_b32_e32 v5, 0x7fc0
	v_cmp_o_f32_e32 vcc, v3, v3
	v_cndmask_b32_e32 v3, v5, v4, vcc
	global_store_dword v[0:1], v3, off
	s_mov_b64 s[0:1], 0
.LBB23_3186:
	s_mov_b64 s[6:7], 0
.LBB23_3187:
	s_and_b64 vcc, exec, s[6:7]
	s_cbranch_vccz .LBB23_3192
; %bb.3188:
	v_cmp_eq_u16_e32 vcc, 44, v2
	s_mov_b64 s[0:1], -1
	s_cbranch_vccz .LBB23_3192
; %bb.3189:
	v_cvt_f32_f64_e32 v3, v[12:13]
	v_bfe_u32 v4, v3, 23, 8
	s_movk_i32 s0, 0xff
	v_cmp_ne_u32_e32 vcc, s0, v4
	v_mov_b32_e32 v5, 0xff
	s_and_saveexec_b64 s[6:7], vcc
; %bb.3190:
	s_mov_b32 s0, 0x3fffff
	v_lshrrev_b32_e32 v5, 23, v3
	v_and_b32_e32 v6, 0x400000, v3
	v_and_or_b32 v3, v3, s0, v4
	v_cmp_ne_u32_e32 vcc, 0, v6
	v_cmp_ne_u32_e64 s[0:1], 0, v3
	s_and_b64 s[0:1], vcc, s[0:1]
	v_cndmask_b32_e64 v3, 0, 1, s[0:1]
	v_add_u32_e32 v5, v5, v3
; %bb.3191:
	s_or_b64 exec, exec, s[6:7]
	s_mov_b64 s[0:1], 0
	global_store_byte v[0:1], v5, off
.LBB23_3192:
	s_mov_b64 s[6:7], 0
.LBB23_3193:
	s_and_b64 vcc, exec, s[6:7]
	s_cbranch_vccz .LBB23_3196
; %bb.3194:
	v_cmp_eq_u16_e32 vcc, 29, v2
	s_mov_b64 s[0:1], -1
	s_cbranch_vccz .LBB23_3196
; %bb.3195:
	v_trunc_f64_e32 v[4:5], v[12:13]
	s_movk_i32 s0, 0xffe0
	v_ldexp_f64 v[6:7], v[4:5], s0
	v_floor_f64_e32 v[6:7], v[6:7]
	v_fmac_f64_e32 v[4:5], 0xc1f00000, v[6:7]
	v_cvt_u32_f64_e32 v9, v[6:7]
	v_cvt_u32_f64_e32 v8, v[4:5]
	global_store_dwordx2 v[0:1], v[8:9], off
	s_mov_b64 s[0:1], 0
.LBB23_3196:
	s_mov_b64 s[6:7], 0
.LBB23_3197:
	s_and_b64 vcc, exec, s[6:7]
	s_cbranch_vccz .LBB23_3212
; %bb.3198:
	v_cmp_gt_i16_e32 vcc, 27, v2
	s_mov_b64 s[6:7], -1
	s_cbranch_vccnz .LBB23_3204
; %bb.3199:
	v_cmp_lt_i16_e32 vcc, 27, v2
	v_cvt_u32_f64_e32 v3, v[12:13]
	s_cbranch_vccz .LBB23_3201
; %bb.3200:
	global_store_dword v[0:1], v3, off
	s_mov_b64 s[6:7], 0
.LBB23_3201:
	s_andn2_b64 vcc, exec, s[6:7]
	s_cbranch_vccnz .LBB23_3203
; %bb.3202:
	global_store_short v[0:1], v3, off
.LBB23_3203:
	s_mov_b64 s[6:7], 0
.LBB23_3204:
	s_andn2_b64 vcc, exec, s[6:7]
	s_cbranch_vccnz .LBB23_3212
; %bb.3205:
	v_cvt_f32_f64_e32 v3, v[12:13]
	v_and_b32_e32 v4, 0x7fffffff, v3
	s_mov_b32 s6, 0x43800000
	v_cmp_gt_u32_e32 vcc, s6, v4
	v_mov_b32_e32 v5, 0x80
	s_and_saveexec_b64 s[6:7], vcc
	s_cbranch_execz .LBB23_3211
; %bb.3206:
	s_mov_b32 s8, 0x3bffffff
	v_cmp_lt_u32_e32 vcc, s8, v4
	s_mov_b64 s[8:9], 0
                                        ; implicit-def: $vgpr4
	s_and_saveexec_b64 s[10:11], vcc
	s_xor_b64 s[10:11], exec, s[10:11]
	s_cbranch_execz .LBB23_3262
; %bb.3207:
	v_bfe_u32 v4, v3, 20, 1
	s_mov_b32 s16, 0x487ffff
	v_add3_u32 v4, v3, v4, s16
	s_mov_b64 s[8:9], exec
	v_lshrrev_b32_e32 v4, 20, v4
	s_or_saveexec_b64 s[10:11], s[10:11]
                                        ; implicit-def: $sgpr16
	s_xor_b64 exec, exec, s[10:11]
	s_cbranch_execnz .LBB23_3263
.LBB23_3208:
	s_or_b64 exec, exec, s[10:11]
	v_mov_b32_e32 v5, s16
	s_and_saveexec_b64 s[10:11], s[8:9]
.LBB23_3209:
	v_lshrrev_b32_e32 v3, 24, v3
	s_movk_i32 s8, 0x80
	v_and_or_b32 v5, v3, s8, v4
.LBB23_3210:
	s_or_b64 exec, exec, s[10:11]
.LBB23_3211:
	s_or_b64 exec, exec, s[6:7]
	global_store_byte v[0:1], v5, off
.LBB23_3212:
	s_mov_b64 s[6:7], 0
.LBB23_3213:
	s_and_b64 vcc, exec, s[6:7]
	s_cbranch_vccz .LBB23_3253
; %bb.3214:
	v_cmp_lt_i16_e32 vcc, 22, v2
	s_mov_b64 s[2:3], -1
	s_cbranch_vccz .LBB23_3246
; %bb.3215:
	v_cmp_gt_i16_e32 vcc, 24, v2
	s_cbranch_vccnz .LBB23_3235
; %bb.3216:
	v_cmp_lt_i16_e32 vcc, 24, v2
	s_cbranch_vccz .LBB23_3224
; %bb.3217:
	v_cvt_f32_f64_e32 v3, v[12:13]
	v_and_b32_e32 v4, 0x7fffffff, v3
	s_mov_b32 s2, 0x47800000
	v_cmp_gt_u32_e32 vcc, s2, v4
	v_mov_b32_e32 v5, 0x80
	s_and_saveexec_b64 s[2:3], vcc
	s_cbranch_execz .LBB23_3223
; %bb.3218:
	s_mov_b32 s6, 0x37ffffff
	v_cmp_lt_u32_e32 vcc, s6, v4
	s_mov_b64 s[6:7], 0
                                        ; implicit-def: $vgpr4
	s_and_saveexec_b64 s[8:9], vcc
	s_xor_b64 s[8:9], exec, s[8:9]
	s_cbranch_execz .LBB23_3265
; %bb.3219:
	v_bfe_u32 v4, v3, 21, 1
	s_mov_b32 s10, 0x88fffff
	v_add3_u32 v4, v3, v4, s10
	s_mov_b64 s[6:7], exec
	v_lshrrev_b32_e32 v4, 21, v4
	s_or_saveexec_b64 s[8:9], s[8:9]
                                        ; implicit-def: $sgpr10
	s_xor_b64 exec, exec, s[8:9]
	s_cbranch_execnz .LBB23_3266
.LBB23_3220:
	s_or_b64 exec, exec, s[8:9]
	v_mov_b32_e32 v5, s10
	s_and_saveexec_b64 s[8:9], s[6:7]
.LBB23_3221:
	v_lshrrev_b32_e32 v3, 24, v3
	s_movk_i32 s6, 0x80
	v_and_or_b32 v5, v3, s6, v4
.LBB23_3222:
	s_or_b64 exec, exec, s[8:9]
.LBB23_3223:
	s_or_b64 exec, exec, s[2:3]
	s_mov_b64 s[2:3], 0
	global_store_byte v[0:1], v5, off
.LBB23_3224:
	s_and_b64 vcc, exec, s[2:3]
	s_cbranch_vccz .LBB23_3234
; %bb.3225:
	v_cvt_f32_f64_e32 v3, v[12:13]
	v_and_b32_e32 v5, 0x7fffffff, v3
	s_mov_b32 s2, 0x43f00000
	v_cmp_gt_u32_e32 vcc, s2, v5
                                        ; implicit-def: $vgpr4
	s_and_saveexec_b64 s[2:3], vcc
	s_xor_b64 s[2:3], exec, s[2:3]
	s_cbranch_execz .LBB23_3231
; %bb.3226:
	s_mov_b32 s6, 0x3c7fffff
	v_cmp_lt_u32_e32 vcc, s6, v5
                                        ; implicit-def: $vgpr4
	s_and_saveexec_b64 s[6:7], vcc
	s_xor_b64 s[6:7], exec, s[6:7]
; %bb.3227:
	v_bfe_u32 v4, v3, 20, 1
	s_mov_b32 s8, 0x407ffff
	v_add3_u32 v4, v3, v4, s8
	v_lshrrev_b32_e32 v5, 20, v4
	v_and_b32_e32 v4, 0xff00000, v4
	s_mov_b32 s8, 0x7f00000
	v_mov_b32_e32 v6, 0x7e
	v_cmp_ne_u32_e32 vcc, s8, v4
	v_cndmask_b32_e32 v4, v6, v5, vcc
; %bb.3228:
	s_andn2_saveexec_b64 s[6:7], s[6:7]
; %bb.3229:
	s_mov_b32 s8, 0x46800000
	v_add_f32_e64 v4, |v3|, s8
; %bb.3230:
	s_or_b64 exec, exec, s[6:7]
                                        ; implicit-def: $vgpr5
.LBB23_3231:
	s_andn2_saveexec_b64 s[2:3], s[2:3]
; %bb.3232:
	s_mov_b32 s6, 0x7f800000
	v_mov_b32_e32 v4, 0x7e
	v_mov_b32_e32 v6, 0x7f
	v_cmp_lt_u32_e32 vcc, s6, v5
	v_cndmask_b32_e32 v4, v4, v6, vcc
; %bb.3233:
	s_or_b64 exec, exec, s[2:3]
	v_lshrrev_b32_e32 v3, 24, v3
	s_movk_i32 s2, 0x80
	v_and_or_b32 v3, v3, s2, v4
	global_store_byte v[0:1], v3, off
.LBB23_3234:
	s_mov_b64 s[2:3], 0
.LBB23_3235:
	s_andn2_b64 vcc, exec, s[2:3]
	s_cbranch_vccnz .LBB23_3245
; %bb.3236:
	v_cvt_f32_f64_e32 v3, v[12:13]
	v_and_b32_e32 v5, 0x7fffffff, v3
	s_mov_b32 s2, 0x47800000
	v_cmp_gt_u32_e32 vcc, s2, v5
                                        ; implicit-def: $vgpr4
	s_and_saveexec_b64 s[2:3], vcc
	s_xor_b64 s[2:3], exec, s[2:3]
	s_cbranch_execz .LBB23_3242
; %bb.3237:
	s_mov_b32 s6, 0x387fffff
	v_cmp_lt_u32_e32 vcc, s6, v5
                                        ; implicit-def: $vgpr4
	s_and_saveexec_b64 s[6:7], vcc
	s_xor_b64 s[6:7], exec, s[6:7]
; %bb.3238:
	v_bfe_u32 v4, v3, 21, 1
	s_mov_b32 s8, 0x80fffff
	v_add3_u32 v4, v3, v4, s8
	v_lshrrev_b32_e32 v4, 21, v4
; %bb.3239:
	s_andn2_saveexec_b64 s[6:7], s[6:7]
; %bb.3240:
	s_mov_b32 s8, 0x43000000
	v_add_f32_e64 v4, |v3|, s8
; %bb.3241:
	s_or_b64 exec, exec, s[6:7]
                                        ; implicit-def: $vgpr5
.LBB23_3242:
	s_andn2_saveexec_b64 s[2:3], s[2:3]
; %bb.3243:
	s_mov_b32 s6, 0x7f800000
	v_mov_b32_e32 v4, 0x7c
	v_mov_b32_e32 v6, 0x7f
	v_cmp_lt_u32_e32 vcc, s6, v5
	v_cndmask_b32_e32 v4, v4, v6, vcc
; %bb.3244:
	s_or_b64 exec, exec, s[2:3]
	v_lshrrev_b32_e32 v3, 24, v3
	s_movk_i32 s2, 0x80
	v_and_or_b32 v3, v3, s2, v4
	global_store_byte v[0:1], v3, off
.LBB23_3245:
	s_mov_b64 s[2:3], 0
.LBB23_3246:
	s_andn2_b64 vcc, exec, s[2:3]
	s_mov_b64 s[2:3], 0
	s_cbranch_vccnz .LBB23_3253
; %bb.3247:
	v_cmp_lt_i16_e32 vcc, 14, v2
	s_mov_b64 s[6:7], -1
	s_cbranch_vccz .LBB23_3251
; %bb.3248:
	v_cmp_eq_u16_e32 vcc, 15, v2
	s_mov_b64 s[0:1], -1
	s_cbranch_vccz .LBB23_3250
; %bb.3249:
	v_cvt_f32_f64_e32 v3, v[12:13]
	v_bfe_u32 v4, v3, 16, 1
	s_movk_i32 s0, 0x7fff
	v_add3_u32 v4, v3, v4, s0
	v_lshrrev_b32_e32 v4, 16, v4
	v_mov_b32_e32 v5, 0x7fc0
	v_cmp_o_f32_e32 vcc, v3, v3
	v_cndmask_b32_e32 v3, v5, v4, vcc
	global_store_short v[0:1], v3, off
	s_mov_b64 s[0:1], 0
.LBB23_3250:
	s_mov_b64 s[6:7], 0
.LBB23_3251:
	s_and_b64 vcc, exec, s[6:7]
	s_cbranch_vccz .LBB23_3253
; %bb.3252:
	v_cmp_ne_u16_e64 s[0:1], 11, v2
	s_mov_b64 s[2:3], -1
.LBB23_3253:
	s_and_b64 vcc, exec, s[0:1]
	s_cbranch_vccnz .LBB23_3264
.LBB23_3254:
	s_mov_b64 s[0:1], 0
	s_branch .LBB23_2765
.LBB23_3255:
	s_mov_b64 s[0:1], 0
                                        ; implicit-def: $vgpr0_vgpr1
                                        ; implicit-def: $vgpr2
	s_branch .LBB23_2764
.LBB23_3256:
	s_mov_b64 s[2:3], 0
	s_mov_b64 s[0:1], -1
	s_branch .LBB23_2765
.LBB23_3257:
	s_or_saveexec_b64 s[16:17], s[16:17]
                                        ; implicit-def: $sgpr19
	s_xor_b64 exec, exec, s[16:17]
	s_cbranch_execz .LBB23_3089
.LBB23_3258:
	s_mov_b32 s19, 0x46000000
	v_add_f32_e64 v3, |v2|, s19
	v_and_b32_e32 v3, 0xff, v3
	v_cmp_ne_u32_e32 vcc, 0, v3
	s_andn2_b64 s[10:11], s[10:11], exec
	s_and_b64 s[20:21], vcc, exec
	s_mov_b32 s19, 0
	s_or_b64 s[10:11], s[10:11], s[20:21]
	s_or_b64 exec, exec, s[16:17]
	v_mov_b32_e32 v4, s19
	s_and_saveexec_b64 s[16:17], s[10:11]
	s_cbranch_execnz .LBB23_3090
	s_branch .LBB23_3091
.LBB23_3259:
	s_trap 2
	s_or_b64 s[4:5], s[4:5], exec
	s_cbranch_execz .LBB23_3137
	s_branch .LBB23_3138
.LBB23_3260:
	s_or_saveexec_b64 s[10:11], s[10:11]
                                        ; implicit-def: $sgpr16
	s_xor_b64 exec, exec, s[10:11]
	s_cbranch_execz .LBB23_3102
.LBB23_3261:
	s_mov_b32 s16, 0x42800000
	v_add_f32_e64 v3, |v2|, s16
	v_and_b32_e32 v3, 0xff, v3
	v_cmp_ne_u32_e32 vcc, 0, v3
	s_andn2_b64 s[6:7], s[6:7], exec
	s_and_b64 s[20:21], vcc, exec
	s_mov_b32 s16, 0
	s_or_b64 s[6:7], s[6:7], s[20:21]
	s_or_b64 exec, exec, s[10:11]
	v_mov_b32_e32 v4, s16
	s_and_saveexec_b64 s[10:11], s[6:7]
	s_cbranch_execnz .LBB23_3103
	s_branch .LBB23_3104
.LBB23_3262:
	s_or_saveexec_b64 s[10:11], s[10:11]
                                        ; implicit-def: $sgpr16
	s_xor_b64 exec, exec, s[10:11]
	s_cbranch_execz .LBB23_3208
.LBB23_3263:
	s_mov_b32 s16, 0x46000000
	v_add_f32_e64 v4, |v3|, s16
	v_and_b32_e32 v4, 0xff, v4
	v_cmp_ne_u32_e32 vcc, 0, v4
	s_andn2_b64 s[8:9], s[8:9], exec
	s_and_b64 s[18:19], vcc, exec
	s_mov_b32 s16, 0
	s_or_b64 s[8:9], s[8:9], s[18:19]
	s_or_b64 exec, exec, s[10:11]
	v_mov_b32_e32 v5, s16
	s_and_saveexec_b64 s[10:11], s[8:9]
	s_cbranch_execnz .LBB23_3209
	s_branch .LBB23_3210
.LBB23_3264:
	s_mov_b64 s[2:3], 0
	s_or_b64 s[4:5], s[4:5], exec
	s_trap 2
	s_branch .LBB23_3254
.LBB23_3265:
	s_or_saveexec_b64 s[8:9], s[8:9]
                                        ; implicit-def: $sgpr10
	s_xor_b64 exec, exec, s[8:9]
	s_cbranch_execz .LBB23_3220
.LBB23_3266:
	s_mov_b32 s10, 0x42800000
	v_add_f32_e64 v4, |v3|, s10
	v_and_b32_e32 v4, 0xff, v4
	v_cmp_ne_u32_e32 vcc, 0, v4
	s_andn2_b64 s[6:7], s[6:7], exec
	s_and_b64 s[16:17], vcc, exec
	s_mov_b32 s10, 0
	s_or_b64 s[6:7], s[6:7], s[16:17]
	s_or_b64 exec, exec, s[8:9]
	v_mov_b32_e32 v5, s10
	s_and_saveexec_b64 s[8:9], s[6:7]
	s_cbranch_execnz .LBB23_3221
	s_branch .LBB23_3222
	.section	.rodata,"a",@progbits
	.p2align	6, 0x0
	.amdhsa_kernel _ZN2at6native32elementwise_kernel_manual_unrollILi128ELi4EZNS0_15gpu_kernel_implINS0_13BinaryFunctorIdddZZZNS0_12_GLOBAL__N_133hermite_polynomial_he_kernel_cudaERNS_18TensorIteratorBaseEENKUlvE_clEvENKUlvE_clEvEUlddE_EEEEvS6_RKT_EUlibE0_EEviT1_
		.amdhsa_group_segment_fixed_size 0
		.amdhsa_private_segment_fixed_size 0
		.amdhsa_kernarg_size 432
		.amdhsa_user_sgpr_count 6
		.amdhsa_user_sgpr_private_segment_buffer 1
		.amdhsa_user_sgpr_dispatch_ptr 0
		.amdhsa_user_sgpr_queue_ptr 0
		.amdhsa_user_sgpr_kernarg_segment_ptr 1
		.amdhsa_user_sgpr_dispatch_id 0
		.amdhsa_user_sgpr_flat_scratch_init 0
		.amdhsa_user_sgpr_kernarg_preload_length 0
		.amdhsa_user_sgpr_kernarg_preload_offset 0
		.amdhsa_user_sgpr_private_segment_size 0
		.amdhsa_uses_dynamic_stack 0
		.amdhsa_system_sgpr_private_segment_wavefront_offset 0
		.amdhsa_system_sgpr_workgroup_id_x 1
		.amdhsa_system_sgpr_workgroup_id_y 0
		.amdhsa_system_sgpr_workgroup_id_z 0
		.amdhsa_system_sgpr_workgroup_info 0
		.amdhsa_system_vgpr_workitem_id 0
		.amdhsa_next_free_vgpr 32
		.amdhsa_next_free_sgpr 78
		.amdhsa_accum_offset 32
		.amdhsa_reserve_vcc 1
		.amdhsa_reserve_flat_scratch 0
		.amdhsa_float_round_mode_32 0
		.amdhsa_float_round_mode_16_64 0
		.amdhsa_float_denorm_mode_32 3
		.amdhsa_float_denorm_mode_16_64 3
		.amdhsa_dx10_clamp 1
		.amdhsa_ieee_mode 1
		.amdhsa_fp16_overflow 0
		.amdhsa_tg_split 0
		.amdhsa_exception_fp_ieee_invalid_op 0
		.amdhsa_exception_fp_denorm_src 0
		.amdhsa_exception_fp_ieee_div_zero 0
		.amdhsa_exception_fp_ieee_overflow 0
		.amdhsa_exception_fp_ieee_underflow 0
		.amdhsa_exception_fp_ieee_inexact 0
		.amdhsa_exception_int_div_zero 0
	.end_amdhsa_kernel
	.section	.text._ZN2at6native32elementwise_kernel_manual_unrollILi128ELi4EZNS0_15gpu_kernel_implINS0_13BinaryFunctorIdddZZZNS0_12_GLOBAL__N_133hermite_polynomial_he_kernel_cudaERNS_18TensorIteratorBaseEENKUlvE_clEvENKUlvE_clEvEUlddE_EEEEvS6_RKT_EUlibE0_EEviT1_,"axG",@progbits,_ZN2at6native32elementwise_kernel_manual_unrollILi128ELi4EZNS0_15gpu_kernel_implINS0_13BinaryFunctorIdddZZZNS0_12_GLOBAL__N_133hermite_polynomial_he_kernel_cudaERNS_18TensorIteratorBaseEENKUlvE_clEvENKUlvE_clEvEUlddE_EEEEvS6_RKT_EUlibE0_EEviT1_,comdat
.Lfunc_end23:
	.size	_ZN2at6native32elementwise_kernel_manual_unrollILi128ELi4EZNS0_15gpu_kernel_implINS0_13BinaryFunctorIdddZZZNS0_12_GLOBAL__N_133hermite_polynomial_he_kernel_cudaERNS_18TensorIteratorBaseEENKUlvE_clEvENKUlvE_clEvEUlddE_EEEEvS6_RKT_EUlibE0_EEviT1_, .Lfunc_end23-_ZN2at6native32elementwise_kernel_manual_unrollILi128ELi4EZNS0_15gpu_kernel_implINS0_13BinaryFunctorIdddZZZNS0_12_GLOBAL__N_133hermite_polynomial_he_kernel_cudaERNS_18TensorIteratorBaseEENKUlvE_clEvENKUlvE_clEvEUlddE_EEEEvS6_RKT_EUlibE0_EEviT1_
                                        ; -- End function
	.section	.AMDGPU.csdata,"",@progbits
; Kernel info:
; codeLenInByte = 59940
; NumSgprs: 82
; NumVgprs: 32
; NumAgprs: 0
; TotalNumVgprs: 32
; ScratchSize: 0
; MemoryBound: 1
; FloatMode: 240
; IeeeMode: 1
; LDSByteSize: 0 bytes/workgroup (compile time only)
; SGPRBlocks: 10
; VGPRBlocks: 3
; NumSGPRsForWavesPerEU: 82
; NumVGPRsForWavesPerEU: 32
; AccumOffset: 32
; Occupancy: 8
; WaveLimiterHint : 1
; COMPUTE_PGM_RSRC2:SCRATCH_EN: 0
; COMPUTE_PGM_RSRC2:USER_SGPR: 6
; COMPUTE_PGM_RSRC2:TRAP_HANDLER: 0
; COMPUTE_PGM_RSRC2:TGID_X_EN: 1
; COMPUTE_PGM_RSRC2:TGID_Y_EN: 0
; COMPUTE_PGM_RSRC2:TGID_Z_EN: 0
; COMPUTE_PGM_RSRC2:TIDIG_COMP_CNT: 0
; COMPUTE_PGM_RSRC3_GFX90A:ACCUM_OFFSET: 7
; COMPUTE_PGM_RSRC3_GFX90A:TG_SPLIT: 0
	.section	.text._ZN2at6native29vectorized_elementwise_kernelILi16ENS0_13AUnaryFunctorIfffZZZNS0_12_GLOBAL__N_133hermite_polynomial_he_kernel_cudaERNS_18TensorIteratorBaseEENKUlvE_clEvENKUlvE0_clEvEUlffE_EESt5arrayIPcLm2EEEEviT0_T1_,"axG",@progbits,_ZN2at6native29vectorized_elementwise_kernelILi16ENS0_13AUnaryFunctorIfffZZZNS0_12_GLOBAL__N_133hermite_polynomial_he_kernel_cudaERNS_18TensorIteratorBaseEENKUlvE_clEvENKUlvE0_clEvEUlffE_EESt5arrayIPcLm2EEEEviT0_T1_,comdat
	.globl	_ZN2at6native29vectorized_elementwise_kernelILi16ENS0_13AUnaryFunctorIfffZZZNS0_12_GLOBAL__N_133hermite_polynomial_he_kernel_cudaERNS_18TensorIteratorBaseEENKUlvE_clEvENKUlvE0_clEvEUlffE_EESt5arrayIPcLm2EEEEviT0_T1_ ; -- Begin function _ZN2at6native29vectorized_elementwise_kernelILi16ENS0_13AUnaryFunctorIfffZZZNS0_12_GLOBAL__N_133hermite_polynomial_he_kernel_cudaERNS_18TensorIteratorBaseEENKUlvE_clEvENKUlvE0_clEvEUlffE_EESt5arrayIPcLm2EEEEviT0_T1_
	.p2align	8
	.type	_ZN2at6native29vectorized_elementwise_kernelILi16ENS0_13AUnaryFunctorIfffZZZNS0_12_GLOBAL__N_133hermite_polynomial_he_kernel_cudaERNS_18TensorIteratorBaseEENKUlvE_clEvENKUlvE0_clEvEUlffE_EESt5arrayIPcLm2EEEEviT0_T1_,@function
_ZN2at6native29vectorized_elementwise_kernelILi16ENS0_13AUnaryFunctorIfffZZZNS0_12_GLOBAL__N_133hermite_polynomial_he_kernel_cudaERNS_18TensorIteratorBaseEENKUlvE_clEvENKUlvE0_clEvEUlffE_EESt5arrayIPcLm2EEEEviT0_T1_: ; @_ZN2at6native29vectorized_elementwise_kernelILi16ENS0_13AUnaryFunctorIfffZZZNS0_12_GLOBAL__N_133hermite_polynomial_he_kernel_cudaERNS_18TensorIteratorBaseEENKUlvE_clEvENKUlvE0_clEvEUlffE_EESt5arrayIPcLm2EEEEviT0_T1_
; %bb.0:
	s_load_dword s0, s[4:5], 0x0
	s_load_dword s21, s[4:5], 0x8
	s_load_dwordx4 s[8:11], s[4:5], 0x10
	s_lshl_b32 s2, s6, 10
	s_waitcnt lgkmcnt(0)
	s_sub_i32 s20, s0, s2
	s_cmpk_gt_i32 s20, 0x3ff
	s_mov_b64 s[0:1], -1
	s_cbranch_scc0 .LBB24_50
; %bb.1:
	s_ashr_i32 s3, s2, 31
	s_lshl_b64 s[0:1], s[2:3], 2
	s_add_u32 s4, s10, s0
	s_addc_u32 s5, s11, s1
	v_lshlrev_b32_e32 v1, 4, v0
	global_load_dwordx4 v[2:5], v1, s[4:5]
	s_mov_b32 s3, 0x2f800000
	s_mov_b32 s4, 0xcf800000
	s_waitcnt vmcnt(0)
	v_trunc_f32_e32 v6, v2
	v_mul_f32_e64 v2, |v6|, s3
	v_floor_f32_e32 v2, v2
	v_fma_f32 v7, v2, s4, |v6|
	v_cvt_u32_f32_e32 v7, v7
	v_cvt_u32_f32_e32 v8, v2
	v_ashrrev_i32_e32 v9, 31, v6
	v_mov_b32_e32 v2, 0
	v_xor_b32_e32 v6, v7, v9
	v_xor_b32_e32 v8, v8, v9
	v_sub_co_u32_e32 v6, vcc, v6, v9
	v_subb_co_u32_e32 v7, vcc, v8, v9, vcc
	v_cmp_lt_i64_e32 vcc, -1, v[6:7]
	s_and_saveexec_b64 s[4:5], vcc
	s_cbranch_execz .LBB24_13
; %bb.2:
	v_cmp_lt_i64_e32 vcc, 0, v[6:7]
	v_mov_b32_e32 v2, 1.0
	s_and_saveexec_b64 s[6:7], vcc
	s_cbranch_execz .LBB24_12
; %bb.3:
	v_cmp_ne_u64_e32 vcc, 1, v[6:7]
                                        ; implicit-def: $vgpr2
	s_and_saveexec_b64 s[12:13], vcc
	s_xor_b64 s[12:13], exec, s[12:13]
	s_cbranch_execz .LBB24_9
; %bb.4:
	s_mov_b64 s[14:15], 0x81
	v_cmp_gt_u64_e32 vcc, s[14:15], v[6:7]
	v_mov_b32_e32 v2, 0x7fc00000
	s_and_saveexec_b64 s[14:15], vcc
	s_cbranch_execz .LBB24_8
; %bb.5:
	s_mov_b64 s[18:19], 1
	s_mov_b64 s[16:17], 0
	v_mov_b32_e32 v2, s21
	v_mov_b32_e32 v8, 1.0
.LBB24_6:                               ; =>This Inner Loop Header: Depth=1
	s_flbit_i32_b32 s3, s19
	s_min_u32 s3, s3, 32
	s_lshl_b64 s[22:23], s[18:19], s3
	s_min_u32 s22, s22, 1
	s_or_b32 s22, s23, s22
	v_cvt_f32_u32_e32 v9, s22
	s_sub_i32 s3, 32, s3
	s_add_u32 s18, s18, 1
	s_addc_u32 s19, s19, 0
	v_ldexp_f32 v9, v9, s3
	v_cmp_eq_u64_e32 vcc, s[18:19], v[6:7]
	v_mul_f32_e32 v9, v8, v9
	s_or_b64 s[16:17], vcc, s[16:17]
	v_mov_b32_e32 v8, v2
	v_fma_f32 v2, v2, s21, -v9
	s_andn2_b64 exec, exec, s[16:17]
	s_cbranch_execnz .LBB24_6
; %bb.7:
	s_or_b64 exec, exec, s[16:17]
.LBB24_8:
	s_or_b64 exec, exec, s[14:15]
.LBB24_9:
	s_andn2_saveexec_b64 s[12:13], s[12:13]
; %bb.10:
	v_mov_b32_e32 v2, s21
; %bb.11:
	s_or_b64 exec, exec, s[12:13]
.LBB24_12:
	s_or_b64 exec, exec, s[6:7]
.LBB24_13:
	s_or_b64 exec, exec, s[4:5]
	v_trunc_f32_e32 v3, v3
	s_mov_b32 s3, 0x2f800000
	v_mul_f32_e64 v6, |v3|, s3
	v_floor_f32_e32 v6, v6
	s_mov_b32 s3, 0xcf800000
	v_cvt_u32_f32_e32 v7, v6
	v_fma_f32 v6, v6, s3, |v3|
	v_cvt_u32_f32_e32 v6, v6
	v_ashrrev_i32_e32 v3, 31, v3
	v_xor_b32_e32 v7, v7, v3
	v_xor_b32_e32 v6, v6, v3
	v_sub_co_u32_e32 v6, vcc, v6, v3
	v_subb_co_u32_e32 v7, vcc, v7, v3, vcc
	v_cmp_lt_i64_e32 vcc, -1, v[6:7]
	v_mov_b32_e32 v3, 0
	s_and_saveexec_b64 s[4:5], vcc
	s_cbranch_execz .LBB24_25
; %bb.14:
	v_cmp_lt_i64_e32 vcc, 0, v[6:7]
	v_mov_b32_e32 v3, 1.0
	s_and_saveexec_b64 s[6:7], vcc
	s_cbranch_execz .LBB24_24
; %bb.15:
	v_cmp_ne_u64_e32 vcc, 1, v[6:7]
	s_and_saveexec_b64 s[12:13], vcc
	s_xor_b64 s[12:13], exec, s[12:13]
	s_cbranch_execz .LBB24_21
; %bb.16:
	s_mov_b64 s[14:15], 0x81
	v_cmp_gt_u64_e32 vcc, s[14:15], v[6:7]
	v_mov_b32_e32 v3, 0x7fc00000
	s_and_saveexec_b64 s[14:15], vcc
	s_cbranch_execz .LBB24_20
; %bb.17:
	s_mov_b64 s[18:19], 1
	s_mov_b64 s[16:17], 0
	v_mov_b32_e32 v3, s21
	v_mov_b32_e32 v8, 1.0
.LBB24_18:                              ; =>This Inner Loop Header: Depth=1
	s_flbit_i32_b32 s3, s19
	s_min_u32 s3, s3, 32
	s_lshl_b64 s[22:23], s[18:19], s3
	s_min_u32 s22, s22, 1
	s_or_b32 s22, s23, s22
	v_cvt_f32_u32_e32 v9, s22
	s_sub_i32 s3, 32, s3
	s_add_u32 s18, s18, 1
	s_addc_u32 s19, s19, 0
	v_ldexp_f32 v9, v9, s3
	v_cmp_eq_u64_e32 vcc, s[18:19], v[6:7]
	v_mul_f32_e32 v9, v8, v9
	s_or_b64 s[16:17], vcc, s[16:17]
	v_mov_b32_e32 v8, v3
	v_fma_f32 v3, v3, s21, -v9
	s_andn2_b64 exec, exec, s[16:17]
	s_cbranch_execnz .LBB24_18
; %bb.19:
	s_or_b64 exec, exec, s[16:17]
.LBB24_20:
	s_or_b64 exec, exec, s[14:15]
.LBB24_21:
	s_andn2_saveexec_b64 s[12:13], s[12:13]
; %bb.22:
	v_mov_b32_e32 v3, s21
; %bb.23:
	s_or_b64 exec, exec, s[12:13]
.LBB24_24:
	s_or_b64 exec, exec, s[6:7]
.LBB24_25:
	s_or_b64 exec, exec, s[4:5]
	v_trunc_f32_e32 v4, v4
	s_mov_b32 s3, 0x2f800000
	v_mul_f32_e64 v6, |v4|, s3
	v_floor_f32_e32 v6, v6
	s_mov_b32 s3, 0xcf800000
	v_cvt_u32_f32_e32 v7, v6
	v_fma_f32 v6, v6, s3, |v4|
	v_cvt_u32_f32_e32 v6, v6
	v_ashrrev_i32_e32 v4, 31, v4
	v_xor_b32_e32 v7, v7, v4
	v_xor_b32_e32 v6, v6, v4
	v_sub_co_u32_e32 v6, vcc, v6, v4
	v_subb_co_u32_e32 v7, vcc, v7, v4, vcc
	v_cmp_lt_i64_e32 vcc, -1, v[6:7]
	v_mov_b32_e32 v4, 0
	s_and_saveexec_b64 s[4:5], vcc
	s_cbranch_execz .LBB24_37
; %bb.26:
	v_cmp_lt_i64_e32 vcc, 0, v[6:7]
	v_mov_b32_e32 v4, 1.0
	s_and_saveexec_b64 s[6:7], vcc
	s_cbranch_execz .LBB24_36
; %bb.27:
	v_cmp_ne_u64_e32 vcc, 1, v[6:7]
	s_and_saveexec_b64 s[12:13], vcc
	s_xor_b64 s[12:13], exec, s[12:13]
	s_cbranch_execz .LBB24_33
; %bb.28:
	s_mov_b64 s[14:15], 0x81
	v_cmp_gt_u64_e32 vcc, s[14:15], v[6:7]
	v_mov_b32_e32 v4, 0x7fc00000
	s_and_saveexec_b64 s[14:15], vcc
	s_cbranch_execz .LBB24_32
; %bb.29:
	s_mov_b64 s[18:19], 1
	s_mov_b64 s[16:17], 0
	v_mov_b32_e32 v4, s21
	v_mov_b32_e32 v8, 1.0
.LBB24_30:                              ; =>This Inner Loop Header: Depth=1
	s_flbit_i32_b32 s3, s19
	s_min_u32 s3, s3, 32
	s_lshl_b64 s[22:23], s[18:19], s3
	s_min_u32 s22, s22, 1
	s_or_b32 s22, s23, s22
	v_cvt_f32_u32_e32 v9, s22
	s_sub_i32 s3, 32, s3
	s_add_u32 s18, s18, 1
	s_addc_u32 s19, s19, 0
	v_ldexp_f32 v9, v9, s3
	v_cmp_eq_u64_e32 vcc, s[18:19], v[6:7]
	v_mul_f32_e32 v9, v8, v9
	s_or_b64 s[16:17], vcc, s[16:17]
	v_mov_b32_e32 v8, v4
	v_fma_f32 v4, v4, s21, -v9
	s_andn2_b64 exec, exec, s[16:17]
	s_cbranch_execnz .LBB24_30
; %bb.31:
	s_or_b64 exec, exec, s[16:17]
.LBB24_32:
	s_or_b64 exec, exec, s[14:15]
.LBB24_33:
	s_andn2_saveexec_b64 s[12:13], s[12:13]
; %bb.34:
	v_mov_b32_e32 v4, s21
; %bb.35:
	s_or_b64 exec, exec, s[12:13]
.LBB24_36:
	s_or_b64 exec, exec, s[6:7]
.LBB24_37:
	s_or_b64 exec, exec, s[4:5]
	v_trunc_f32_e32 v5, v5
	s_mov_b32 s3, 0x2f800000
	v_mul_f32_e64 v6, |v5|, s3
	v_floor_f32_e32 v6, v6
	s_mov_b32 s3, 0xcf800000
	v_cvt_u32_f32_e32 v7, v6
	v_fma_f32 v6, v6, s3, |v5|
	v_cvt_u32_f32_e32 v6, v6
	v_ashrrev_i32_e32 v5, 31, v5
	v_xor_b32_e32 v7, v7, v5
	v_xor_b32_e32 v6, v6, v5
	v_sub_co_u32_e32 v6, vcc, v6, v5
	v_subb_co_u32_e32 v7, vcc, v7, v5, vcc
	v_cmp_lt_i64_e32 vcc, -1, v[6:7]
	v_mov_b32_e32 v5, 0
	s_and_saveexec_b64 s[4:5], vcc
	s_cbranch_execz .LBB24_49
; %bb.38:
	v_cmp_lt_i64_e32 vcc, 0, v[6:7]
	v_mov_b32_e32 v5, 1.0
	s_and_saveexec_b64 s[6:7], vcc
	s_cbranch_execz .LBB24_48
; %bb.39:
	v_cmp_ne_u64_e32 vcc, 1, v[6:7]
	s_and_saveexec_b64 s[12:13], vcc
	s_xor_b64 s[12:13], exec, s[12:13]
	s_cbranch_execz .LBB24_45
; %bb.40:
	s_mov_b64 s[14:15], 0x81
	v_cmp_gt_u64_e32 vcc, s[14:15], v[6:7]
	v_mov_b32_e32 v5, 0x7fc00000
	s_and_saveexec_b64 s[14:15], vcc
	s_cbranch_execz .LBB24_44
; %bb.41:
	s_mov_b64 s[18:19], 1
	s_mov_b64 s[16:17], 0
	v_mov_b32_e32 v5, s21
	v_mov_b32_e32 v8, 1.0
.LBB24_42:                              ; =>This Inner Loop Header: Depth=1
	s_flbit_i32_b32 s3, s19
	s_min_u32 s3, s3, 32
	s_lshl_b64 s[22:23], s[18:19], s3
	s_min_u32 s22, s22, 1
	s_or_b32 s22, s23, s22
	v_cvt_f32_u32_e32 v9, s22
	s_sub_i32 s3, 32, s3
	s_add_u32 s18, s18, 1
	s_addc_u32 s19, s19, 0
	v_ldexp_f32 v9, v9, s3
	v_cmp_eq_u64_e32 vcc, s[18:19], v[6:7]
	v_mul_f32_e32 v9, v8, v9
	s_or_b64 s[16:17], vcc, s[16:17]
	v_mov_b32_e32 v8, v5
	v_fma_f32 v5, v5, s21, -v9
	s_andn2_b64 exec, exec, s[16:17]
	s_cbranch_execnz .LBB24_42
; %bb.43:
	s_or_b64 exec, exec, s[16:17]
.LBB24_44:
	s_or_b64 exec, exec, s[14:15]
.LBB24_45:
	s_andn2_saveexec_b64 s[12:13], s[12:13]
; %bb.46:
	v_mov_b32_e32 v5, s21
; %bb.47:
	s_or_b64 exec, exec, s[12:13]
.LBB24_48:
	s_or_b64 exec, exec, s[6:7]
.LBB24_49:
	s_or_b64 exec, exec, s[4:5]
	s_add_u32 s0, s8, s0
	s_addc_u32 s1, s9, s1
	global_store_dwordx4 v1, v[2:5], s[0:1]
	s_mov_b64 s[0:1], 0
.LBB24_50:
	s_and_b64 vcc, exec, s[0:1]
	s_cbranch_vccz .LBB24_107
; %bb.51:
	v_cmp_gt_i32_e32 vcc, s20, v0
	v_mov_b32_e32 v8, 0
	v_or_b32_e32 v6, s2, v0
	v_mov_b32_e32 v9, 0
	v_mov_b32_e32 v2, v0
	s_and_saveexec_b64 s[4:5], vcc
	s_cbranch_execz .LBB24_53
; %bb.52:
	v_mov_b32_e32 v7, 0
	v_lshlrev_b64 v[2:3], 2, v[6:7]
	v_mov_b32_e32 v1, s11
	v_add_co_u32_e64 v2, s[0:1], s10, v2
	v_addc_co_u32_e64 v3, s[0:1], v1, v3, s[0:1]
	global_load_dword v9, v[2:3], off
	v_or_b32_e32 v2, 0x100, v0
.LBB24_53:
	s_or_b64 exec, exec, s[4:5]
	v_cmp_gt_i32_e64 s[0:1], s20, v2
	s_and_saveexec_b64 s[4:5], s[0:1]
	s_cbranch_execz .LBB24_55
; %bb.54:
	v_add_u32_e32 v4, s2, v2
	v_mov_b32_e32 v5, 0
	v_lshlrev_b64 v[4:5], 2, v[4:5]
	v_mov_b32_e32 v1, s11
	v_add_co_u32_e64 v4, s[0:1], s10, v4
	v_addc_co_u32_e64 v5, s[0:1], v1, v5, s[0:1]
	global_load_dword v8, v[4:5], off
	v_add_u32_e32 v2, 0x100, v2
.LBB24_55:
	s_or_b64 exec, exec, s[4:5]
	v_cmp_gt_i32_e64 s[0:1], s20, v2
	v_mov_b32_e32 v1, 0
	v_mov_b32_e32 v7, 0
	s_and_saveexec_b64 s[4:5], s[0:1]
	s_cbranch_execnz .LBB24_58
; %bb.56:
	s_or_b64 exec, exec, s[4:5]
	v_cmp_gt_i32_e64 s[0:1], s20, v2
	s_and_saveexec_b64 s[4:5], s[0:1]
	s_cbranch_execnz .LBB24_59
.LBB24_57:
	s_or_b64 exec, exec, s[4:5]
                                        ; implicit-def: $vgpr2_vgpr3_vgpr4_vgpr5
	s_and_saveexec_b64 s[4:5], vcc
	s_cbranch_execnz .LBB24_60
	s_branch .LBB24_73
.LBB24_58:
	v_add_u32_e32 v4, s2, v2
	v_mov_b32_e32 v5, 0
	v_lshlrev_b64 v[4:5], 2, v[4:5]
	v_mov_b32_e32 v3, s11
	v_add_co_u32_e64 v4, s[0:1], s10, v4
	v_addc_co_u32_e64 v5, s[0:1], v3, v5, s[0:1]
	global_load_dword v7, v[4:5], off
	v_add_u32_e32 v2, 0x100, v2
	s_or_b64 exec, exec, s[4:5]
	v_cmp_gt_i32_e64 s[0:1], s20, v2
	s_and_saveexec_b64 s[4:5], s[0:1]
	s_cbranch_execz .LBB24_57
.LBB24_59:
	v_add_u32_e32 v2, s2, v2
	v_mov_b32_e32 v3, 0
	v_lshlrev_b64 v[2:3], 2, v[2:3]
	v_mov_b32_e32 v1, s11
	v_add_co_u32_e64 v2, s[0:1], s10, v2
	v_addc_co_u32_e64 v3, s[0:1], v1, v3, s[0:1]
	global_load_dword v1, v[2:3], off
	s_or_b64 exec, exec, s[4:5]
                                        ; implicit-def: $vgpr2_vgpr3_vgpr4_vgpr5
	s_and_saveexec_b64 s[4:5], vcc
	s_cbranch_execz .LBB24_73
.LBB24_60:
	s_waitcnt vmcnt(0)
	v_trunc_f32_e32 v2, v9
	s_mov_b32 s0, 0x2f800000
	v_mul_f32_e64 v3, |v2|, s0
	v_floor_f32_e32 v3, v3
	s_mov_b32 s0, 0xcf800000
	v_cvt_u32_f32_e32 v4, v3
	v_fma_f32 v3, v3, s0, |v2|
	v_cvt_u32_f32_e32 v3, v3
	v_ashrrev_i32_e32 v2, 31, v2
	v_xor_b32_e32 v5, v4, v2
	v_xor_b32_e32 v3, v3, v2
	v_sub_co_u32_e64 v4, s[0:1], v3, v2
	v_subb_co_u32_e64 v5, s[0:1], v5, v2, s[0:1]
	v_cmp_lt_i64_e64 s[0:1], -1, v[4:5]
	v_mov_b32_e32 v2, 0
	s_and_saveexec_b64 s[6:7], s[0:1]
	s_cbranch_execz .LBB24_72
; %bb.61:
	v_cmp_lt_i64_e64 s[0:1], 0, v[4:5]
	v_mov_b32_e32 v2, 1.0
	s_and_saveexec_b64 s[10:11], s[0:1]
	s_cbranch_execz .LBB24_71
; %bb.62:
	v_cmp_ne_u64_e64 s[0:1], 1, v[4:5]
                                        ; implicit-def: $vgpr2
	s_and_saveexec_b64 s[12:13], s[0:1]
	s_xor_b64 s[12:13], exec, s[12:13]
	s_cbranch_execz .LBB24_68
; %bb.63:
	s_mov_b64 s[0:1], 0x81
	v_cmp_gt_u64_e64 s[0:1], s[0:1], v[4:5]
	v_mov_b32_e32 v2, 0x7fc00000
	s_and_saveexec_b64 s[14:15], s[0:1]
	s_cbranch_execz .LBB24_67
; %bb.64:
	s_mov_b64 s[18:19], 1
	s_mov_b64 s[16:17], 0
	v_mov_b32_e32 v2, s21
	v_mov_b32_e32 v3, 1.0
.LBB24_65:                              ; =>This Inner Loop Header: Depth=1
	s_flbit_i32_b32 s0, s19
	s_min_u32 s3, s0, 32
	s_lshl_b64 s[0:1], s[18:19], s3
	s_min_u32 s0, s0, 1
	s_or_b32 s0, s1, s0
	v_cvt_f32_u32_e32 v9, s0
	s_sub_i32 s3, 32, s3
	s_add_u32 s18, s18, 1
	s_addc_u32 s19, s19, 0
	v_ldexp_f32 v9, v9, s3
	v_cmp_eq_u64_e64 s[0:1], s[18:19], v[4:5]
	v_mul_f32_e32 v9, v3, v9
	s_or_b64 s[16:17], s[0:1], s[16:17]
	v_mov_b32_e32 v3, v2
	v_fma_f32 v2, v2, s21, -v9
	s_andn2_b64 exec, exec, s[16:17]
	s_cbranch_execnz .LBB24_65
; %bb.66:
	s_or_b64 exec, exec, s[16:17]
.LBB24_67:
	s_or_b64 exec, exec, s[14:15]
.LBB24_68:
	s_andn2_saveexec_b64 s[0:1], s[12:13]
; %bb.69:
	v_mov_b32_e32 v2, s21
; %bb.70:
	s_or_b64 exec, exec, s[0:1]
.LBB24_71:
	s_or_b64 exec, exec, s[10:11]
.LBB24_72:
	s_or_b64 exec, exec, s[6:7]
.LBB24_73:
	s_or_b64 exec, exec, s[4:5]
	v_or_b32_e32 v10, 0x100, v0
	v_cmp_gt_i32_e64 s[0:1], s20, v10
	s_and_saveexec_b64 s[4:5], s[0:1]
	s_cbranch_execz .LBB24_87
; %bb.74:
	s_waitcnt vmcnt(0)
	v_trunc_f32_e32 v3, v8
	s_mov_b32 s0, 0x2f800000
	v_mul_f32_e64 v8, |v3|, s0
	v_floor_f32_e32 v8, v8
	s_mov_b32 s0, 0xcf800000
	v_cvt_u32_f32_e32 v9, v8
	v_fma_f32 v8, v8, s0, |v3|
	v_cvt_u32_f32_e32 v8, v8
	v_ashrrev_i32_e32 v3, 31, v3
	v_xor_b32_e32 v9, v9, v3
	v_xor_b32_e32 v8, v8, v3
	v_sub_co_u32_e64 v8, s[0:1], v8, v3
	v_subb_co_u32_e64 v9, s[0:1], v9, v3, s[0:1]
	v_cmp_lt_i64_e64 s[0:1], -1, v[8:9]
	v_mov_b32_e32 v3, 0
	s_and_saveexec_b64 s[6:7], s[0:1]
	s_cbranch_execz .LBB24_86
; %bb.75:
	v_cmp_lt_i64_e64 s[0:1], 0, v[8:9]
	v_mov_b32_e32 v3, 1.0
	s_and_saveexec_b64 s[10:11], s[0:1]
	s_cbranch_execz .LBB24_85
; %bb.76:
	v_cmp_ne_u64_e64 s[0:1], 1, v[8:9]
	s_and_saveexec_b64 s[12:13], s[0:1]
	s_xor_b64 s[12:13], exec, s[12:13]
	s_cbranch_execz .LBB24_82
; %bb.77:
	s_mov_b64 s[0:1], 0x81
	v_cmp_gt_u64_e64 s[0:1], s[0:1], v[8:9]
	v_mov_b32_e32 v3, 0x7fc00000
	s_and_saveexec_b64 s[14:15], s[0:1]
	s_cbranch_execz .LBB24_81
; %bb.78:
	s_mov_b64 s[18:19], 1
	s_mov_b64 s[16:17], 0
	v_mov_b32_e32 v3, s21
	v_mov_b32_e32 v11, 1.0
.LBB24_79:                              ; =>This Inner Loop Header: Depth=1
	s_flbit_i32_b32 s0, s19
	s_min_u32 s3, s0, 32
	s_lshl_b64 s[0:1], s[18:19], s3
	s_min_u32 s0, s0, 1
	s_or_b32 s0, s1, s0
	v_cvt_f32_u32_e32 v12, s0
	s_sub_i32 s3, 32, s3
	s_add_u32 s18, s18, 1
	s_addc_u32 s19, s19, 0
	v_ldexp_f32 v12, v12, s3
	v_cmp_eq_u64_e64 s[0:1], s[18:19], v[8:9]
	v_mul_f32_e32 v12, v11, v12
	s_or_b64 s[16:17], s[0:1], s[16:17]
	v_mov_b32_e32 v11, v3
	v_fma_f32 v3, v3, s21, -v12
	s_andn2_b64 exec, exec, s[16:17]
	s_cbranch_execnz .LBB24_79
; %bb.80:
	s_or_b64 exec, exec, s[16:17]
.LBB24_81:
	s_or_b64 exec, exec, s[14:15]
.LBB24_82:
	s_andn2_saveexec_b64 s[0:1], s[12:13]
; %bb.83:
	v_mov_b32_e32 v3, s21
; %bb.84:
	s_or_b64 exec, exec, s[0:1]
.LBB24_85:
	s_or_b64 exec, exec, s[10:11]
.LBB24_86:
	s_or_b64 exec, exec, s[6:7]
.LBB24_87:
	s_or_b64 exec, exec, s[4:5]
	s_waitcnt vmcnt(0)
	v_or_b32_e32 v8, 0x200, v0
	v_cmp_gt_i32_e64 s[0:1], s20, v8
	s_and_saveexec_b64 s[4:5], s[0:1]
	s_cbranch_execz .LBB24_101
; %bb.88:
	v_trunc_f32_e32 v4, v7
	s_mov_b32 s0, 0x2f800000
	v_mul_f32_e64 v7, |v4|, s0
	v_floor_f32_e32 v7, v7
	s_mov_b32 s0, 0xcf800000
	v_cvt_u32_f32_e32 v8, v7
	v_fma_f32 v7, v7, s0, |v4|
	v_cvt_u32_f32_e32 v7, v7
	v_ashrrev_i32_e32 v4, 31, v4
	v_xor_b32_e32 v9, v8, v4
	v_xor_b32_e32 v7, v7, v4
	v_sub_co_u32_e64 v8, s[0:1], v7, v4
	v_subb_co_u32_e64 v9, s[0:1], v9, v4, s[0:1]
	v_cmp_lt_i64_e64 s[0:1], -1, v[8:9]
	v_mov_b32_e32 v4, 0
	s_and_saveexec_b64 s[6:7], s[0:1]
	s_cbranch_execz .LBB24_100
; %bb.89:
	v_cmp_lt_i64_e64 s[0:1], 0, v[8:9]
	v_mov_b32_e32 v4, 1.0
	s_and_saveexec_b64 s[10:11], s[0:1]
	s_cbranch_execz .LBB24_99
; %bb.90:
	v_cmp_ne_u64_e64 s[0:1], 1, v[8:9]
	s_and_saveexec_b64 s[12:13], s[0:1]
	s_xor_b64 s[12:13], exec, s[12:13]
	s_cbranch_execz .LBB24_96
; %bb.91:
	s_mov_b64 s[0:1], 0x81
	v_cmp_gt_u64_e64 s[0:1], s[0:1], v[8:9]
	v_mov_b32_e32 v4, 0x7fc00000
	s_and_saveexec_b64 s[14:15], s[0:1]
	s_cbranch_execz .LBB24_95
; %bb.92:
	s_mov_b64 s[18:19], 1
	s_mov_b64 s[16:17], 0
	v_mov_b32_e32 v4, s21
	v_mov_b32_e32 v7, 1.0
.LBB24_93:                              ; =>This Inner Loop Header: Depth=1
	s_flbit_i32_b32 s0, s19
	s_min_u32 s3, s0, 32
	s_lshl_b64 s[0:1], s[18:19], s3
	s_min_u32 s0, s0, 1
	s_or_b32 s0, s1, s0
	v_cvt_f32_u32_e32 v11, s0
	s_sub_i32 s3, 32, s3
	s_add_u32 s18, s18, 1
	s_addc_u32 s19, s19, 0
	v_ldexp_f32 v11, v11, s3
	v_cmp_eq_u64_e64 s[0:1], s[18:19], v[8:9]
	v_mul_f32_e32 v11, v7, v11
	s_or_b64 s[16:17], s[0:1], s[16:17]
	v_mov_b32_e32 v7, v4
	v_fma_f32 v4, v4, s21, -v11
	s_andn2_b64 exec, exec, s[16:17]
	s_cbranch_execnz .LBB24_93
; %bb.94:
	s_or_b64 exec, exec, s[16:17]
.LBB24_95:
	s_or_b64 exec, exec, s[14:15]
.LBB24_96:
	s_andn2_saveexec_b64 s[0:1], s[12:13]
; %bb.97:
	v_mov_b32_e32 v4, s21
; %bb.98:
	s_or_b64 exec, exec, s[0:1]
.LBB24_99:
	s_or_b64 exec, exec, s[10:11]
.LBB24_100:
	s_or_b64 exec, exec, s[6:7]
.LBB24_101:
	s_or_b64 exec, exec, s[4:5]
	v_or_b32_e32 v7, 0x300, v0
	v_cmp_gt_i32_e64 s[0:1], s20, v7
	s_and_saveexec_b64 s[4:5], s[0:1]
	s_cbranch_execnz .LBB24_108
; %bb.102:
	s_or_b64 exec, exec, s[4:5]
	s_and_saveexec_b64 s[0:1], vcc
	s_xor_b64 s[0:1], exec, s[0:1]
	s_cbranch_execnz .LBB24_121
.LBB24_103:
	s_or_b64 exec, exec, s[0:1]
	v_cmp_gt_i32_e32 vcc, s20, v0
	s_and_saveexec_b64 s[0:1], vcc
	s_cbranch_execnz .LBB24_122
.LBB24_104:
	s_or_b64 exec, exec, s[0:1]
	v_cmp_gt_i32_e32 vcc, s20, v0
	s_and_saveexec_b64 s[0:1], vcc
	s_cbranch_execnz .LBB24_123
.LBB24_105:
	s_or_b64 exec, exec, s[0:1]
	v_cmp_gt_i32_e32 vcc, s20, v0
	s_and_saveexec_b64 s[0:1], vcc
	s_cbranch_execz .LBB24_107
.LBB24_106:
	v_add_u32_e32 v0, s2, v0
	v_mov_b32_e32 v1, 0
	v_lshlrev_b64 v[0:1], 2, v[0:1]
	v_mov_b32_e32 v2, s9
	v_add_co_u32_e32 v0, vcc, s8, v0
	v_addc_co_u32_e32 v1, vcc, v2, v1, vcc
	global_store_dword v[0:1], v5, off
.LBB24_107:
	s_endpgm
.LBB24_108:
	v_trunc_f32_e32 v1, v1
	s_mov_b32 s0, 0x2f800000
	v_mul_f32_e64 v5, |v1|, s0
	v_floor_f32_e32 v5, v5
	s_mov_b32 s0, 0xcf800000
	v_cvt_u32_f32_e32 v7, v5
	v_fma_f32 v5, v5, s0, |v1|
	v_cvt_u32_f32_e32 v5, v5
	v_ashrrev_i32_e32 v1, 31, v1
	v_xor_b32_e32 v7, v7, v1
	v_xor_b32_e32 v5, v5, v1
	v_sub_co_u32_e64 v8, s[0:1], v5, v1
	v_subb_co_u32_e64 v9, s[0:1], v7, v1, s[0:1]
	v_cmp_lt_i64_e64 s[0:1], -1, v[8:9]
	v_mov_b32_e32 v5, 0
	s_and_saveexec_b64 s[6:7], s[0:1]
	s_cbranch_execz .LBB24_120
; %bb.109:
	v_cmp_lt_i64_e64 s[0:1], 0, v[8:9]
	v_mov_b32_e32 v5, 1.0
	s_and_saveexec_b64 s[10:11], s[0:1]
	s_cbranch_execz .LBB24_119
; %bb.110:
	v_cmp_ne_u64_e64 s[0:1], 1, v[8:9]
	s_and_saveexec_b64 s[12:13], s[0:1]
	s_xor_b64 s[12:13], exec, s[12:13]
	s_cbranch_execz .LBB24_116
; %bb.111:
	s_mov_b64 s[0:1], 0x81
	v_cmp_gt_u64_e64 s[0:1], s[0:1], v[8:9]
	v_mov_b32_e32 v5, 0x7fc00000
	s_and_saveexec_b64 s[14:15], s[0:1]
	s_cbranch_execz .LBB24_115
; %bb.112:
	s_mov_b64 s[18:19], 1
	s_mov_b64 s[16:17], 0
	v_mov_b32_e32 v5, s21
	v_mov_b32_e32 v1, 1.0
.LBB24_113:                             ; =>This Inner Loop Header: Depth=1
	s_flbit_i32_b32 s0, s19
	s_min_u32 s3, s0, 32
	s_lshl_b64 s[0:1], s[18:19], s3
	s_min_u32 s0, s0, 1
	s_or_b32 s0, s1, s0
	v_cvt_f32_u32_e32 v7, s0
	s_sub_i32 s3, 32, s3
	s_add_u32 s18, s18, 1
	s_addc_u32 s19, s19, 0
	v_ldexp_f32 v7, v7, s3
	v_cmp_eq_u64_e64 s[0:1], s[18:19], v[8:9]
	v_mul_f32_e32 v7, v1, v7
	s_or_b64 s[16:17], s[0:1], s[16:17]
	v_mov_b32_e32 v1, v5
	v_fma_f32 v5, v5, s21, -v7
	s_andn2_b64 exec, exec, s[16:17]
	s_cbranch_execnz .LBB24_113
; %bb.114:
	s_or_b64 exec, exec, s[16:17]
.LBB24_115:
	s_or_b64 exec, exec, s[14:15]
.LBB24_116:
	s_andn2_saveexec_b64 s[0:1], s[12:13]
; %bb.117:
	v_mov_b32_e32 v5, s21
; %bb.118:
	s_or_b64 exec, exec, s[0:1]
.LBB24_119:
	s_or_b64 exec, exec, s[10:11]
.LBB24_120:
	s_or_b64 exec, exec, s[6:7]
	s_or_b64 exec, exec, s[4:5]
	s_and_saveexec_b64 s[0:1], vcc
	s_xor_b64 s[0:1], exec, s[0:1]
	s_cbranch_execz .LBB24_103
.LBB24_121:
	v_mov_b32_e32 v7, 0
	v_lshlrev_b64 v[0:1], 2, v[6:7]
	v_mov_b32_e32 v6, s9
	v_add_co_u32_e32 v0, vcc, s8, v0
	v_addc_co_u32_e32 v1, vcc, v6, v1, vcc
	global_store_dword v[0:1], v2, off
	v_mov_b32_e32 v0, v10
	s_or_b64 exec, exec, s[0:1]
	v_cmp_gt_i32_e32 vcc, s20, v0
	s_and_saveexec_b64 s[0:1], vcc
	s_cbranch_execz .LBB24_104
.LBB24_122:
	v_add_u32_e32 v6, s2, v0
	v_mov_b32_e32 v7, 0
	v_lshlrev_b64 v[6:7], 2, v[6:7]
	v_mov_b32_e32 v1, s9
	v_add_co_u32_e32 v6, vcc, s8, v6
	v_addc_co_u32_e32 v7, vcc, v1, v7, vcc
	v_add_u32_e32 v0, 0x100, v0
	global_store_dword v[6:7], v3, off
	s_or_b64 exec, exec, s[0:1]
	v_cmp_gt_i32_e32 vcc, s20, v0
	s_and_saveexec_b64 s[0:1], vcc
	s_cbranch_execz .LBB24_105
.LBB24_123:
	v_add_u32_e32 v2, s2, v0
	v_mov_b32_e32 v3, 0
	v_lshlrev_b64 v[2:3], 2, v[2:3]
	v_mov_b32_e32 v1, s9
	v_add_co_u32_e32 v2, vcc, s8, v2
	v_addc_co_u32_e32 v3, vcc, v1, v3, vcc
	v_add_u32_e32 v0, 0x100, v0
	global_store_dword v[2:3], v4, off
	s_or_b64 exec, exec, s[0:1]
	v_cmp_gt_i32_e32 vcc, s20, v0
	s_and_saveexec_b64 s[0:1], vcc
	s_cbranch_execnz .LBB24_106
	s_branch .LBB24_107
	.section	.rodata,"a",@progbits
	.p2align	6, 0x0
	.amdhsa_kernel _ZN2at6native29vectorized_elementwise_kernelILi16ENS0_13AUnaryFunctorIfffZZZNS0_12_GLOBAL__N_133hermite_polynomial_he_kernel_cudaERNS_18TensorIteratorBaseEENKUlvE_clEvENKUlvE0_clEvEUlffE_EESt5arrayIPcLm2EEEEviT0_T1_
		.amdhsa_group_segment_fixed_size 0
		.amdhsa_private_segment_fixed_size 0
		.amdhsa_kernarg_size 32
		.amdhsa_user_sgpr_count 6
		.amdhsa_user_sgpr_private_segment_buffer 1
		.amdhsa_user_sgpr_dispatch_ptr 0
		.amdhsa_user_sgpr_queue_ptr 0
		.amdhsa_user_sgpr_kernarg_segment_ptr 1
		.amdhsa_user_sgpr_dispatch_id 0
		.amdhsa_user_sgpr_flat_scratch_init 0
		.amdhsa_user_sgpr_kernarg_preload_length 0
		.amdhsa_user_sgpr_kernarg_preload_offset 0
		.amdhsa_user_sgpr_private_segment_size 0
		.amdhsa_uses_dynamic_stack 0
		.amdhsa_system_sgpr_private_segment_wavefront_offset 0
		.amdhsa_system_sgpr_workgroup_id_x 1
		.amdhsa_system_sgpr_workgroup_id_y 0
		.amdhsa_system_sgpr_workgroup_id_z 0
		.amdhsa_system_sgpr_workgroup_info 0
		.amdhsa_system_vgpr_workitem_id 0
		.amdhsa_next_free_vgpr 13
		.amdhsa_next_free_sgpr 24
		.amdhsa_accum_offset 16
		.amdhsa_reserve_vcc 1
		.amdhsa_reserve_flat_scratch 0
		.amdhsa_float_round_mode_32 0
		.amdhsa_float_round_mode_16_64 0
		.amdhsa_float_denorm_mode_32 3
		.amdhsa_float_denorm_mode_16_64 3
		.amdhsa_dx10_clamp 1
		.amdhsa_ieee_mode 1
		.amdhsa_fp16_overflow 0
		.amdhsa_tg_split 0
		.amdhsa_exception_fp_ieee_invalid_op 0
		.amdhsa_exception_fp_denorm_src 0
		.amdhsa_exception_fp_ieee_div_zero 0
		.amdhsa_exception_fp_ieee_overflow 0
		.amdhsa_exception_fp_ieee_underflow 0
		.amdhsa_exception_fp_ieee_inexact 0
		.amdhsa_exception_int_div_zero 0
	.end_amdhsa_kernel
	.section	.text._ZN2at6native29vectorized_elementwise_kernelILi16ENS0_13AUnaryFunctorIfffZZZNS0_12_GLOBAL__N_133hermite_polynomial_he_kernel_cudaERNS_18TensorIteratorBaseEENKUlvE_clEvENKUlvE0_clEvEUlffE_EESt5arrayIPcLm2EEEEviT0_T1_,"axG",@progbits,_ZN2at6native29vectorized_elementwise_kernelILi16ENS0_13AUnaryFunctorIfffZZZNS0_12_GLOBAL__N_133hermite_polynomial_he_kernel_cudaERNS_18TensorIteratorBaseEENKUlvE_clEvENKUlvE0_clEvEUlffE_EESt5arrayIPcLm2EEEEviT0_T1_,comdat
.Lfunc_end24:
	.size	_ZN2at6native29vectorized_elementwise_kernelILi16ENS0_13AUnaryFunctorIfffZZZNS0_12_GLOBAL__N_133hermite_polynomial_he_kernel_cudaERNS_18TensorIteratorBaseEENKUlvE_clEvENKUlvE0_clEvEUlffE_EESt5arrayIPcLm2EEEEviT0_T1_, .Lfunc_end24-_ZN2at6native29vectorized_elementwise_kernelILi16ENS0_13AUnaryFunctorIfffZZZNS0_12_GLOBAL__N_133hermite_polynomial_he_kernel_cudaERNS_18TensorIteratorBaseEENKUlvE_clEvENKUlvE0_clEvEUlffE_EESt5arrayIPcLm2EEEEviT0_T1_
                                        ; -- End function
	.section	.AMDGPU.csdata,"",@progbits
; Kernel info:
; codeLenInByte = 3064
; NumSgprs: 28
; NumVgprs: 13
; NumAgprs: 0
; TotalNumVgprs: 13
; ScratchSize: 0
; MemoryBound: 0
; FloatMode: 240
; IeeeMode: 1
; LDSByteSize: 0 bytes/workgroup (compile time only)
; SGPRBlocks: 3
; VGPRBlocks: 1
; NumSGPRsForWavesPerEU: 28
; NumVGPRsForWavesPerEU: 13
; AccumOffset: 16
; Occupancy: 8
; WaveLimiterHint : 0
; COMPUTE_PGM_RSRC2:SCRATCH_EN: 0
; COMPUTE_PGM_RSRC2:USER_SGPR: 6
; COMPUTE_PGM_RSRC2:TRAP_HANDLER: 0
; COMPUTE_PGM_RSRC2:TGID_X_EN: 1
; COMPUTE_PGM_RSRC2:TGID_Y_EN: 0
; COMPUTE_PGM_RSRC2:TGID_Z_EN: 0
; COMPUTE_PGM_RSRC2:TIDIG_COMP_CNT: 0
; COMPUTE_PGM_RSRC3_GFX90A:ACCUM_OFFSET: 3
; COMPUTE_PGM_RSRC3_GFX90A:TG_SPLIT: 0
	.section	.text._ZN2at6native29vectorized_elementwise_kernelILi8ENS0_13AUnaryFunctorIfffZZZNS0_12_GLOBAL__N_133hermite_polynomial_he_kernel_cudaERNS_18TensorIteratorBaseEENKUlvE_clEvENKUlvE0_clEvEUlffE_EESt5arrayIPcLm2EEEEviT0_T1_,"axG",@progbits,_ZN2at6native29vectorized_elementwise_kernelILi8ENS0_13AUnaryFunctorIfffZZZNS0_12_GLOBAL__N_133hermite_polynomial_he_kernel_cudaERNS_18TensorIteratorBaseEENKUlvE_clEvENKUlvE0_clEvEUlffE_EESt5arrayIPcLm2EEEEviT0_T1_,comdat
	.globl	_ZN2at6native29vectorized_elementwise_kernelILi8ENS0_13AUnaryFunctorIfffZZZNS0_12_GLOBAL__N_133hermite_polynomial_he_kernel_cudaERNS_18TensorIteratorBaseEENKUlvE_clEvENKUlvE0_clEvEUlffE_EESt5arrayIPcLm2EEEEviT0_T1_ ; -- Begin function _ZN2at6native29vectorized_elementwise_kernelILi8ENS0_13AUnaryFunctorIfffZZZNS0_12_GLOBAL__N_133hermite_polynomial_he_kernel_cudaERNS_18TensorIteratorBaseEENKUlvE_clEvENKUlvE0_clEvEUlffE_EESt5arrayIPcLm2EEEEviT0_T1_
	.p2align	8
	.type	_ZN2at6native29vectorized_elementwise_kernelILi8ENS0_13AUnaryFunctorIfffZZZNS0_12_GLOBAL__N_133hermite_polynomial_he_kernel_cudaERNS_18TensorIteratorBaseEENKUlvE_clEvENKUlvE0_clEvEUlffE_EESt5arrayIPcLm2EEEEviT0_T1_,@function
_ZN2at6native29vectorized_elementwise_kernelILi8ENS0_13AUnaryFunctorIfffZZZNS0_12_GLOBAL__N_133hermite_polynomial_he_kernel_cudaERNS_18TensorIteratorBaseEENKUlvE_clEvENKUlvE0_clEvEUlffE_EESt5arrayIPcLm2EEEEviT0_T1_: ; @_ZN2at6native29vectorized_elementwise_kernelILi8ENS0_13AUnaryFunctorIfffZZZNS0_12_GLOBAL__N_133hermite_polynomial_he_kernel_cudaERNS_18TensorIteratorBaseEENKUlvE_clEvENKUlvE0_clEvEUlffE_EESt5arrayIPcLm2EEEEviT0_T1_
; %bb.0:
	s_load_dword s0, s[4:5], 0x0
	s_load_dword s21, s[4:5], 0x8
	s_load_dwordx4 s[8:11], s[4:5], 0x10
	s_lshl_b32 s2, s6, 10
	s_waitcnt lgkmcnt(0)
	s_sub_i32 s20, s0, s2
	s_cmpk_gt_i32 s20, 0x3ff
	s_mov_b64 s[0:1], -1
	s_cbranch_scc0 .LBB25_50
; %bb.1:
	s_ashr_i32 s3, s2, 31
	s_lshl_b64 s[0:1], s[2:3], 2
	s_add_u32 s4, s10, s0
	s_addc_u32 s5, s11, s1
	v_lshlrev_b32_e32 v1, 4, v0
	global_load_dwordx4 v[2:5], v1, s[4:5]
	s_mov_b32 s3, 0x2f800000
	s_mov_b32 s4, 0xcf800000
	s_waitcnt vmcnt(0)
	v_trunc_f32_e32 v6, v2
	v_mul_f32_e64 v2, |v6|, s3
	v_floor_f32_e32 v2, v2
	v_fma_f32 v7, v2, s4, |v6|
	v_cvt_u32_f32_e32 v7, v7
	v_cvt_u32_f32_e32 v8, v2
	v_ashrrev_i32_e32 v9, 31, v6
	v_mov_b32_e32 v2, 0
	v_xor_b32_e32 v6, v7, v9
	v_xor_b32_e32 v8, v8, v9
	v_sub_co_u32_e32 v6, vcc, v6, v9
	v_subb_co_u32_e32 v7, vcc, v8, v9, vcc
	v_cmp_lt_i64_e32 vcc, -1, v[6:7]
	s_and_saveexec_b64 s[4:5], vcc
	s_cbranch_execz .LBB25_13
; %bb.2:
	v_cmp_lt_i64_e32 vcc, 0, v[6:7]
	v_mov_b32_e32 v2, 1.0
	s_and_saveexec_b64 s[6:7], vcc
	s_cbranch_execz .LBB25_12
; %bb.3:
	v_cmp_ne_u64_e32 vcc, 1, v[6:7]
                                        ; implicit-def: $vgpr2
	s_and_saveexec_b64 s[12:13], vcc
	s_xor_b64 s[12:13], exec, s[12:13]
	s_cbranch_execz .LBB25_9
; %bb.4:
	s_mov_b64 s[14:15], 0x81
	v_cmp_gt_u64_e32 vcc, s[14:15], v[6:7]
	v_mov_b32_e32 v2, 0x7fc00000
	s_and_saveexec_b64 s[14:15], vcc
	s_cbranch_execz .LBB25_8
; %bb.5:
	s_mov_b64 s[18:19], 1
	s_mov_b64 s[16:17], 0
	v_mov_b32_e32 v2, s21
	v_mov_b32_e32 v8, 1.0
.LBB25_6:                               ; =>This Inner Loop Header: Depth=1
	s_flbit_i32_b32 s3, s19
	s_min_u32 s3, s3, 32
	s_lshl_b64 s[22:23], s[18:19], s3
	s_min_u32 s22, s22, 1
	s_or_b32 s22, s23, s22
	v_cvt_f32_u32_e32 v9, s22
	s_sub_i32 s3, 32, s3
	s_add_u32 s18, s18, 1
	s_addc_u32 s19, s19, 0
	v_ldexp_f32 v9, v9, s3
	v_cmp_eq_u64_e32 vcc, s[18:19], v[6:7]
	v_mul_f32_e32 v9, v8, v9
	s_or_b64 s[16:17], vcc, s[16:17]
	v_mov_b32_e32 v8, v2
	v_fma_f32 v2, v2, s21, -v9
	s_andn2_b64 exec, exec, s[16:17]
	s_cbranch_execnz .LBB25_6
; %bb.7:
	s_or_b64 exec, exec, s[16:17]
.LBB25_8:
	s_or_b64 exec, exec, s[14:15]
.LBB25_9:
	s_andn2_saveexec_b64 s[12:13], s[12:13]
; %bb.10:
	v_mov_b32_e32 v2, s21
; %bb.11:
	s_or_b64 exec, exec, s[12:13]
.LBB25_12:
	s_or_b64 exec, exec, s[6:7]
.LBB25_13:
	s_or_b64 exec, exec, s[4:5]
	v_trunc_f32_e32 v3, v3
	s_mov_b32 s3, 0x2f800000
	v_mul_f32_e64 v6, |v3|, s3
	v_floor_f32_e32 v6, v6
	s_mov_b32 s3, 0xcf800000
	v_cvt_u32_f32_e32 v7, v6
	v_fma_f32 v6, v6, s3, |v3|
	v_cvt_u32_f32_e32 v6, v6
	v_ashrrev_i32_e32 v3, 31, v3
	v_xor_b32_e32 v7, v7, v3
	v_xor_b32_e32 v6, v6, v3
	v_sub_co_u32_e32 v6, vcc, v6, v3
	v_subb_co_u32_e32 v7, vcc, v7, v3, vcc
	v_cmp_lt_i64_e32 vcc, -1, v[6:7]
	v_mov_b32_e32 v3, 0
	s_and_saveexec_b64 s[4:5], vcc
	s_cbranch_execz .LBB25_25
; %bb.14:
	v_cmp_lt_i64_e32 vcc, 0, v[6:7]
	v_mov_b32_e32 v3, 1.0
	s_and_saveexec_b64 s[6:7], vcc
	s_cbranch_execz .LBB25_24
; %bb.15:
	v_cmp_ne_u64_e32 vcc, 1, v[6:7]
	s_and_saveexec_b64 s[12:13], vcc
	s_xor_b64 s[12:13], exec, s[12:13]
	s_cbranch_execz .LBB25_21
; %bb.16:
	s_mov_b64 s[14:15], 0x81
	v_cmp_gt_u64_e32 vcc, s[14:15], v[6:7]
	v_mov_b32_e32 v3, 0x7fc00000
	s_and_saveexec_b64 s[14:15], vcc
	s_cbranch_execz .LBB25_20
; %bb.17:
	s_mov_b64 s[18:19], 1
	s_mov_b64 s[16:17], 0
	v_mov_b32_e32 v3, s21
	v_mov_b32_e32 v8, 1.0
.LBB25_18:                              ; =>This Inner Loop Header: Depth=1
	s_flbit_i32_b32 s3, s19
	s_min_u32 s3, s3, 32
	s_lshl_b64 s[22:23], s[18:19], s3
	s_min_u32 s22, s22, 1
	s_or_b32 s22, s23, s22
	v_cvt_f32_u32_e32 v9, s22
	s_sub_i32 s3, 32, s3
	s_add_u32 s18, s18, 1
	s_addc_u32 s19, s19, 0
	v_ldexp_f32 v9, v9, s3
	v_cmp_eq_u64_e32 vcc, s[18:19], v[6:7]
	v_mul_f32_e32 v9, v8, v9
	s_or_b64 s[16:17], vcc, s[16:17]
	v_mov_b32_e32 v8, v3
	v_fma_f32 v3, v3, s21, -v9
	s_andn2_b64 exec, exec, s[16:17]
	s_cbranch_execnz .LBB25_18
; %bb.19:
	s_or_b64 exec, exec, s[16:17]
.LBB25_20:
	s_or_b64 exec, exec, s[14:15]
.LBB25_21:
	s_andn2_saveexec_b64 s[12:13], s[12:13]
; %bb.22:
	v_mov_b32_e32 v3, s21
; %bb.23:
	s_or_b64 exec, exec, s[12:13]
.LBB25_24:
	s_or_b64 exec, exec, s[6:7]
.LBB25_25:
	s_or_b64 exec, exec, s[4:5]
	v_trunc_f32_e32 v4, v4
	s_mov_b32 s3, 0x2f800000
	v_mul_f32_e64 v6, |v4|, s3
	v_floor_f32_e32 v6, v6
	s_mov_b32 s3, 0xcf800000
	v_cvt_u32_f32_e32 v7, v6
	v_fma_f32 v6, v6, s3, |v4|
	v_cvt_u32_f32_e32 v6, v6
	v_ashrrev_i32_e32 v4, 31, v4
	v_xor_b32_e32 v7, v7, v4
	v_xor_b32_e32 v6, v6, v4
	v_sub_co_u32_e32 v6, vcc, v6, v4
	v_subb_co_u32_e32 v7, vcc, v7, v4, vcc
	v_cmp_lt_i64_e32 vcc, -1, v[6:7]
	v_mov_b32_e32 v4, 0
	s_and_saveexec_b64 s[4:5], vcc
	s_cbranch_execz .LBB25_37
; %bb.26:
	v_cmp_lt_i64_e32 vcc, 0, v[6:7]
	v_mov_b32_e32 v4, 1.0
	s_and_saveexec_b64 s[6:7], vcc
	s_cbranch_execz .LBB25_36
; %bb.27:
	v_cmp_ne_u64_e32 vcc, 1, v[6:7]
	s_and_saveexec_b64 s[12:13], vcc
	s_xor_b64 s[12:13], exec, s[12:13]
	s_cbranch_execz .LBB25_33
; %bb.28:
	s_mov_b64 s[14:15], 0x81
	v_cmp_gt_u64_e32 vcc, s[14:15], v[6:7]
	v_mov_b32_e32 v4, 0x7fc00000
	s_and_saveexec_b64 s[14:15], vcc
	s_cbranch_execz .LBB25_32
; %bb.29:
	s_mov_b64 s[18:19], 1
	s_mov_b64 s[16:17], 0
	v_mov_b32_e32 v4, s21
	v_mov_b32_e32 v8, 1.0
.LBB25_30:                              ; =>This Inner Loop Header: Depth=1
	s_flbit_i32_b32 s3, s19
	s_min_u32 s3, s3, 32
	s_lshl_b64 s[22:23], s[18:19], s3
	s_min_u32 s22, s22, 1
	s_or_b32 s22, s23, s22
	v_cvt_f32_u32_e32 v9, s22
	s_sub_i32 s3, 32, s3
	s_add_u32 s18, s18, 1
	s_addc_u32 s19, s19, 0
	v_ldexp_f32 v9, v9, s3
	v_cmp_eq_u64_e32 vcc, s[18:19], v[6:7]
	v_mul_f32_e32 v9, v8, v9
	s_or_b64 s[16:17], vcc, s[16:17]
	v_mov_b32_e32 v8, v4
	v_fma_f32 v4, v4, s21, -v9
	s_andn2_b64 exec, exec, s[16:17]
	s_cbranch_execnz .LBB25_30
; %bb.31:
	s_or_b64 exec, exec, s[16:17]
.LBB25_32:
	s_or_b64 exec, exec, s[14:15]
.LBB25_33:
	s_andn2_saveexec_b64 s[12:13], s[12:13]
; %bb.34:
	v_mov_b32_e32 v4, s21
; %bb.35:
	s_or_b64 exec, exec, s[12:13]
.LBB25_36:
	s_or_b64 exec, exec, s[6:7]
.LBB25_37:
	s_or_b64 exec, exec, s[4:5]
	v_trunc_f32_e32 v5, v5
	s_mov_b32 s3, 0x2f800000
	v_mul_f32_e64 v6, |v5|, s3
	v_floor_f32_e32 v6, v6
	s_mov_b32 s3, 0xcf800000
	v_cvt_u32_f32_e32 v7, v6
	v_fma_f32 v6, v6, s3, |v5|
	v_cvt_u32_f32_e32 v6, v6
	v_ashrrev_i32_e32 v5, 31, v5
	v_xor_b32_e32 v7, v7, v5
	v_xor_b32_e32 v6, v6, v5
	v_sub_co_u32_e32 v6, vcc, v6, v5
	v_subb_co_u32_e32 v7, vcc, v7, v5, vcc
	v_cmp_lt_i64_e32 vcc, -1, v[6:7]
	v_mov_b32_e32 v5, 0
	s_and_saveexec_b64 s[4:5], vcc
	s_cbranch_execz .LBB25_49
; %bb.38:
	v_cmp_lt_i64_e32 vcc, 0, v[6:7]
	v_mov_b32_e32 v5, 1.0
	s_and_saveexec_b64 s[6:7], vcc
	s_cbranch_execz .LBB25_48
; %bb.39:
	v_cmp_ne_u64_e32 vcc, 1, v[6:7]
	s_and_saveexec_b64 s[12:13], vcc
	s_xor_b64 s[12:13], exec, s[12:13]
	s_cbranch_execz .LBB25_45
; %bb.40:
	s_mov_b64 s[14:15], 0x81
	v_cmp_gt_u64_e32 vcc, s[14:15], v[6:7]
	v_mov_b32_e32 v5, 0x7fc00000
	s_and_saveexec_b64 s[14:15], vcc
	s_cbranch_execz .LBB25_44
; %bb.41:
	s_mov_b64 s[18:19], 1
	s_mov_b64 s[16:17], 0
	v_mov_b32_e32 v5, s21
	v_mov_b32_e32 v8, 1.0
.LBB25_42:                              ; =>This Inner Loop Header: Depth=1
	s_flbit_i32_b32 s3, s19
	s_min_u32 s3, s3, 32
	s_lshl_b64 s[22:23], s[18:19], s3
	s_min_u32 s22, s22, 1
	s_or_b32 s22, s23, s22
	v_cvt_f32_u32_e32 v9, s22
	s_sub_i32 s3, 32, s3
	s_add_u32 s18, s18, 1
	s_addc_u32 s19, s19, 0
	v_ldexp_f32 v9, v9, s3
	v_cmp_eq_u64_e32 vcc, s[18:19], v[6:7]
	v_mul_f32_e32 v9, v8, v9
	s_or_b64 s[16:17], vcc, s[16:17]
	v_mov_b32_e32 v8, v5
	v_fma_f32 v5, v5, s21, -v9
	s_andn2_b64 exec, exec, s[16:17]
	s_cbranch_execnz .LBB25_42
; %bb.43:
	s_or_b64 exec, exec, s[16:17]
.LBB25_44:
	s_or_b64 exec, exec, s[14:15]
.LBB25_45:
	s_andn2_saveexec_b64 s[12:13], s[12:13]
; %bb.46:
	v_mov_b32_e32 v5, s21
; %bb.47:
	s_or_b64 exec, exec, s[12:13]
.LBB25_48:
	s_or_b64 exec, exec, s[6:7]
.LBB25_49:
	s_or_b64 exec, exec, s[4:5]
	s_add_u32 s0, s8, s0
	s_addc_u32 s1, s9, s1
	global_store_dwordx4 v1, v[2:5], s[0:1]
	s_mov_b64 s[0:1], 0
.LBB25_50:
	s_and_b64 vcc, exec, s[0:1]
	s_cbranch_vccz .LBB25_107
; %bb.51:
	v_cmp_gt_i32_e32 vcc, s20, v0
	v_mov_b32_e32 v8, 0
	v_or_b32_e32 v6, s2, v0
	v_mov_b32_e32 v9, 0
	v_mov_b32_e32 v2, v0
	s_and_saveexec_b64 s[4:5], vcc
	s_cbranch_execz .LBB25_53
; %bb.52:
	v_mov_b32_e32 v7, 0
	v_lshlrev_b64 v[2:3], 2, v[6:7]
	v_mov_b32_e32 v1, s11
	v_add_co_u32_e64 v2, s[0:1], s10, v2
	v_addc_co_u32_e64 v3, s[0:1], v1, v3, s[0:1]
	global_load_dword v9, v[2:3], off
	v_or_b32_e32 v2, 0x100, v0
.LBB25_53:
	s_or_b64 exec, exec, s[4:5]
	v_cmp_gt_i32_e64 s[0:1], s20, v2
	s_and_saveexec_b64 s[4:5], s[0:1]
	s_cbranch_execz .LBB25_55
; %bb.54:
	v_add_u32_e32 v4, s2, v2
	v_mov_b32_e32 v5, 0
	v_lshlrev_b64 v[4:5], 2, v[4:5]
	v_mov_b32_e32 v1, s11
	v_add_co_u32_e64 v4, s[0:1], s10, v4
	v_addc_co_u32_e64 v5, s[0:1], v1, v5, s[0:1]
	global_load_dword v8, v[4:5], off
	v_add_u32_e32 v2, 0x100, v2
.LBB25_55:
	s_or_b64 exec, exec, s[4:5]
	v_cmp_gt_i32_e64 s[0:1], s20, v2
	v_mov_b32_e32 v1, 0
	v_mov_b32_e32 v7, 0
	s_and_saveexec_b64 s[4:5], s[0:1]
	s_cbranch_execnz .LBB25_58
; %bb.56:
	s_or_b64 exec, exec, s[4:5]
	v_cmp_gt_i32_e64 s[0:1], s20, v2
	s_and_saveexec_b64 s[4:5], s[0:1]
	s_cbranch_execnz .LBB25_59
.LBB25_57:
	s_or_b64 exec, exec, s[4:5]
                                        ; implicit-def: $vgpr2_vgpr3_vgpr4_vgpr5
	s_and_saveexec_b64 s[4:5], vcc
	s_cbranch_execnz .LBB25_60
	s_branch .LBB25_73
.LBB25_58:
	v_add_u32_e32 v4, s2, v2
	v_mov_b32_e32 v5, 0
	v_lshlrev_b64 v[4:5], 2, v[4:5]
	v_mov_b32_e32 v3, s11
	v_add_co_u32_e64 v4, s[0:1], s10, v4
	v_addc_co_u32_e64 v5, s[0:1], v3, v5, s[0:1]
	global_load_dword v7, v[4:5], off
	v_add_u32_e32 v2, 0x100, v2
	s_or_b64 exec, exec, s[4:5]
	v_cmp_gt_i32_e64 s[0:1], s20, v2
	s_and_saveexec_b64 s[4:5], s[0:1]
	s_cbranch_execz .LBB25_57
.LBB25_59:
	v_add_u32_e32 v2, s2, v2
	v_mov_b32_e32 v3, 0
	v_lshlrev_b64 v[2:3], 2, v[2:3]
	v_mov_b32_e32 v1, s11
	v_add_co_u32_e64 v2, s[0:1], s10, v2
	v_addc_co_u32_e64 v3, s[0:1], v1, v3, s[0:1]
	global_load_dword v1, v[2:3], off
	s_or_b64 exec, exec, s[4:5]
                                        ; implicit-def: $vgpr2_vgpr3_vgpr4_vgpr5
	s_and_saveexec_b64 s[4:5], vcc
	s_cbranch_execz .LBB25_73
.LBB25_60:
	s_waitcnt vmcnt(0)
	v_trunc_f32_e32 v2, v9
	s_mov_b32 s0, 0x2f800000
	v_mul_f32_e64 v3, |v2|, s0
	v_floor_f32_e32 v3, v3
	s_mov_b32 s0, 0xcf800000
	v_cvt_u32_f32_e32 v4, v3
	v_fma_f32 v3, v3, s0, |v2|
	v_cvt_u32_f32_e32 v3, v3
	v_ashrrev_i32_e32 v2, 31, v2
	v_xor_b32_e32 v5, v4, v2
	v_xor_b32_e32 v3, v3, v2
	v_sub_co_u32_e64 v4, s[0:1], v3, v2
	v_subb_co_u32_e64 v5, s[0:1], v5, v2, s[0:1]
	v_cmp_lt_i64_e64 s[0:1], -1, v[4:5]
	v_mov_b32_e32 v2, 0
	s_and_saveexec_b64 s[6:7], s[0:1]
	s_cbranch_execz .LBB25_72
; %bb.61:
	v_cmp_lt_i64_e64 s[0:1], 0, v[4:5]
	v_mov_b32_e32 v2, 1.0
	s_and_saveexec_b64 s[10:11], s[0:1]
	s_cbranch_execz .LBB25_71
; %bb.62:
	v_cmp_ne_u64_e64 s[0:1], 1, v[4:5]
                                        ; implicit-def: $vgpr2
	s_and_saveexec_b64 s[12:13], s[0:1]
	s_xor_b64 s[12:13], exec, s[12:13]
	s_cbranch_execz .LBB25_68
; %bb.63:
	s_mov_b64 s[0:1], 0x81
	v_cmp_gt_u64_e64 s[0:1], s[0:1], v[4:5]
	v_mov_b32_e32 v2, 0x7fc00000
	s_and_saveexec_b64 s[14:15], s[0:1]
	s_cbranch_execz .LBB25_67
; %bb.64:
	s_mov_b64 s[18:19], 1
	s_mov_b64 s[16:17], 0
	v_mov_b32_e32 v2, s21
	v_mov_b32_e32 v3, 1.0
.LBB25_65:                              ; =>This Inner Loop Header: Depth=1
	s_flbit_i32_b32 s0, s19
	s_min_u32 s3, s0, 32
	s_lshl_b64 s[0:1], s[18:19], s3
	s_min_u32 s0, s0, 1
	s_or_b32 s0, s1, s0
	v_cvt_f32_u32_e32 v9, s0
	s_sub_i32 s3, 32, s3
	s_add_u32 s18, s18, 1
	s_addc_u32 s19, s19, 0
	v_ldexp_f32 v9, v9, s3
	v_cmp_eq_u64_e64 s[0:1], s[18:19], v[4:5]
	v_mul_f32_e32 v9, v3, v9
	s_or_b64 s[16:17], s[0:1], s[16:17]
	v_mov_b32_e32 v3, v2
	v_fma_f32 v2, v2, s21, -v9
	s_andn2_b64 exec, exec, s[16:17]
	s_cbranch_execnz .LBB25_65
; %bb.66:
	s_or_b64 exec, exec, s[16:17]
.LBB25_67:
	s_or_b64 exec, exec, s[14:15]
.LBB25_68:
	s_andn2_saveexec_b64 s[0:1], s[12:13]
; %bb.69:
	v_mov_b32_e32 v2, s21
; %bb.70:
	s_or_b64 exec, exec, s[0:1]
.LBB25_71:
	s_or_b64 exec, exec, s[10:11]
.LBB25_72:
	s_or_b64 exec, exec, s[6:7]
.LBB25_73:
	s_or_b64 exec, exec, s[4:5]
	v_or_b32_e32 v10, 0x100, v0
	v_cmp_gt_i32_e64 s[0:1], s20, v10
	s_and_saveexec_b64 s[4:5], s[0:1]
	s_cbranch_execz .LBB25_87
; %bb.74:
	s_waitcnt vmcnt(0)
	v_trunc_f32_e32 v3, v8
	s_mov_b32 s0, 0x2f800000
	v_mul_f32_e64 v8, |v3|, s0
	v_floor_f32_e32 v8, v8
	s_mov_b32 s0, 0xcf800000
	v_cvt_u32_f32_e32 v9, v8
	v_fma_f32 v8, v8, s0, |v3|
	v_cvt_u32_f32_e32 v8, v8
	v_ashrrev_i32_e32 v3, 31, v3
	v_xor_b32_e32 v9, v9, v3
	v_xor_b32_e32 v8, v8, v3
	v_sub_co_u32_e64 v8, s[0:1], v8, v3
	v_subb_co_u32_e64 v9, s[0:1], v9, v3, s[0:1]
	v_cmp_lt_i64_e64 s[0:1], -1, v[8:9]
	v_mov_b32_e32 v3, 0
	s_and_saveexec_b64 s[6:7], s[0:1]
	s_cbranch_execz .LBB25_86
; %bb.75:
	v_cmp_lt_i64_e64 s[0:1], 0, v[8:9]
	v_mov_b32_e32 v3, 1.0
	s_and_saveexec_b64 s[10:11], s[0:1]
	s_cbranch_execz .LBB25_85
; %bb.76:
	v_cmp_ne_u64_e64 s[0:1], 1, v[8:9]
	s_and_saveexec_b64 s[12:13], s[0:1]
	s_xor_b64 s[12:13], exec, s[12:13]
	s_cbranch_execz .LBB25_82
; %bb.77:
	s_mov_b64 s[0:1], 0x81
	v_cmp_gt_u64_e64 s[0:1], s[0:1], v[8:9]
	v_mov_b32_e32 v3, 0x7fc00000
	s_and_saveexec_b64 s[14:15], s[0:1]
	s_cbranch_execz .LBB25_81
; %bb.78:
	s_mov_b64 s[18:19], 1
	s_mov_b64 s[16:17], 0
	v_mov_b32_e32 v3, s21
	v_mov_b32_e32 v11, 1.0
.LBB25_79:                              ; =>This Inner Loop Header: Depth=1
	s_flbit_i32_b32 s0, s19
	s_min_u32 s3, s0, 32
	s_lshl_b64 s[0:1], s[18:19], s3
	s_min_u32 s0, s0, 1
	s_or_b32 s0, s1, s0
	v_cvt_f32_u32_e32 v12, s0
	s_sub_i32 s3, 32, s3
	s_add_u32 s18, s18, 1
	s_addc_u32 s19, s19, 0
	v_ldexp_f32 v12, v12, s3
	v_cmp_eq_u64_e64 s[0:1], s[18:19], v[8:9]
	v_mul_f32_e32 v12, v11, v12
	s_or_b64 s[16:17], s[0:1], s[16:17]
	v_mov_b32_e32 v11, v3
	v_fma_f32 v3, v3, s21, -v12
	s_andn2_b64 exec, exec, s[16:17]
	s_cbranch_execnz .LBB25_79
; %bb.80:
	s_or_b64 exec, exec, s[16:17]
.LBB25_81:
	s_or_b64 exec, exec, s[14:15]
.LBB25_82:
	s_andn2_saveexec_b64 s[0:1], s[12:13]
; %bb.83:
	v_mov_b32_e32 v3, s21
; %bb.84:
	s_or_b64 exec, exec, s[0:1]
.LBB25_85:
	s_or_b64 exec, exec, s[10:11]
.LBB25_86:
	s_or_b64 exec, exec, s[6:7]
.LBB25_87:
	s_or_b64 exec, exec, s[4:5]
	s_waitcnt vmcnt(0)
	v_or_b32_e32 v8, 0x200, v0
	v_cmp_gt_i32_e64 s[0:1], s20, v8
	s_and_saveexec_b64 s[4:5], s[0:1]
	s_cbranch_execz .LBB25_101
; %bb.88:
	v_trunc_f32_e32 v4, v7
	s_mov_b32 s0, 0x2f800000
	v_mul_f32_e64 v7, |v4|, s0
	v_floor_f32_e32 v7, v7
	s_mov_b32 s0, 0xcf800000
	v_cvt_u32_f32_e32 v8, v7
	v_fma_f32 v7, v7, s0, |v4|
	v_cvt_u32_f32_e32 v7, v7
	v_ashrrev_i32_e32 v4, 31, v4
	v_xor_b32_e32 v9, v8, v4
	v_xor_b32_e32 v7, v7, v4
	v_sub_co_u32_e64 v8, s[0:1], v7, v4
	v_subb_co_u32_e64 v9, s[0:1], v9, v4, s[0:1]
	v_cmp_lt_i64_e64 s[0:1], -1, v[8:9]
	v_mov_b32_e32 v4, 0
	s_and_saveexec_b64 s[6:7], s[0:1]
	s_cbranch_execz .LBB25_100
; %bb.89:
	v_cmp_lt_i64_e64 s[0:1], 0, v[8:9]
	v_mov_b32_e32 v4, 1.0
	s_and_saveexec_b64 s[10:11], s[0:1]
	s_cbranch_execz .LBB25_99
; %bb.90:
	v_cmp_ne_u64_e64 s[0:1], 1, v[8:9]
	s_and_saveexec_b64 s[12:13], s[0:1]
	s_xor_b64 s[12:13], exec, s[12:13]
	s_cbranch_execz .LBB25_96
; %bb.91:
	s_mov_b64 s[0:1], 0x81
	v_cmp_gt_u64_e64 s[0:1], s[0:1], v[8:9]
	v_mov_b32_e32 v4, 0x7fc00000
	s_and_saveexec_b64 s[14:15], s[0:1]
	s_cbranch_execz .LBB25_95
; %bb.92:
	s_mov_b64 s[18:19], 1
	s_mov_b64 s[16:17], 0
	v_mov_b32_e32 v4, s21
	v_mov_b32_e32 v7, 1.0
.LBB25_93:                              ; =>This Inner Loop Header: Depth=1
	s_flbit_i32_b32 s0, s19
	s_min_u32 s3, s0, 32
	s_lshl_b64 s[0:1], s[18:19], s3
	s_min_u32 s0, s0, 1
	s_or_b32 s0, s1, s0
	v_cvt_f32_u32_e32 v11, s0
	s_sub_i32 s3, 32, s3
	s_add_u32 s18, s18, 1
	s_addc_u32 s19, s19, 0
	v_ldexp_f32 v11, v11, s3
	v_cmp_eq_u64_e64 s[0:1], s[18:19], v[8:9]
	v_mul_f32_e32 v11, v7, v11
	s_or_b64 s[16:17], s[0:1], s[16:17]
	v_mov_b32_e32 v7, v4
	v_fma_f32 v4, v4, s21, -v11
	s_andn2_b64 exec, exec, s[16:17]
	s_cbranch_execnz .LBB25_93
; %bb.94:
	s_or_b64 exec, exec, s[16:17]
.LBB25_95:
	s_or_b64 exec, exec, s[14:15]
.LBB25_96:
	s_andn2_saveexec_b64 s[0:1], s[12:13]
; %bb.97:
	v_mov_b32_e32 v4, s21
; %bb.98:
	s_or_b64 exec, exec, s[0:1]
.LBB25_99:
	s_or_b64 exec, exec, s[10:11]
.LBB25_100:
	s_or_b64 exec, exec, s[6:7]
.LBB25_101:
	s_or_b64 exec, exec, s[4:5]
	v_or_b32_e32 v7, 0x300, v0
	v_cmp_gt_i32_e64 s[0:1], s20, v7
	s_and_saveexec_b64 s[4:5], s[0:1]
	s_cbranch_execnz .LBB25_108
; %bb.102:
	s_or_b64 exec, exec, s[4:5]
	s_and_saveexec_b64 s[0:1], vcc
	s_xor_b64 s[0:1], exec, s[0:1]
	s_cbranch_execnz .LBB25_121
.LBB25_103:
	s_or_b64 exec, exec, s[0:1]
	v_cmp_gt_i32_e32 vcc, s20, v0
	s_and_saveexec_b64 s[0:1], vcc
	s_cbranch_execnz .LBB25_122
.LBB25_104:
	s_or_b64 exec, exec, s[0:1]
	v_cmp_gt_i32_e32 vcc, s20, v0
	s_and_saveexec_b64 s[0:1], vcc
	s_cbranch_execnz .LBB25_123
.LBB25_105:
	s_or_b64 exec, exec, s[0:1]
	v_cmp_gt_i32_e32 vcc, s20, v0
	s_and_saveexec_b64 s[0:1], vcc
	s_cbranch_execz .LBB25_107
.LBB25_106:
	v_add_u32_e32 v0, s2, v0
	v_mov_b32_e32 v1, 0
	v_lshlrev_b64 v[0:1], 2, v[0:1]
	v_mov_b32_e32 v2, s9
	v_add_co_u32_e32 v0, vcc, s8, v0
	v_addc_co_u32_e32 v1, vcc, v2, v1, vcc
	global_store_dword v[0:1], v5, off
.LBB25_107:
	s_endpgm
.LBB25_108:
	v_trunc_f32_e32 v1, v1
	s_mov_b32 s0, 0x2f800000
	v_mul_f32_e64 v5, |v1|, s0
	v_floor_f32_e32 v5, v5
	s_mov_b32 s0, 0xcf800000
	v_cvt_u32_f32_e32 v7, v5
	v_fma_f32 v5, v5, s0, |v1|
	v_cvt_u32_f32_e32 v5, v5
	v_ashrrev_i32_e32 v1, 31, v1
	v_xor_b32_e32 v7, v7, v1
	v_xor_b32_e32 v5, v5, v1
	v_sub_co_u32_e64 v8, s[0:1], v5, v1
	v_subb_co_u32_e64 v9, s[0:1], v7, v1, s[0:1]
	v_cmp_lt_i64_e64 s[0:1], -1, v[8:9]
	v_mov_b32_e32 v5, 0
	s_and_saveexec_b64 s[6:7], s[0:1]
	s_cbranch_execz .LBB25_120
; %bb.109:
	v_cmp_lt_i64_e64 s[0:1], 0, v[8:9]
	v_mov_b32_e32 v5, 1.0
	s_and_saveexec_b64 s[10:11], s[0:1]
	s_cbranch_execz .LBB25_119
; %bb.110:
	v_cmp_ne_u64_e64 s[0:1], 1, v[8:9]
	s_and_saveexec_b64 s[12:13], s[0:1]
	s_xor_b64 s[12:13], exec, s[12:13]
	s_cbranch_execz .LBB25_116
; %bb.111:
	s_mov_b64 s[0:1], 0x81
	v_cmp_gt_u64_e64 s[0:1], s[0:1], v[8:9]
	v_mov_b32_e32 v5, 0x7fc00000
	s_and_saveexec_b64 s[14:15], s[0:1]
	s_cbranch_execz .LBB25_115
; %bb.112:
	s_mov_b64 s[18:19], 1
	s_mov_b64 s[16:17], 0
	v_mov_b32_e32 v5, s21
	v_mov_b32_e32 v1, 1.0
.LBB25_113:                             ; =>This Inner Loop Header: Depth=1
	s_flbit_i32_b32 s0, s19
	s_min_u32 s3, s0, 32
	s_lshl_b64 s[0:1], s[18:19], s3
	s_min_u32 s0, s0, 1
	s_or_b32 s0, s1, s0
	v_cvt_f32_u32_e32 v7, s0
	s_sub_i32 s3, 32, s3
	s_add_u32 s18, s18, 1
	s_addc_u32 s19, s19, 0
	v_ldexp_f32 v7, v7, s3
	v_cmp_eq_u64_e64 s[0:1], s[18:19], v[8:9]
	v_mul_f32_e32 v7, v1, v7
	s_or_b64 s[16:17], s[0:1], s[16:17]
	v_mov_b32_e32 v1, v5
	v_fma_f32 v5, v5, s21, -v7
	s_andn2_b64 exec, exec, s[16:17]
	s_cbranch_execnz .LBB25_113
; %bb.114:
	s_or_b64 exec, exec, s[16:17]
.LBB25_115:
	s_or_b64 exec, exec, s[14:15]
.LBB25_116:
	s_andn2_saveexec_b64 s[0:1], s[12:13]
; %bb.117:
	v_mov_b32_e32 v5, s21
; %bb.118:
	s_or_b64 exec, exec, s[0:1]
.LBB25_119:
	s_or_b64 exec, exec, s[10:11]
.LBB25_120:
	s_or_b64 exec, exec, s[6:7]
	s_or_b64 exec, exec, s[4:5]
	s_and_saveexec_b64 s[0:1], vcc
	s_xor_b64 s[0:1], exec, s[0:1]
	s_cbranch_execz .LBB25_103
.LBB25_121:
	v_mov_b32_e32 v7, 0
	v_lshlrev_b64 v[0:1], 2, v[6:7]
	v_mov_b32_e32 v6, s9
	v_add_co_u32_e32 v0, vcc, s8, v0
	v_addc_co_u32_e32 v1, vcc, v6, v1, vcc
	global_store_dword v[0:1], v2, off
	v_mov_b32_e32 v0, v10
	s_or_b64 exec, exec, s[0:1]
	v_cmp_gt_i32_e32 vcc, s20, v0
	s_and_saveexec_b64 s[0:1], vcc
	s_cbranch_execz .LBB25_104
.LBB25_122:
	v_add_u32_e32 v6, s2, v0
	v_mov_b32_e32 v7, 0
	v_lshlrev_b64 v[6:7], 2, v[6:7]
	v_mov_b32_e32 v1, s9
	v_add_co_u32_e32 v6, vcc, s8, v6
	v_addc_co_u32_e32 v7, vcc, v1, v7, vcc
	v_add_u32_e32 v0, 0x100, v0
	global_store_dword v[6:7], v3, off
	s_or_b64 exec, exec, s[0:1]
	v_cmp_gt_i32_e32 vcc, s20, v0
	s_and_saveexec_b64 s[0:1], vcc
	s_cbranch_execz .LBB25_105
.LBB25_123:
	v_add_u32_e32 v2, s2, v0
	v_mov_b32_e32 v3, 0
	v_lshlrev_b64 v[2:3], 2, v[2:3]
	v_mov_b32_e32 v1, s9
	v_add_co_u32_e32 v2, vcc, s8, v2
	v_addc_co_u32_e32 v3, vcc, v1, v3, vcc
	v_add_u32_e32 v0, 0x100, v0
	global_store_dword v[2:3], v4, off
	s_or_b64 exec, exec, s[0:1]
	v_cmp_gt_i32_e32 vcc, s20, v0
	s_and_saveexec_b64 s[0:1], vcc
	s_cbranch_execnz .LBB25_106
	s_branch .LBB25_107
	.section	.rodata,"a",@progbits
	.p2align	6, 0x0
	.amdhsa_kernel _ZN2at6native29vectorized_elementwise_kernelILi8ENS0_13AUnaryFunctorIfffZZZNS0_12_GLOBAL__N_133hermite_polynomial_he_kernel_cudaERNS_18TensorIteratorBaseEENKUlvE_clEvENKUlvE0_clEvEUlffE_EESt5arrayIPcLm2EEEEviT0_T1_
		.amdhsa_group_segment_fixed_size 0
		.amdhsa_private_segment_fixed_size 0
		.amdhsa_kernarg_size 32
		.amdhsa_user_sgpr_count 6
		.amdhsa_user_sgpr_private_segment_buffer 1
		.amdhsa_user_sgpr_dispatch_ptr 0
		.amdhsa_user_sgpr_queue_ptr 0
		.amdhsa_user_sgpr_kernarg_segment_ptr 1
		.amdhsa_user_sgpr_dispatch_id 0
		.amdhsa_user_sgpr_flat_scratch_init 0
		.amdhsa_user_sgpr_kernarg_preload_length 0
		.amdhsa_user_sgpr_kernarg_preload_offset 0
		.amdhsa_user_sgpr_private_segment_size 0
		.amdhsa_uses_dynamic_stack 0
		.amdhsa_system_sgpr_private_segment_wavefront_offset 0
		.amdhsa_system_sgpr_workgroup_id_x 1
		.amdhsa_system_sgpr_workgroup_id_y 0
		.amdhsa_system_sgpr_workgroup_id_z 0
		.amdhsa_system_sgpr_workgroup_info 0
		.amdhsa_system_vgpr_workitem_id 0
		.amdhsa_next_free_vgpr 13
		.amdhsa_next_free_sgpr 24
		.amdhsa_accum_offset 16
		.amdhsa_reserve_vcc 1
		.amdhsa_reserve_flat_scratch 0
		.amdhsa_float_round_mode_32 0
		.amdhsa_float_round_mode_16_64 0
		.amdhsa_float_denorm_mode_32 3
		.amdhsa_float_denorm_mode_16_64 3
		.amdhsa_dx10_clamp 1
		.amdhsa_ieee_mode 1
		.amdhsa_fp16_overflow 0
		.amdhsa_tg_split 0
		.amdhsa_exception_fp_ieee_invalid_op 0
		.amdhsa_exception_fp_denorm_src 0
		.amdhsa_exception_fp_ieee_div_zero 0
		.amdhsa_exception_fp_ieee_overflow 0
		.amdhsa_exception_fp_ieee_underflow 0
		.amdhsa_exception_fp_ieee_inexact 0
		.amdhsa_exception_int_div_zero 0
	.end_amdhsa_kernel
	.section	.text._ZN2at6native29vectorized_elementwise_kernelILi8ENS0_13AUnaryFunctorIfffZZZNS0_12_GLOBAL__N_133hermite_polynomial_he_kernel_cudaERNS_18TensorIteratorBaseEENKUlvE_clEvENKUlvE0_clEvEUlffE_EESt5arrayIPcLm2EEEEviT0_T1_,"axG",@progbits,_ZN2at6native29vectorized_elementwise_kernelILi8ENS0_13AUnaryFunctorIfffZZZNS0_12_GLOBAL__N_133hermite_polynomial_he_kernel_cudaERNS_18TensorIteratorBaseEENKUlvE_clEvENKUlvE0_clEvEUlffE_EESt5arrayIPcLm2EEEEviT0_T1_,comdat
.Lfunc_end25:
	.size	_ZN2at6native29vectorized_elementwise_kernelILi8ENS0_13AUnaryFunctorIfffZZZNS0_12_GLOBAL__N_133hermite_polynomial_he_kernel_cudaERNS_18TensorIteratorBaseEENKUlvE_clEvENKUlvE0_clEvEUlffE_EESt5arrayIPcLm2EEEEviT0_T1_, .Lfunc_end25-_ZN2at6native29vectorized_elementwise_kernelILi8ENS0_13AUnaryFunctorIfffZZZNS0_12_GLOBAL__N_133hermite_polynomial_he_kernel_cudaERNS_18TensorIteratorBaseEENKUlvE_clEvENKUlvE0_clEvEUlffE_EESt5arrayIPcLm2EEEEviT0_T1_
                                        ; -- End function
	.section	.AMDGPU.csdata,"",@progbits
; Kernel info:
; codeLenInByte = 3064
; NumSgprs: 28
; NumVgprs: 13
; NumAgprs: 0
; TotalNumVgprs: 13
; ScratchSize: 0
; MemoryBound: 0
; FloatMode: 240
; IeeeMode: 1
; LDSByteSize: 0 bytes/workgroup (compile time only)
; SGPRBlocks: 3
; VGPRBlocks: 1
; NumSGPRsForWavesPerEU: 28
; NumVGPRsForWavesPerEU: 13
; AccumOffset: 16
; Occupancy: 8
; WaveLimiterHint : 0
; COMPUTE_PGM_RSRC2:SCRATCH_EN: 0
; COMPUTE_PGM_RSRC2:USER_SGPR: 6
; COMPUTE_PGM_RSRC2:TRAP_HANDLER: 0
; COMPUTE_PGM_RSRC2:TGID_X_EN: 1
; COMPUTE_PGM_RSRC2:TGID_Y_EN: 0
; COMPUTE_PGM_RSRC2:TGID_Z_EN: 0
; COMPUTE_PGM_RSRC2:TIDIG_COMP_CNT: 0
; COMPUTE_PGM_RSRC3_GFX90A:ACCUM_OFFSET: 3
; COMPUTE_PGM_RSRC3_GFX90A:TG_SPLIT: 0
	.section	.text._ZN2at6native29vectorized_elementwise_kernelILi4ENS0_13AUnaryFunctorIfffZZZNS0_12_GLOBAL__N_133hermite_polynomial_he_kernel_cudaERNS_18TensorIteratorBaseEENKUlvE_clEvENKUlvE0_clEvEUlffE_EESt5arrayIPcLm2EEEEviT0_T1_,"axG",@progbits,_ZN2at6native29vectorized_elementwise_kernelILi4ENS0_13AUnaryFunctorIfffZZZNS0_12_GLOBAL__N_133hermite_polynomial_he_kernel_cudaERNS_18TensorIteratorBaseEENKUlvE_clEvENKUlvE0_clEvEUlffE_EESt5arrayIPcLm2EEEEviT0_T1_,comdat
	.globl	_ZN2at6native29vectorized_elementwise_kernelILi4ENS0_13AUnaryFunctorIfffZZZNS0_12_GLOBAL__N_133hermite_polynomial_he_kernel_cudaERNS_18TensorIteratorBaseEENKUlvE_clEvENKUlvE0_clEvEUlffE_EESt5arrayIPcLm2EEEEviT0_T1_ ; -- Begin function _ZN2at6native29vectorized_elementwise_kernelILi4ENS0_13AUnaryFunctorIfffZZZNS0_12_GLOBAL__N_133hermite_polynomial_he_kernel_cudaERNS_18TensorIteratorBaseEENKUlvE_clEvENKUlvE0_clEvEUlffE_EESt5arrayIPcLm2EEEEviT0_T1_
	.p2align	8
	.type	_ZN2at6native29vectorized_elementwise_kernelILi4ENS0_13AUnaryFunctorIfffZZZNS0_12_GLOBAL__N_133hermite_polynomial_he_kernel_cudaERNS_18TensorIteratorBaseEENKUlvE_clEvENKUlvE0_clEvEUlffE_EESt5arrayIPcLm2EEEEviT0_T1_,@function
_ZN2at6native29vectorized_elementwise_kernelILi4ENS0_13AUnaryFunctorIfffZZZNS0_12_GLOBAL__N_133hermite_polynomial_he_kernel_cudaERNS_18TensorIteratorBaseEENKUlvE_clEvENKUlvE0_clEvEUlffE_EESt5arrayIPcLm2EEEEviT0_T1_: ; @_ZN2at6native29vectorized_elementwise_kernelILi4ENS0_13AUnaryFunctorIfffZZZNS0_12_GLOBAL__N_133hermite_polynomial_he_kernel_cudaERNS_18TensorIteratorBaseEENKUlvE_clEvENKUlvE0_clEvEUlffE_EESt5arrayIPcLm2EEEEviT0_T1_
; %bb.0:
	s_load_dword s0, s[4:5], 0x0
	s_load_dword s21, s[4:5], 0x8
	s_load_dwordx4 s[8:11], s[4:5], 0x10
	s_lshl_b32 s2, s6, 10
	s_waitcnt lgkmcnt(0)
	s_sub_i32 s20, s0, s2
	s_cmpk_gt_i32 s20, 0x3ff
	s_mov_b64 s[0:1], -1
	s_cbranch_scc0 .LBB26_50
; %bb.1:
	s_ashr_i32 s3, s2, 31
	s_lshl_b64 s[0:1], s[2:3], 2
	s_add_u32 s4, s10, s0
	s_addc_u32 s5, s11, s1
	v_lshlrev_b32_e32 v1, 4, v0
	global_load_dwordx4 v[2:5], v1, s[4:5]
	s_mov_b32 s3, 0x2f800000
	s_mov_b32 s4, 0xcf800000
	s_waitcnt vmcnt(0)
	v_trunc_f32_e32 v6, v2
	v_mul_f32_e64 v2, |v6|, s3
	v_floor_f32_e32 v2, v2
	v_fma_f32 v7, v2, s4, |v6|
	v_cvt_u32_f32_e32 v7, v7
	v_cvt_u32_f32_e32 v8, v2
	v_ashrrev_i32_e32 v9, 31, v6
	v_mov_b32_e32 v2, 0
	v_xor_b32_e32 v6, v7, v9
	v_xor_b32_e32 v8, v8, v9
	v_sub_co_u32_e32 v6, vcc, v6, v9
	v_subb_co_u32_e32 v7, vcc, v8, v9, vcc
	v_cmp_lt_i64_e32 vcc, -1, v[6:7]
	s_and_saveexec_b64 s[4:5], vcc
	s_cbranch_execz .LBB26_13
; %bb.2:
	v_cmp_lt_i64_e32 vcc, 0, v[6:7]
	v_mov_b32_e32 v2, 1.0
	s_and_saveexec_b64 s[6:7], vcc
	s_cbranch_execz .LBB26_12
; %bb.3:
	v_cmp_ne_u64_e32 vcc, 1, v[6:7]
                                        ; implicit-def: $vgpr2
	s_and_saveexec_b64 s[12:13], vcc
	s_xor_b64 s[12:13], exec, s[12:13]
	s_cbranch_execz .LBB26_9
; %bb.4:
	s_mov_b64 s[14:15], 0x81
	v_cmp_gt_u64_e32 vcc, s[14:15], v[6:7]
	v_mov_b32_e32 v2, 0x7fc00000
	s_and_saveexec_b64 s[14:15], vcc
	s_cbranch_execz .LBB26_8
; %bb.5:
	s_mov_b64 s[18:19], 1
	s_mov_b64 s[16:17], 0
	v_mov_b32_e32 v2, s21
	v_mov_b32_e32 v8, 1.0
.LBB26_6:                               ; =>This Inner Loop Header: Depth=1
	s_flbit_i32_b32 s3, s19
	s_min_u32 s3, s3, 32
	s_lshl_b64 s[22:23], s[18:19], s3
	s_min_u32 s22, s22, 1
	s_or_b32 s22, s23, s22
	v_cvt_f32_u32_e32 v9, s22
	s_sub_i32 s3, 32, s3
	s_add_u32 s18, s18, 1
	s_addc_u32 s19, s19, 0
	v_ldexp_f32 v9, v9, s3
	v_cmp_eq_u64_e32 vcc, s[18:19], v[6:7]
	v_mul_f32_e32 v9, v8, v9
	s_or_b64 s[16:17], vcc, s[16:17]
	v_mov_b32_e32 v8, v2
	v_fma_f32 v2, v2, s21, -v9
	s_andn2_b64 exec, exec, s[16:17]
	s_cbranch_execnz .LBB26_6
; %bb.7:
	s_or_b64 exec, exec, s[16:17]
.LBB26_8:
	s_or_b64 exec, exec, s[14:15]
.LBB26_9:
	s_andn2_saveexec_b64 s[12:13], s[12:13]
; %bb.10:
	v_mov_b32_e32 v2, s21
; %bb.11:
	s_or_b64 exec, exec, s[12:13]
.LBB26_12:
	s_or_b64 exec, exec, s[6:7]
.LBB26_13:
	s_or_b64 exec, exec, s[4:5]
	v_trunc_f32_e32 v3, v3
	s_mov_b32 s3, 0x2f800000
	v_mul_f32_e64 v6, |v3|, s3
	v_floor_f32_e32 v6, v6
	s_mov_b32 s3, 0xcf800000
	v_cvt_u32_f32_e32 v7, v6
	v_fma_f32 v6, v6, s3, |v3|
	v_cvt_u32_f32_e32 v6, v6
	v_ashrrev_i32_e32 v3, 31, v3
	v_xor_b32_e32 v7, v7, v3
	v_xor_b32_e32 v6, v6, v3
	v_sub_co_u32_e32 v6, vcc, v6, v3
	v_subb_co_u32_e32 v7, vcc, v7, v3, vcc
	v_cmp_lt_i64_e32 vcc, -1, v[6:7]
	v_mov_b32_e32 v3, 0
	s_and_saveexec_b64 s[4:5], vcc
	s_cbranch_execz .LBB26_25
; %bb.14:
	v_cmp_lt_i64_e32 vcc, 0, v[6:7]
	v_mov_b32_e32 v3, 1.0
	s_and_saveexec_b64 s[6:7], vcc
	s_cbranch_execz .LBB26_24
; %bb.15:
	v_cmp_ne_u64_e32 vcc, 1, v[6:7]
	s_and_saveexec_b64 s[12:13], vcc
	s_xor_b64 s[12:13], exec, s[12:13]
	s_cbranch_execz .LBB26_21
; %bb.16:
	s_mov_b64 s[14:15], 0x81
	v_cmp_gt_u64_e32 vcc, s[14:15], v[6:7]
	v_mov_b32_e32 v3, 0x7fc00000
	s_and_saveexec_b64 s[14:15], vcc
	s_cbranch_execz .LBB26_20
; %bb.17:
	s_mov_b64 s[18:19], 1
	s_mov_b64 s[16:17], 0
	v_mov_b32_e32 v3, s21
	v_mov_b32_e32 v8, 1.0
.LBB26_18:                              ; =>This Inner Loop Header: Depth=1
	s_flbit_i32_b32 s3, s19
	s_min_u32 s3, s3, 32
	s_lshl_b64 s[22:23], s[18:19], s3
	s_min_u32 s22, s22, 1
	s_or_b32 s22, s23, s22
	v_cvt_f32_u32_e32 v9, s22
	s_sub_i32 s3, 32, s3
	s_add_u32 s18, s18, 1
	s_addc_u32 s19, s19, 0
	v_ldexp_f32 v9, v9, s3
	v_cmp_eq_u64_e32 vcc, s[18:19], v[6:7]
	v_mul_f32_e32 v9, v8, v9
	s_or_b64 s[16:17], vcc, s[16:17]
	v_mov_b32_e32 v8, v3
	v_fma_f32 v3, v3, s21, -v9
	s_andn2_b64 exec, exec, s[16:17]
	s_cbranch_execnz .LBB26_18
; %bb.19:
	s_or_b64 exec, exec, s[16:17]
.LBB26_20:
	s_or_b64 exec, exec, s[14:15]
.LBB26_21:
	s_andn2_saveexec_b64 s[12:13], s[12:13]
; %bb.22:
	v_mov_b32_e32 v3, s21
; %bb.23:
	s_or_b64 exec, exec, s[12:13]
.LBB26_24:
	s_or_b64 exec, exec, s[6:7]
.LBB26_25:
	s_or_b64 exec, exec, s[4:5]
	v_trunc_f32_e32 v4, v4
	s_mov_b32 s3, 0x2f800000
	v_mul_f32_e64 v6, |v4|, s3
	v_floor_f32_e32 v6, v6
	s_mov_b32 s3, 0xcf800000
	v_cvt_u32_f32_e32 v7, v6
	v_fma_f32 v6, v6, s3, |v4|
	v_cvt_u32_f32_e32 v6, v6
	v_ashrrev_i32_e32 v4, 31, v4
	v_xor_b32_e32 v7, v7, v4
	v_xor_b32_e32 v6, v6, v4
	v_sub_co_u32_e32 v6, vcc, v6, v4
	v_subb_co_u32_e32 v7, vcc, v7, v4, vcc
	v_cmp_lt_i64_e32 vcc, -1, v[6:7]
	v_mov_b32_e32 v4, 0
	s_and_saveexec_b64 s[4:5], vcc
	s_cbranch_execz .LBB26_37
; %bb.26:
	v_cmp_lt_i64_e32 vcc, 0, v[6:7]
	v_mov_b32_e32 v4, 1.0
	s_and_saveexec_b64 s[6:7], vcc
	s_cbranch_execz .LBB26_36
; %bb.27:
	v_cmp_ne_u64_e32 vcc, 1, v[6:7]
	s_and_saveexec_b64 s[12:13], vcc
	s_xor_b64 s[12:13], exec, s[12:13]
	s_cbranch_execz .LBB26_33
; %bb.28:
	s_mov_b64 s[14:15], 0x81
	v_cmp_gt_u64_e32 vcc, s[14:15], v[6:7]
	v_mov_b32_e32 v4, 0x7fc00000
	s_and_saveexec_b64 s[14:15], vcc
	s_cbranch_execz .LBB26_32
; %bb.29:
	s_mov_b64 s[18:19], 1
	s_mov_b64 s[16:17], 0
	v_mov_b32_e32 v4, s21
	v_mov_b32_e32 v8, 1.0
.LBB26_30:                              ; =>This Inner Loop Header: Depth=1
	s_flbit_i32_b32 s3, s19
	s_min_u32 s3, s3, 32
	s_lshl_b64 s[22:23], s[18:19], s3
	s_min_u32 s22, s22, 1
	s_or_b32 s22, s23, s22
	v_cvt_f32_u32_e32 v9, s22
	s_sub_i32 s3, 32, s3
	s_add_u32 s18, s18, 1
	s_addc_u32 s19, s19, 0
	v_ldexp_f32 v9, v9, s3
	v_cmp_eq_u64_e32 vcc, s[18:19], v[6:7]
	v_mul_f32_e32 v9, v8, v9
	s_or_b64 s[16:17], vcc, s[16:17]
	v_mov_b32_e32 v8, v4
	v_fma_f32 v4, v4, s21, -v9
	s_andn2_b64 exec, exec, s[16:17]
	s_cbranch_execnz .LBB26_30
; %bb.31:
	s_or_b64 exec, exec, s[16:17]
.LBB26_32:
	s_or_b64 exec, exec, s[14:15]
.LBB26_33:
	s_andn2_saveexec_b64 s[12:13], s[12:13]
; %bb.34:
	v_mov_b32_e32 v4, s21
; %bb.35:
	s_or_b64 exec, exec, s[12:13]
.LBB26_36:
	s_or_b64 exec, exec, s[6:7]
.LBB26_37:
	s_or_b64 exec, exec, s[4:5]
	v_trunc_f32_e32 v5, v5
	s_mov_b32 s3, 0x2f800000
	v_mul_f32_e64 v6, |v5|, s3
	v_floor_f32_e32 v6, v6
	s_mov_b32 s3, 0xcf800000
	v_cvt_u32_f32_e32 v7, v6
	v_fma_f32 v6, v6, s3, |v5|
	v_cvt_u32_f32_e32 v6, v6
	v_ashrrev_i32_e32 v5, 31, v5
	v_xor_b32_e32 v7, v7, v5
	v_xor_b32_e32 v6, v6, v5
	v_sub_co_u32_e32 v6, vcc, v6, v5
	v_subb_co_u32_e32 v7, vcc, v7, v5, vcc
	v_cmp_lt_i64_e32 vcc, -1, v[6:7]
	v_mov_b32_e32 v5, 0
	s_and_saveexec_b64 s[4:5], vcc
	s_cbranch_execz .LBB26_49
; %bb.38:
	v_cmp_lt_i64_e32 vcc, 0, v[6:7]
	v_mov_b32_e32 v5, 1.0
	s_and_saveexec_b64 s[6:7], vcc
	s_cbranch_execz .LBB26_48
; %bb.39:
	v_cmp_ne_u64_e32 vcc, 1, v[6:7]
	s_and_saveexec_b64 s[12:13], vcc
	s_xor_b64 s[12:13], exec, s[12:13]
	s_cbranch_execz .LBB26_45
; %bb.40:
	s_mov_b64 s[14:15], 0x81
	v_cmp_gt_u64_e32 vcc, s[14:15], v[6:7]
	v_mov_b32_e32 v5, 0x7fc00000
	s_and_saveexec_b64 s[14:15], vcc
	s_cbranch_execz .LBB26_44
; %bb.41:
	s_mov_b64 s[18:19], 1
	s_mov_b64 s[16:17], 0
	v_mov_b32_e32 v5, s21
	v_mov_b32_e32 v8, 1.0
.LBB26_42:                              ; =>This Inner Loop Header: Depth=1
	s_flbit_i32_b32 s3, s19
	s_min_u32 s3, s3, 32
	s_lshl_b64 s[22:23], s[18:19], s3
	s_min_u32 s22, s22, 1
	s_or_b32 s22, s23, s22
	v_cvt_f32_u32_e32 v9, s22
	s_sub_i32 s3, 32, s3
	s_add_u32 s18, s18, 1
	s_addc_u32 s19, s19, 0
	v_ldexp_f32 v9, v9, s3
	v_cmp_eq_u64_e32 vcc, s[18:19], v[6:7]
	v_mul_f32_e32 v9, v8, v9
	s_or_b64 s[16:17], vcc, s[16:17]
	v_mov_b32_e32 v8, v5
	v_fma_f32 v5, v5, s21, -v9
	s_andn2_b64 exec, exec, s[16:17]
	s_cbranch_execnz .LBB26_42
; %bb.43:
	s_or_b64 exec, exec, s[16:17]
.LBB26_44:
	s_or_b64 exec, exec, s[14:15]
.LBB26_45:
	s_andn2_saveexec_b64 s[12:13], s[12:13]
; %bb.46:
	v_mov_b32_e32 v5, s21
; %bb.47:
	s_or_b64 exec, exec, s[12:13]
.LBB26_48:
	s_or_b64 exec, exec, s[6:7]
.LBB26_49:
	s_or_b64 exec, exec, s[4:5]
	s_add_u32 s0, s8, s0
	s_addc_u32 s1, s9, s1
	global_store_dwordx4 v1, v[2:5], s[0:1]
	s_mov_b64 s[0:1], 0
.LBB26_50:
	s_and_b64 vcc, exec, s[0:1]
	s_cbranch_vccz .LBB26_107
; %bb.51:
	v_cmp_gt_i32_e32 vcc, s20, v0
	v_mov_b32_e32 v8, 0
	v_or_b32_e32 v6, s2, v0
	v_mov_b32_e32 v9, 0
	v_mov_b32_e32 v2, v0
	s_and_saveexec_b64 s[4:5], vcc
	s_cbranch_execz .LBB26_53
; %bb.52:
	v_mov_b32_e32 v7, 0
	v_lshlrev_b64 v[2:3], 2, v[6:7]
	v_mov_b32_e32 v1, s11
	v_add_co_u32_e64 v2, s[0:1], s10, v2
	v_addc_co_u32_e64 v3, s[0:1], v1, v3, s[0:1]
	global_load_dword v9, v[2:3], off
	v_or_b32_e32 v2, 0x100, v0
.LBB26_53:
	s_or_b64 exec, exec, s[4:5]
	v_cmp_gt_i32_e64 s[0:1], s20, v2
	s_and_saveexec_b64 s[4:5], s[0:1]
	s_cbranch_execz .LBB26_55
; %bb.54:
	v_add_u32_e32 v4, s2, v2
	v_mov_b32_e32 v5, 0
	v_lshlrev_b64 v[4:5], 2, v[4:5]
	v_mov_b32_e32 v1, s11
	v_add_co_u32_e64 v4, s[0:1], s10, v4
	v_addc_co_u32_e64 v5, s[0:1], v1, v5, s[0:1]
	global_load_dword v8, v[4:5], off
	v_add_u32_e32 v2, 0x100, v2
.LBB26_55:
	s_or_b64 exec, exec, s[4:5]
	v_cmp_gt_i32_e64 s[0:1], s20, v2
	v_mov_b32_e32 v1, 0
	v_mov_b32_e32 v7, 0
	s_and_saveexec_b64 s[4:5], s[0:1]
	s_cbranch_execnz .LBB26_58
; %bb.56:
	s_or_b64 exec, exec, s[4:5]
	v_cmp_gt_i32_e64 s[0:1], s20, v2
	s_and_saveexec_b64 s[4:5], s[0:1]
	s_cbranch_execnz .LBB26_59
.LBB26_57:
	s_or_b64 exec, exec, s[4:5]
                                        ; implicit-def: $vgpr2_vgpr3_vgpr4_vgpr5
	s_and_saveexec_b64 s[4:5], vcc
	s_cbranch_execnz .LBB26_60
	s_branch .LBB26_73
.LBB26_58:
	v_add_u32_e32 v4, s2, v2
	v_mov_b32_e32 v5, 0
	v_lshlrev_b64 v[4:5], 2, v[4:5]
	v_mov_b32_e32 v3, s11
	v_add_co_u32_e64 v4, s[0:1], s10, v4
	v_addc_co_u32_e64 v5, s[0:1], v3, v5, s[0:1]
	global_load_dword v7, v[4:5], off
	v_add_u32_e32 v2, 0x100, v2
	s_or_b64 exec, exec, s[4:5]
	v_cmp_gt_i32_e64 s[0:1], s20, v2
	s_and_saveexec_b64 s[4:5], s[0:1]
	s_cbranch_execz .LBB26_57
.LBB26_59:
	v_add_u32_e32 v2, s2, v2
	v_mov_b32_e32 v3, 0
	v_lshlrev_b64 v[2:3], 2, v[2:3]
	v_mov_b32_e32 v1, s11
	v_add_co_u32_e64 v2, s[0:1], s10, v2
	v_addc_co_u32_e64 v3, s[0:1], v1, v3, s[0:1]
	global_load_dword v1, v[2:3], off
	s_or_b64 exec, exec, s[4:5]
                                        ; implicit-def: $vgpr2_vgpr3_vgpr4_vgpr5
	s_and_saveexec_b64 s[4:5], vcc
	s_cbranch_execz .LBB26_73
.LBB26_60:
	s_waitcnt vmcnt(0)
	v_trunc_f32_e32 v2, v9
	s_mov_b32 s0, 0x2f800000
	v_mul_f32_e64 v3, |v2|, s0
	v_floor_f32_e32 v3, v3
	s_mov_b32 s0, 0xcf800000
	v_cvt_u32_f32_e32 v4, v3
	v_fma_f32 v3, v3, s0, |v2|
	v_cvt_u32_f32_e32 v3, v3
	v_ashrrev_i32_e32 v2, 31, v2
	v_xor_b32_e32 v5, v4, v2
	v_xor_b32_e32 v3, v3, v2
	v_sub_co_u32_e64 v4, s[0:1], v3, v2
	v_subb_co_u32_e64 v5, s[0:1], v5, v2, s[0:1]
	v_cmp_lt_i64_e64 s[0:1], -1, v[4:5]
	v_mov_b32_e32 v2, 0
	s_and_saveexec_b64 s[6:7], s[0:1]
	s_cbranch_execz .LBB26_72
; %bb.61:
	v_cmp_lt_i64_e64 s[0:1], 0, v[4:5]
	v_mov_b32_e32 v2, 1.0
	s_and_saveexec_b64 s[10:11], s[0:1]
	s_cbranch_execz .LBB26_71
; %bb.62:
	v_cmp_ne_u64_e64 s[0:1], 1, v[4:5]
                                        ; implicit-def: $vgpr2
	s_and_saveexec_b64 s[12:13], s[0:1]
	s_xor_b64 s[12:13], exec, s[12:13]
	s_cbranch_execz .LBB26_68
; %bb.63:
	s_mov_b64 s[0:1], 0x81
	v_cmp_gt_u64_e64 s[0:1], s[0:1], v[4:5]
	v_mov_b32_e32 v2, 0x7fc00000
	s_and_saveexec_b64 s[14:15], s[0:1]
	s_cbranch_execz .LBB26_67
; %bb.64:
	s_mov_b64 s[18:19], 1
	s_mov_b64 s[16:17], 0
	v_mov_b32_e32 v2, s21
	v_mov_b32_e32 v3, 1.0
.LBB26_65:                              ; =>This Inner Loop Header: Depth=1
	s_flbit_i32_b32 s0, s19
	s_min_u32 s3, s0, 32
	s_lshl_b64 s[0:1], s[18:19], s3
	s_min_u32 s0, s0, 1
	s_or_b32 s0, s1, s0
	v_cvt_f32_u32_e32 v9, s0
	s_sub_i32 s3, 32, s3
	s_add_u32 s18, s18, 1
	s_addc_u32 s19, s19, 0
	v_ldexp_f32 v9, v9, s3
	v_cmp_eq_u64_e64 s[0:1], s[18:19], v[4:5]
	v_mul_f32_e32 v9, v3, v9
	s_or_b64 s[16:17], s[0:1], s[16:17]
	v_mov_b32_e32 v3, v2
	v_fma_f32 v2, v2, s21, -v9
	s_andn2_b64 exec, exec, s[16:17]
	s_cbranch_execnz .LBB26_65
; %bb.66:
	s_or_b64 exec, exec, s[16:17]
.LBB26_67:
	s_or_b64 exec, exec, s[14:15]
.LBB26_68:
	s_andn2_saveexec_b64 s[0:1], s[12:13]
; %bb.69:
	v_mov_b32_e32 v2, s21
; %bb.70:
	s_or_b64 exec, exec, s[0:1]
.LBB26_71:
	s_or_b64 exec, exec, s[10:11]
.LBB26_72:
	s_or_b64 exec, exec, s[6:7]
.LBB26_73:
	s_or_b64 exec, exec, s[4:5]
	v_or_b32_e32 v10, 0x100, v0
	v_cmp_gt_i32_e64 s[0:1], s20, v10
	s_and_saveexec_b64 s[4:5], s[0:1]
	s_cbranch_execz .LBB26_87
; %bb.74:
	s_waitcnt vmcnt(0)
	v_trunc_f32_e32 v3, v8
	s_mov_b32 s0, 0x2f800000
	v_mul_f32_e64 v8, |v3|, s0
	v_floor_f32_e32 v8, v8
	s_mov_b32 s0, 0xcf800000
	v_cvt_u32_f32_e32 v9, v8
	v_fma_f32 v8, v8, s0, |v3|
	v_cvt_u32_f32_e32 v8, v8
	v_ashrrev_i32_e32 v3, 31, v3
	v_xor_b32_e32 v9, v9, v3
	v_xor_b32_e32 v8, v8, v3
	v_sub_co_u32_e64 v8, s[0:1], v8, v3
	v_subb_co_u32_e64 v9, s[0:1], v9, v3, s[0:1]
	v_cmp_lt_i64_e64 s[0:1], -1, v[8:9]
	v_mov_b32_e32 v3, 0
	s_and_saveexec_b64 s[6:7], s[0:1]
	s_cbranch_execz .LBB26_86
; %bb.75:
	v_cmp_lt_i64_e64 s[0:1], 0, v[8:9]
	v_mov_b32_e32 v3, 1.0
	s_and_saveexec_b64 s[10:11], s[0:1]
	s_cbranch_execz .LBB26_85
; %bb.76:
	v_cmp_ne_u64_e64 s[0:1], 1, v[8:9]
	s_and_saveexec_b64 s[12:13], s[0:1]
	s_xor_b64 s[12:13], exec, s[12:13]
	s_cbranch_execz .LBB26_82
; %bb.77:
	s_mov_b64 s[0:1], 0x81
	v_cmp_gt_u64_e64 s[0:1], s[0:1], v[8:9]
	v_mov_b32_e32 v3, 0x7fc00000
	s_and_saveexec_b64 s[14:15], s[0:1]
	s_cbranch_execz .LBB26_81
; %bb.78:
	s_mov_b64 s[18:19], 1
	s_mov_b64 s[16:17], 0
	v_mov_b32_e32 v3, s21
	v_mov_b32_e32 v11, 1.0
.LBB26_79:                              ; =>This Inner Loop Header: Depth=1
	s_flbit_i32_b32 s0, s19
	s_min_u32 s3, s0, 32
	s_lshl_b64 s[0:1], s[18:19], s3
	s_min_u32 s0, s0, 1
	s_or_b32 s0, s1, s0
	v_cvt_f32_u32_e32 v12, s0
	s_sub_i32 s3, 32, s3
	s_add_u32 s18, s18, 1
	s_addc_u32 s19, s19, 0
	v_ldexp_f32 v12, v12, s3
	v_cmp_eq_u64_e64 s[0:1], s[18:19], v[8:9]
	v_mul_f32_e32 v12, v11, v12
	s_or_b64 s[16:17], s[0:1], s[16:17]
	v_mov_b32_e32 v11, v3
	v_fma_f32 v3, v3, s21, -v12
	s_andn2_b64 exec, exec, s[16:17]
	s_cbranch_execnz .LBB26_79
; %bb.80:
	s_or_b64 exec, exec, s[16:17]
.LBB26_81:
	s_or_b64 exec, exec, s[14:15]
.LBB26_82:
	s_andn2_saveexec_b64 s[0:1], s[12:13]
; %bb.83:
	v_mov_b32_e32 v3, s21
; %bb.84:
	s_or_b64 exec, exec, s[0:1]
.LBB26_85:
	s_or_b64 exec, exec, s[10:11]
.LBB26_86:
	s_or_b64 exec, exec, s[6:7]
.LBB26_87:
	s_or_b64 exec, exec, s[4:5]
	s_waitcnt vmcnt(0)
	v_or_b32_e32 v8, 0x200, v0
	v_cmp_gt_i32_e64 s[0:1], s20, v8
	s_and_saveexec_b64 s[4:5], s[0:1]
	s_cbranch_execz .LBB26_101
; %bb.88:
	v_trunc_f32_e32 v4, v7
	s_mov_b32 s0, 0x2f800000
	v_mul_f32_e64 v7, |v4|, s0
	v_floor_f32_e32 v7, v7
	s_mov_b32 s0, 0xcf800000
	v_cvt_u32_f32_e32 v8, v7
	v_fma_f32 v7, v7, s0, |v4|
	v_cvt_u32_f32_e32 v7, v7
	v_ashrrev_i32_e32 v4, 31, v4
	v_xor_b32_e32 v9, v8, v4
	v_xor_b32_e32 v7, v7, v4
	v_sub_co_u32_e64 v8, s[0:1], v7, v4
	v_subb_co_u32_e64 v9, s[0:1], v9, v4, s[0:1]
	v_cmp_lt_i64_e64 s[0:1], -1, v[8:9]
	v_mov_b32_e32 v4, 0
	s_and_saveexec_b64 s[6:7], s[0:1]
	s_cbranch_execz .LBB26_100
; %bb.89:
	v_cmp_lt_i64_e64 s[0:1], 0, v[8:9]
	v_mov_b32_e32 v4, 1.0
	s_and_saveexec_b64 s[10:11], s[0:1]
	s_cbranch_execz .LBB26_99
; %bb.90:
	v_cmp_ne_u64_e64 s[0:1], 1, v[8:9]
	s_and_saveexec_b64 s[12:13], s[0:1]
	s_xor_b64 s[12:13], exec, s[12:13]
	s_cbranch_execz .LBB26_96
; %bb.91:
	s_mov_b64 s[0:1], 0x81
	v_cmp_gt_u64_e64 s[0:1], s[0:1], v[8:9]
	v_mov_b32_e32 v4, 0x7fc00000
	s_and_saveexec_b64 s[14:15], s[0:1]
	s_cbranch_execz .LBB26_95
; %bb.92:
	s_mov_b64 s[18:19], 1
	s_mov_b64 s[16:17], 0
	v_mov_b32_e32 v4, s21
	v_mov_b32_e32 v7, 1.0
.LBB26_93:                              ; =>This Inner Loop Header: Depth=1
	s_flbit_i32_b32 s0, s19
	s_min_u32 s3, s0, 32
	s_lshl_b64 s[0:1], s[18:19], s3
	s_min_u32 s0, s0, 1
	s_or_b32 s0, s1, s0
	v_cvt_f32_u32_e32 v11, s0
	s_sub_i32 s3, 32, s3
	s_add_u32 s18, s18, 1
	s_addc_u32 s19, s19, 0
	v_ldexp_f32 v11, v11, s3
	v_cmp_eq_u64_e64 s[0:1], s[18:19], v[8:9]
	v_mul_f32_e32 v11, v7, v11
	s_or_b64 s[16:17], s[0:1], s[16:17]
	v_mov_b32_e32 v7, v4
	v_fma_f32 v4, v4, s21, -v11
	s_andn2_b64 exec, exec, s[16:17]
	s_cbranch_execnz .LBB26_93
; %bb.94:
	s_or_b64 exec, exec, s[16:17]
.LBB26_95:
	s_or_b64 exec, exec, s[14:15]
.LBB26_96:
	s_andn2_saveexec_b64 s[0:1], s[12:13]
; %bb.97:
	v_mov_b32_e32 v4, s21
; %bb.98:
	s_or_b64 exec, exec, s[0:1]
.LBB26_99:
	s_or_b64 exec, exec, s[10:11]
.LBB26_100:
	s_or_b64 exec, exec, s[6:7]
.LBB26_101:
	s_or_b64 exec, exec, s[4:5]
	v_or_b32_e32 v7, 0x300, v0
	v_cmp_gt_i32_e64 s[0:1], s20, v7
	s_and_saveexec_b64 s[4:5], s[0:1]
	s_cbranch_execnz .LBB26_108
; %bb.102:
	s_or_b64 exec, exec, s[4:5]
	s_and_saveexec_b64 s[0:1], vcc
	s_xor_b64 s[0:1], exec, s[0:1]
	s_cbranch_execnz .LBB26_121
.LBB26_103:
	s_or_b64 exec, exec, s[0:1]
	v_cmp_gt_i32_e32 vcc, s20, v0
	s_and_saveexec_b64 s[0:1], vcc
	s_cbranch_execnz .LBB26_122
.LBB26_104:
	s_or_b64 exec, exec, s[0:1]
	v_cmp_gt_i32_e32 vcc, s20, v0
	s_and_saveexec_b64 s[0:1], vcc
	s_cbranch_execnz .LBB26_123
.LBB26_105:
	s_or_b64 exec, exec, s[0:1]
	v_cmp_gt_i32_e32 vcc, s20, v0
	s_and_saveexec_b64 s[0:1], vcc
	s_cbranch_execz .LBB26_107
.LBB26_106:
	v_add_u32_e32 v0, s2, v0
	v_mov_b32_e32 v1, 0
	v_lshlrev_b64 v[0:1], 2, v[0:1]
	v_mov_b32_e32 v2, s9
	v_add_co_u32_e32 v0, vcc, s8, v0
	v_addc_co_u32_e32 v1, vcc, v2, v1, vcc
	global_store_dword v[0:1], v5, off
.LBB26_107:
	s_endpgm
.LBB26_108:
	v_trunc_f32_e32 v1, v1
	s_mov_b32 s0, 0x2f800000
	v_mul_f32_e64 v5, |v1|, s0
	v_floor_f32_e32 v5, v5
	s_mov_b32 s0, 0xcf800000
	v_cvt_u32_f32_e32 v7, v5
	v_fma_f32 v5, v5, s0, |v1|
	v_cvt_u32_f32_e32 v5, v5
	v_ashrrev_i32_e32 v1, 31, v1
	v_xor_b32_e32 v7, v7, v1
	v_xor_b32_e32 v5, v5, v1
	v_sub_co_u32_e64 v8, s[0:1], v5, v1
	v_subb_co_u32_e64 v9, s[0:1], v7, v1, s[0:1]
	v_cmp_lt_i64_e64 s[0:1], -1, v[8:9]
	v_mov_b32_e32 v5, 0
	s_and_saveexec_b64 s[6:7], s[0:1]
	s_cbranch_execz .LBB26_120
; %bb.109:
	v_cmp_lt_i64_e64 s[0:1], 0, v[8:9]
	v_mov_b32_e32 v5, 1.0
	s_and_saveexec_b64 s[10:11], s[0:1]
	s_cbranch_execz .LBB26_119
; %bb.110:
	v_cmp_ne_u64_e64 s[0:1], 1, v[8:9]
	s_and_saveexec_b64 s[12:13], s[0:1]
	s_xor_b64 s[12:13], exec, s[12:13]
	s_cbranch_execz .LBB26_116
; %bb.111:
	s_mov_b64 s[0:1], 0x81
	v_cmp_gt_u64_e64 s[0:1], s[0:1], v[8:9]
	v_mov_b32_e32 v5, 0x7fc00000
	s_and_saveexec_b64 s[14:15], s[0:1]
	s_cbranch_execz .LBB26_115
; %bb.112:
	s_mov_b64 s[18:19], 1
	s_mov_b64 s[16:17], 0
	v_mov_b32_e32 v5, s21
	v_mov_b32_e32 v1, 1.0
.LBB26_113:                             ; =>This Inner Loop Header: Depth=1
	s_flbit_i32_b32 s0, s19
	s_min_u32 s3, s0, 32
	s_lshl_b64 s[0:1], s[18:19], s3
	s_min_u32 s0, s0, 1
	s_or_b32 s0, s1, s0
	v_cvt_f32_u32_e32 v7, s0
	s_sub_i32 s3, 32, s3
	s_add_u32 s18, s18, 1
	s_addc_u32 s19, s19, 0
	v_ldexp_f32 v7, v7, s3
	v_cmp_eq_u64_e64 s[0:1], s[18:19], v[8:9]
	v_mul_f32_e32 v7, v1, v7
	s_or_b64 s[16:17], s[0:1], s[16:17]
	v_mov_b32_e32 v1, v5
	v_fma_f32 v5, v5, s21, -v7
	s_andn2_b64 exec, exec, s[16:17]
	s_cbranch_execnz .LBB26_113
; %bb.114:
	s_or_b64 exec, exec, s[16:17]
.LBB26_115:
	s_or_b64 exec, exec, s[14:15]
.LBB26_116:
	s_andn2_saveexec_b64 s[0:1], s[12:13]
; %bb.117:
	v_mov_b32_e32 v5, s21
; %bb.118:
	s_or_b64 exec, exec, s[0:1]
.LBB26_119:
	s_or_b64 exec, exec, s[10:11]
.LBB26_120:
	s_or_b64 exec, exec, s[6:7]
	s_or_b64 exec, exec, s[4:5]
	s_and_saveexec_b64 s[0:1], vcc
	s_xor_b64 s[0:1], exec, s[0:1]
	s_cbranch_execz .LBB26_103
.LBB26_121:
	v_mov_b32_e32 v7, 0
	v_lshlrev_b64 v[0:1], 2, v[6:7]
	v_mov_b32_e32 v6, s9
	v_add_co_u32_e32 v0, vcc, s8, v0
	v_addc_co_u32_e32 v1, vcc, v6, v1, vcc
	global_store_dword v[0:1], v2, off
	v_mov_b32_e32 v0, v10
	s_or_b64 exec, exec, s[0:1]
	v_cmp_gt_i32_e32 vcc, s20, v0
	s_and_saveexec_b64 s[0:1], vcc
	s_cbranch_execz .LBB26_104
.LBB26_122:
	v_add_u32_e32 v6, s2, v0
	v_mov_b32_e32 v7, 0
	v_lshlrev_b64 v[6:7], 2, v[6:7]
	v_mov_b32_e32 v1, s9
	v_add_co_u32_e32 v6, vcc, s8, v6
	v_addc_co_u32_e32 v7, vcc, v1, v7, vcc
	v_add_u32_e32 v0, 0x100, v0
	global_store_dword v[6:7], v3, off
	s_or_b64 exec, exec, s[0:1]
	v_cmp_gt_i32_e32 vcc, s20, v0
	s_and_saveexec_b64 s[0:1], vcc
	s_cbranch_execz .LBB26_105
.LBB26_123:
	v_add_u32_e32 v2, s2, v0
	v_mov_b32_e32 v3, 0
	v_lshlrev_b64 v[2:3], 2, v[2:3]
	v_mov_b32_e32 v1, s9
	v_add_co_u32_e32 v2, vcc, s8, v2
	v_addc_co_u32_e32 v3, vcc, v1, v3, vcc
	v_add_u32_e32 v0, 0x100, v0
	global_store_dword v[2:3], v4, off
	s_or_b64 exec, exec, s[0:1]
	v_cmp_gt_i32_e32 vcc, s20, v0
	s_and_saveexec_b64 s[0:1], vcc
	s_cbranch_execnz .LBB26_106
	s_branch .LBB26_107
	.section	.rodata,"a",@progbits
	.p2align	6, 0x0
	.amdhsa_kernel _ZN2at6native29vectorized_elementwise_kernelILi4ENS0_13AUnaryFunctorIfffZZZNS0_12_GLOBAL__N_133hermite_polynomial_he_kernel_cudaERNS_18TensorIteratorBaseEENKUlvE_clEvENKUlvE0_clEvEUlffE_EESt5arrayIPcLm2EEEEviT0_T1_
		.amdhsa_group_segment_fixed_size 0
		.amdhsa_private_segment_fixed_size 0
		.amdhsa_kernarg_size 32
		.amdhsa_user_sgpr_count 6
		.amdhsa_user_sgpr_private_segment_buffer 1
		.amdhsa_user_sgpr_dispatch_ptr 0
		.amdhsa_user_sgpr_queue_ptr 0
		.amdhsa_user_sgpr_kernarg_segment_ptr 1
		.amdhsa_user_sgpr_dispatch_id 0
		.amdhsa_user_sgpr_flat_scratch_init 0
		.amdhsa_user_sgpr_kernarg_preload_length 0
		.amdhsa_user_sgpr_kernarg_preload_offset 0
		.amdhsa_user_sgpr_private_segment_size 0
		.amdhsa_uses_dynamic_stack 0
		.amdhsa_system_sgpr_private_segment_wavefront_offset 0
		.amdhsa_system_sgpr_workgroup_id_x 1
		.amdhsa_system_sgpr_workgroup_id_y 0
		.amdhsa_system_sgpr_workgroup_id_z 0
		.amdhsa_system_sgpr_workgroup_info 0
		.amdhsa_system_vgpr_workitem_id 0
		.amdhsa_next_free_vgpr 13
		.amdhsa_next_free_sgpr 24
		.amdhsa_accum_offset 16
		.amdhsa_reserve_vcc 1
		.amdhsa_reserve_flat_scratch 0
		.amdhsa_float_round_mode_32 0
		.amdhsa_float_round_mode_16_64 0
		.amdhsa_float_denorm_mode_32 3
		.amdhsa_float_denorm_mode_16_64 3
		.amdhsa_dx10_clamp 1
		.amdhsa_ieee_mode 1
		.amdhsa_fp16_overflow 0
		.amdhsa_tg_split 0
		.amdhsa_exception_fp_ieee_invalid_op 0
		.amdhsa_exception_fp_denorm_src 0
		.amdhsa_exception_fp_ieee_div_zero 0
		.amdhsa_exception_fp_ieee_overflow 0
		.amdhsa_exception_fp_ieee_underflow 0
		.amdhsa_exception_fp_ieee_inexact 0
		.amdhsa_exception_int_div_zero 0
	.end_amdhsa_kernel
	.section	.text._ZN2at6native29vectorized_elementwise_kernelILi4ENS0_13AUnaryFunctorIfffZZZNS0_12_GLOBAL__N_133hermite_polynomial_he_kernel_cudaERNS_18TensorIteratorBaseEENKUlvE_clEvENKUlvE0_clEvEUlffE_EESt5arrayIPcLm2EEEEviT0_T1_,"axG",@progbits,_ZN2at6native29vectorized_elementwise_kernelILi4ENS0_13AUnaryFunctorIfffZZZNS0_12_GLOBAL__N_133hermite_polynomial_he_kernel_cudaERNS_18TensorIteratorBaseEENKUlvE_clEvENKUlvE0_clEvEUlffE_EESt5arrayIPcLm2EEEEviT0_T1_,comdat
.Lfunc_end26:
	.size	_ZN2at6native29vectorized_elementwise_kernelILi4ENS0_13AUnaryFunctorIfffZZZNS0_12_GLOBAL__N_133hermite_polynomial_he_kernel_cudaERNS_18TensorIteratorBaseEENKUlvE_clEvENKUlvE0_clEvEUlffE_EESt5arrayIPcLm2EEEEviT0_T1_, .Lfunc_end26-_ZN2at6native29vectorized_elementwise_kernelILi4ENS0_13AUnaryFunctorIfffZZZNS0_12_GLOBAL__N_133hermite_polynomial_he_kernel_cudaERNS_18TensorIteratorBaseEENKUlvE_clEvENKUlvE0_clEvEUlffE_EESt5arrayIPcLm2EEEEviT0_T1_
                                        ; -- End function
	.section	.AMDGPU.csdata,"",@progbits
; Kernel info:
; codeLenInByte = 3064
; NumSgprs: 28
; NumVgprs: 13
; NumAgprs: 0
; TotalNumVgprs: 13
; ScratchSize: 0
; MemoryBound: 0
; FloatMode: 240
; IeeeMode: 1
; LDSByteSize: 0 bytes/workgroup (compile time only)
; SGPRBlocks: 3
; VGPRBlocks: 1
; NumSGPRsForWavesPerEU: 28
; NumVGPRsForWavesPerEU: 13
; AccumOffset: 16
; Occupancy: 8
; WaveLimiterHint : 0
; COMPUTE_PGM_RSRC2:SCRATCH_EN: 0
; COMPUTE_PGM_RSRC2:USER_SGPR: 6
; COMPUTE_PGM_RSRC2:TRAP_HANDLER: 0
; COMPUTE_PGM_RSRC2:TGID_X_EN: 1
; COMPUTE_PGM_RSRC2:TGID_Y_EN: 0
; COMPUTE_PGM_RSRC2:TGID_Z_EN: 0
; COMPUTE_PGM_RSRC2:TIDIG_COMP_CNT: 0
; COMPUTE_PGM_RSRC3_GFX90A:ACCUM_OFFSET: 3
; COMPUTE_PGM_RSRC3_GFX90A:TG_SPLIT: 0
	.section	.text._ZN2at6native29vectorized_elementwise_kernelILi2ENS0_13AUnaryFunctorIfffZZZNS0_12_GLOBAL__N_133hermite_polynomial_he_kernel_cudaERNS_18TensorIteratorBaseEENKUlvE_clEvENKUlvE0_clEvEUlffE_EESt5arrayIPcLm2EEEEviT0_T1_,"axG",@progbits,_ZN2at6native29vectorized_elementwise_kernelILi2ENS0_13AUnaryFunctorIfffZZZNS0_12_GLOBAL__N_133hermite_polynomial_he_kernel_cudaERNS_18TensorIteratorBaseEENKUlvE_clEvENKUlvE0_clEvEUlffE_EESt5arrayIPcLm2EEEEviT0_T1_,comdat
	.globl	_ZN2at6native29vectorized_elementwise_kernelILi2ENS0_13AUnaryFunctorIfffZZZNS0_12_GLOBAL__N_133hermite_polynomial_he_kernel_cudaERNS_18TensorIteratorBaseEENKUlvE_clEvENKUlvE0_clEvEUlffE_EESt5arrayIPcLm2EEEEviT0_T1_ ; -- Begin function _ZN2at6native29vectorized_elementwise_kernelILi2ENS0_13AUnaryFunctorIfffZZZNS0_12_GLOBAL__N_133hermite_polynomial_he_kernel_cudaERNS_18TensorIteratorBaseEENKUlvE_clEvENKUlvE0_clEvEUlffE_EESt5arrayIPcLm2EEEEviT0_T1_
	.p2align	8
	.type	_ZN2at6native29vectorized_elementwise_kernelILi2ENS0_13AUnaryFunctorIfffZZZNS0_12_GLOBAL__N_133hermite_polynomial_he_kernel_cudaERNS_18TensorIteratorBaseEENKUlvE_clEvENKUlvE0_clEvEUlffE_EESt5arrayIPcLm2EEEEviT0_T1_,@function
_ZN2at6native29vectorized_elementwise_kernelILi2ENS0_13AUnaryFunctorIfffZZZNS0_12_GLOBAL__N_133hermite_polynomial_he_kernel_cudaERNS_18TensorIteratorBaseEENKUlvE_clEvENKUlvE0_clEvEUlffE_EESt5arrayIPcLm2EEEEviT0_T1_: ; @_ZN2at6native29vectorized_elementwise_kernelILi2ENS0_13AUnaryFunctorIfffZZZNS0_12_GLOBAL__N_133hermite_polynomial_he_kernel_cudaERNS_18TensorIteratorBaseEENKUlvE_clEvENKUlvE0_clEvEUlffE_EESt5arrayIPcLm2EEEEviT0_T1_
; %bb.0:
	s_load_dword s0, s[4:5], 0x0
	s_load_dword s21, s[4:5], 0x8
	s_load_dwordx4 s[8:11], s[4:5], 0x10
	s_lshl_b32 s2, s6, 10
	s_waitcnt lgkmcnt(0)
	s_sub_i32 s20, s0, s2
	s_cmpk_gt_i32 s20, 0x3ff
	s_mov_b64 s[0:1], -1
	s_cbranch_scc0 .LBB27_50
; %bb.1:
	s_ashr_i32 s3, s2, 31
	s_lshl_b64 s[0:1], s[2:3], 2
	s_add_u32 s4, s10, s0
	s_addc_u32 s5, s11, s1
	v_lshlrev_b32_e32 v1, 3, v0
	global_load_dwordx2 v[2:3], v1, s[4:5]
	global_load_dwordx2 v[4:5], v1, s[4:5] offset:2048
	s_mov_b32 s3, 0x2f800000
	s_mov_b32 s4, 0xcf800000
	s_waitcnt vmcnt(1)
	v_trunc_f32_e32 v6, v2
	v_mul_f32_e64 v2, |v6|, s3
	v_floor_f32_e32 v2, v2
	v_fma_f32 v7, v2, s4, |v6|
	v_cvt_u32_f32_e32 v7, v7
	v_cvt_u32_f32_e32 v8, v2
	v_ashrrev_i32_e32 v9, 31, v6
	v_mov_b32_e32 v2, 0
	v_xor_b32_e32 v6, v7, v9
	v_xor_b32_e32 v8, v8, v9
	v_sub_co_u32_e32 v6, vcc, v6, v9
	v_subb_co_u32_e32 v7, vcc, v8, v9, vcc
	v_cmp_lt_i64_e32 vcc, -1, v[6:7]
	s_and_saveexec_b64 s[4:5], vcc
	s_cbranch_execz .LBB27_13
; %bb.2:
	v_cmp_lt_i64_e32 vcc, 0, v[6:7]
	v_mov_b32_e32 v2, 1.0
	s_and_saveexec_b64 s[6:7], vcc
	s_cbranch_execz .LBB27_12
; %bb.3:
	v_cmp_ne_u64_e32 vcc, 1, v[6:7]
                                        ; implicit-def: $vgpr2
	s_and_saveexec_b64 s[12:13], vcc
	s_xor_b64 s[12:13], exec, s[12:13]
	s_cbranch_execz .LBB27_9
; %bb.4:
	s_mov_b64 s[14:15], 0x81
	v_cmp_gt_u64_e32 vcc, s[14:15], v[6:7]
	v_mov_b32_e32 v2, 0x7fc00000
	s_and_saveexec_b64 s[14:15], vcc
	s_cbranch_execz .LBB27_8
; %bb.5:
	s_mov_b64 s[18:19], 1
	s_mov_b64 s[16:17], 0
	v_mov_b32_e32 v2, s21
	v_mov_b32_e32 v8, 1.0
.LBB27_6:                               ; =>This Inner Loop Header: Depth=1
	s_flbit_i32_b32 s3, s19
	s_min_u32 s3, s3, 32
	s_lshl_b64 s[22:23], s[18:19], s3
	s_min_u32 s22, s22, 1
	s_or_b32 s22, s23, s22
	v_cvt_f32_u32_e32 v9, s22
	s_sub_i32 s3, 32, s3
	s_add_u32 s18, s18, 1
	s_addc_u32 s19, s19, 0
	v_ldexp_f32 v9, v9, s3
	v_cmp_eq_u64_e32 vcc, s[18:19], v[6:7]
	v_mul_f32_e32 v9, v8, v9
	s_or_b64 s[16:17], vcc, s[16:17]
	v_mov_b32_e32 v8, v2
	v_fma_f32 v2, v2, s21, -v9
	s_andn2_b64 exec, exec, s[16:17]
	s_cbranch_execnz .LBB27_6
; %bb.7:
	s_or_b64 exec, exec, s[16:17]
.LBB27_8:
	s_or_b64 exec, exec, s[14:15]
.LBB27_9:
	s_andn2_saveexec_b64 s[12:13], s[12:13]
; %bb.10:
	v_mov_b32_e32 v2, s21
; %bb.11:
	s_or_b64 exec, exec, s[12:13]
.LBB27_12:
	s_or_b64 exec, exec, s[6:7]
.LBB27_13:
	s_or_b64 exec, exec, s[4:5]
	v_trunc_f32_e32 v3, v3
	s_mov_b32 s3, 0x2f800000
	v_mul_f32_e64 v6, |v3|, s3
	v_floor_f32_e32 v6, v6
	s_mov_b32 s3, 0xcf800000
	v_cvt_u32_f32_e32 v7, v6
	v_fma_f32 v6, v6, s3, |v3|
	v_cvt_u32_f32_e32 v6, v6
	v_ashrrev_i32_e32 v3, 31, v3
	v_xor_b32_e32 v7, v7, v3
	v_xor_b32_e32 v6, v6, v3
	v_sub_co_u32_e32 v6, vcc, v6, v3
	v_subb_co_u32_e32 v7, vcc, v7, v3, vcc
	v_cmp_lt_i64_e32 vcc, -1, v[6:7]
	v_mov_b32_e32 v3, 0
	s_and_saveexec_b64 s[4:5], vcc
	s_cbranch_execz .LBB27_25
; %bb.14:
	v_cmp_lt_i64_e32 vcc, 0, v[6:7]
	v_mov_b32_e32 v3, 1.0
	s_and_saveexec_b64 s[6:7], vcc
	s_cbranch_execz .LBB27_24
; %bb.15:
	v_cmp_ne_u64_e32 vcc, 1, v[6:7]
	s_and_saveexec_b64 s[12:13], vcc
	s_xor_b64 s[12:13], exec, s[12:13]
	s_cbranch_execz .LBB27_21
; %bb.16:
	s_mov_b64 s[14:15], 0x81
	v_cmp_gt_u64_e32 vcc, s[14:15], v[6:7]
	v_mov_b32_e32 v3, 0x7fc00000
	s_and_saveexec_b64 s[14:15], vcc
	s_cbranch_execz .LBB27_20
; %bb.17:
	s_mov_b64 s[18:19], 1
	s_mov_b64 s[16:17], 0
	v_mov_b32_e32 v3, s21
	v_mov_b32_e32 v8, 1.0
.LBB27_18:                              ; =>This Inner Loop Header: Depth=1
	s_flbit_i32_b32 s3, s19
	s_min_u32 s3, s3, 32
	s_lshl_b64 s[22:23], s[18:19], s3
	s_min_u32 s22, s22, 1
	s_or_b32 s22, s23, s22
	v_cvt_f32_u32_e32 v9, s22
	s_sub_i32 s3, 32, s3
	s_add_u32 s18, s18, 1
	s_addc_u32 s19, s19, 0
	v_ldexp_f32 v9, v9, s3
	v_cmp_eq_u64_e32 vcc, s[18:19], v[6:7]
	v_mul_f32_e32 v9, v8, v9
	s_or_b64 s[16:17], vcc, s[16:17]
	v_mov_b32_e32 v8, v3
	v_fma_f32 v3, v3, s21, -v9
	s_andn2_b64 exec, exec, s[16:17]
	s_cbranch_execnz .LBB27_18
; %bb.19:
	s_or_b64 exec, exec, s[16:17]
.LBB27_20:
	s_or_b64 exec, exec, s[14:15]
.LBB27_21:
	s_andn2_saveexec_b64 s[12:13], s[12:13]
; %bb.22:
	v_mov_b32_e32 v3, s21
; %bb.23:
	s_or_b64 exec, exec, s[12:13]
.LBB27_24:
	s_or_b64 exec, exec, s[6:7]
.LBB27_25:
	s_or_b64 exec, exec, s[4:5]
	s_waitcnt vmcnt(0)
	v_trunc_f32_e32 v4, v4
	s_mov_b32 s3, 0x2f800000
	v_mul_f32_e64 v6, |v4|, s3
	v_floor_f32_e32 v6, v6
	s_mov_b32 s3, 0xcf800000
	v_cvt_u32_f32_e32 v7, v6
	v_fma_f32 v6, v6, s3, |v4|
	v_cvt_u32_f32_e32 v6, v6
	v_ashrrev_i32_e32 v4, 31, v4
	v_xor_b32_e32 v7, v7, v4
	v_xor_b32_e32 v6, v6, v4
	v_sub_co_u32_e32 v6, vcc, v6, v4
	v_subb_co_u32_e32 v7, vcc, v7, v4, vcc
	v_cmp_lt_i64_e32 vcc, -1, v[6:7]
	v_mov_b32_e32 v4, 0
	s_and_saveexec_b64 s[4:5], vcc
	s_cbranch_execz .LBB27_37
; %bb.26:
	v_cmp_lt_i64_e32 vcc, 0, v[6:7]
	v_mov_b32_e32 v4, 1.0
	s_and_saveexec_b64 s[6:7], vcc
	s_cbranch_execz .LBB27_36
; %bb.27:
	v_cmp_ne_u64_e32 vcc, 1, v[6:7]
                                        ; implicit-def: $vgpr4
	s_and_saveexec_b64 s[12:13], vcc
	s_xor_b64 s[12:13], exec, s[12:13]
	s_cbranch_execz .LBB27_33
; %bb.28:
	s_mov_b64 s[14:15], 0x81
	v_cmp_gt_u64_e32 vcc, s[14:15], v[6:7]
	v_mov_b32_e32 v4, 0x7fc00000
	s_and_saveexec_b64 s[14:15], vcc
	s_cbranch_execz .LBB27_32
; %bb.29:
	s_mov_b64 s[18:19], 1
	s_mov_b64 s[16:17], 0
	v_mov_b32_e32 v4, s21
	v_mov_b32_e32 v8, 1.0
.LBB27_30:                              ; =>This Inner Loop Header: Depth=1
	s_flbit_i32_b32 s3, s19
	s_min_u32 s3, s3, 32
	s_lshl_b64 s[22:23], s[18:19], s3
	s_min_u32 s22, s22, 1
	s_or_b32 s22, s23, s22
	v_cvt_f32_u32_e32 v9, s22
	s_sub_i32 s3, 32, s3
	s_add_u32 s18, s18, 1
	s_addc_u32 s19, s19, 0
	v_ldexp_f32 v9, v9, s3
	v_cmp_eq_u64_e32 vcc, s[18:19], v[6:7]
	v_mul_f32_e32 v9, v8, v9
	s_or_b64 s[16:17], vcc, s[16:17]
	v_mov_b32_e32 v8, v4
	v_fma_f32 v4, v4, s21, -v9
	s_andn2_b64 exec, exec, s[16:17]
	s_cbranch_execnz .LBB27_30
; %bb.31:
	s_or_b64 exec, exec, s[16:17]
.LBB27_32:
	s_or_b64 exec, exec, s[14:15]
.LBB27_33:
	s_andn2_saveexec_b64 s[12:13], s[12:13]
; %bb.34:
	v_mov_b32_e32 v4, s21
; %bb.35:
	s_or_b64 exec, exec, s[12:13]
.LBB27_36:
	s_or_b64 exec, exec, s[6:7]
.LBB27_37:
	s_or_b64 exec, exec, s[4:5]
	v_trunc_f32_e32 v5, v5
	s_mov_b32 s3, 0x2f800000
	v_mul_f32_e64 v6, |v5|, s3
	v_floor_f32_e32 v6, v6
	s_mov_b32 s3, 0xcf800000
	v_cvt_u32_f32_e32 v7, v6
	v_fma_f32 v6, v6, s3, |v5|
	v_cvt_u32_f32_e32 v6, v6
	v_ashrrev_i32_e32 v5, 31, v5
	v_xor_b32_e32 v7, v7, v5
	v_xor_b32_e32 v6, v6, v5
	v_sub_co_u32_e32 v6, vcc, v6, v5
	v_subb_co_u32_e32 v7, vcc, v7, v5, vcc
	v_cmp_lt_i64_e32 vcc, -1, v[6:7]
	v_mov_b32_e32 v5, 0
	s_and_saveexec_b64 s[4:5], vcc
	s_cbranch_execz .LBB27_49
; %bb.38:
	v_cmp_lt_i64_e32 vcc, 0, v[6:7]
	v_mov_b32_e32 v5, 1.0
	s_and_saveexec_b64 s[6:7], vcc
	s_cbranch_execz .LBB27_48
; %bb.39:
	v_cmp_ne_u64_e32 vcc, 1, v[6:7]
	s_and_saveexec_b64 s[12:13], vcc
	s_xor_b64 s[12:13], exec, s[12:13]
	s_cbranch_execz .LBB27_45
; %bb.40:
	s_mov_b64 s[14:15], 0x81
	v_cmp_gt_u64_e32 vcc, s[14:15], v[6:7]
	v_mov_b32_e32 v5, 0x7fc00000
	s_and_saveexec_b64 s[14:15], vcc
	s_cbranch_execz .LBB27_44
; %bb.41:
	s_mov_b64 s[18:19], 1
	s_mov_b64 s[16:17], 0
	v_mov_b32_e32 v5, s21
	v_mov_b32_e32 v8, 1.0
.LBB27_42:                              ; =>This Inner Loop Header: Depth=1
	s_flbit_i32_b32 s3, s19
	s_min_u32 s3, s3, 32
	s_lshl_b64 s[22:23], s[18:19], s3
	s_min_u32 s22, s22, 1
	s_or_b32 s22, s23, s22
	v_cvt_f32_u32_e32 v9, s22
	s_sub_i32 s3, 32, s3
	s_add_u32 s18, s18, 1
	s_addc_u32 s19, s19, 0
	v_ldexp_f32 v9, v9, s3
	v_cmp_eq_u64_e32 vcc, s[18:19], v[6:7]
	v_mul_f32_e32 v9, v8, v9
	s_or_b64 s[16:17], vcc, s[16:17]
	v_mov_b32_e32 v8, v5
	v_fma_f32 v5, v5, s21, -v9
	s_andn2_b64 exec, exec, s[16:17]
	s_cbranch_execnz .LBB27_42
; %bb.43:
	s_or_b64 exec, exec, s[16:17]
.LBB27_44:
	s_or_b64 exec, exec, s[14:15]
.LBB27_45:
	s_andn2_saveexec_b64 s[12:13], s[12:13]
; %bb.46:
	v_mov_b32_e32 v5, s21
; %bb.47:
	s_or_b64 exec, exec, s[12:13]
.LBB27_48:
	s_or_b64 exec, exec, s[6:7]
.LBB27_49:
	s_or_b64 exec, exec, s[4:5]
	s_add_u32 s0, s8, s0
	s_addc_u32 s1, s9, s1
	global_store_dwordx2 v1, v[2:3], s[0:1]
	global_store_dwordx2 v1, v[4:5], s[0:1] offset:2048
	s_mov_b64 s[0:1], 0
.LBB27_50:
	s_and_b64 vcc, exec, s[0:1]
	s_cbranch_vccz .LBB27_107
; %bb.51:
	v_cmp_gt_i32_e32 vcc, s20, v0
	v_mov_b32_e32 v8, 0
	v_or_b32_e32 v6, s2, v0
	v_mov_b32_e32 v9, 0
	v_mov_b32_e32 v2, v0
	s_and_saveexec_b64 s[4:5], vcc
	s_cbranch_execz .LBB27_53
; %bb.52:
	v_mov_b32_e32 v7, 0
	v_lshlrev_b64 v[2:3], 2, v[6:7]
	v_mov_b32_e32 v1, s11
	v_add_co_u32_e64 v2, s[0:1], s10, v2
	v_addc_co_u32_e64 v3, s[0:1], v1, v3, s[0:1]
	global_load_dword v9, v[2:3], off
	v_or_b32_e32 v2, 0x100, v0
.LBB27_53:
	s_or_b64 exec, exec, s[4:5]
	v_cmp_gt_i32_e64 s[0:1], s20, v2
	s_and_saveexec_b64 s[4:5], s[0:1]
	s_cbranch_execz .LBB27_55
; %bb.54:
	v_add_u32_e32 v4, s2, v2
	v_mov_b32_e32 v5, 0
	v_lshlrev_b64 v[4:5], 2, v[4:5]
	v_mov_b32_e32 v1, s11
	v_add_co_u32_e64 v4, s[0:1], s10, v4
	v_addc_co_u32_e64 v5, s[0:1], v1, v5, s[0:1]
	global_load_dword v8, v[4:5], off
	v_add_u32_e32 v2, 0x100, v2
.LBB27_55:
	s_or_b64 exec, exec, s[4:5]
	v_cmp_gt_i32_e64 s[0:1], s20, v2
	v_mov_b32_e32 v1, 0
	v_mov_b32_e32 v7, 0
	s_and_saveexec_b64 s[4:5], s[0:1]
	s_cbranch_execnz .LBB27_58
; %bb.56:
	s_or_b64 exec, exec, s[4:5]
	v_cmp_gt_i32_e64 s[0:1], s20, v2
	s_and_saveexec_b64 s[4:5], s[0:1]
	s_cbranch_execnz .LBB27_59
.LBB27_57:
	s_or_b64 exec, exec, s[4:5]
                                        ; implicit-def: $vgpr2_vgpr3_vgpr4_vgpr5
	s_and_saveexec_b64 s[4:5], vcc
	s_cbranch_execnz .LBB27_60
	s_branch .LBB27_73
.LBB27_58:
	v_add_u32_e32 v4, s2, v2
	v_mov_b32_e32 v5, 0
	v_lshlrev_b64 v[4:5], 2, v[4:5]
	v_mov_b32_e32 v3, s11
	v_add_co_u32_e64 v4, s[0:1], s10, v4
	v_addc_co_u32_e64 v5, s[0:1], v3, v5, s[0:1]
	global_load_dword v7, v[4:5], off
	v_add_u32_e32 v2, 0x100, v2
	s_or_b64 exec, exec, s[4:5]
	v_cmp_gt_i32_e64 s[0:1], s20, v2
	s_and_saveexec_b64 s[4:5], s[0:1]
	s_cbranch_execz .LBB27_57
.LBB27_59:
	v_add_u32_e32 v2, s2, v2
	v_mov_b32_e32 v3, 0
	v_lshlrev_b64 v[2:3], 2, v[2:3]
	v_mov_b32_e32 v1, s11
	v_add_co_u32_e64 v2, s[0:1], s10, v2
	v_addc_co_u32_e64 v3, s[0:1], v1, v3, s[0:1]
	global_load_dword v1, v[2:3], off
	s_or_b64 exec, exec, s[4:5]
                                        ; implicit-def: $vgpr2_vgpr3_vgpr4_vgpr5
	s_and_saveexec_b64 s[4:5], vcc
	s_cbranch_execz .LBB27_73
.LBB27_60:
	s_waitcnt vmcnt(0)
	v_trunc_f32_e32 v2, v9
	s_mov_b32 s0, 0x2f800000
	v_mul_f32_e64 v3, |v2|, s0
	v_floor_f32_e32 v3, v3
	s_mov_b32 s0, 0xcf800000
	v_cvt_u32_f32_e32 v4, v3
	v_fma_f32 v3, v3, s0, |v2|
	v_cvt_u32_f32_e32 v3, v3
	v_ashrrev_i32_e32 v2, 31, v2
	v_xor_b32_e32 v5, v4, v2
	v_xor_b32_e32 v3, v3, v2
	v_sub_co_u32_e64 v4, s[0:1], v3, v2
	v_subb_co_u32_e64 v5, s[0:1], v5, v2, s[0:1]
	v_cmp_lt_i64_e64 s[0:1], -1, v[4:5]
	v_mov_b32_e32 v2, 0
	s_and_saveexec_b64 s[6:7], s[0:1]
	s_cbranch_execz .LBB27_72
; %bb.61:
	v_cmp_lt_i64_e64 s[0:1], 0, v[4:5]
	v_mov_b32_e32 v2, 1.0
	s_and_saveexec_b64 s[10:11], s[0:1]
	s_cbranch_execz .LBB27_71
; %bb.62:
	v_cmp_ne_u64_e64 s[0:1], 1, v[4:5]
                                        ; implicit-def: $vgpr2
	s_and_saveexec_b64 s[12:13], s[0:1]
	s_xor_b64 s[12:13], exec, s[12:13]
	s_cbranch_execz .LBB27_68
; %bb.63:
	s_mov_b64 s[0:1], 0x81
	v_cmp_gt_u64_e64 s[0:1], s[0:1], v[4:5]
	v_mov_b32_e32 v2, 0x7fc00000
	s_and_saveexec_b64 s[14:15], s[0:1]
	s_cbranch_execz .LBB27_67
; %bb.64:
	s_mov_b64 s[18:19], 1
	s_mov_b64 s[16:17], 0
	v_mov_b32_e32 v2, s21
	v_mov_b32_e32 v3, 1.0
.LBB27_65:                              ; =>This Inner Loop Header: Depth=1
	s_flbit_i32_b32 s0, s19
	s_min_u32 s3, s0, 32
	s_lshl_b64 s[0:1], s[18:19], s3
	s_min_u32 s0, s0, 1
	s_or_b32 s0, s1, s0
	v_cvt_f32_u32_e32 v9, s0
	s_sub_i32 s3, 32, s3
	s_add_u32 s18, s18, 1
	s_addc_u32 s19, s19, 0
	v_ldexp_f32 v9, v9, s3
	v_cmp_eq_u64_e64 s[0:1], s[18:19], v[4:5]
	v_mul_f32_e32 v9, v3, v9
	s_or_b64 s[16:17], s[0:1], s[16:17]
	v_mov_b32_e32 v3, v2
	v_fma_f32 v2, v2, s21, -v9
	s_andn2_b64 exec, exec, s[16:17]
	s_cbranch_execnz .LBB27_65
; %bb.66:
	s_or_b64 exec, exec, s[16:17]
.LBB27_67:
	s_or_b64 exec, exec, s[14:15]
.LBB27_68:
	s_andn2_saveexec_b64 s[0:1], s[12:13]
; %bb.69:
	v_mov_b32_e32 v2, s21
; %bb.70:
	s_or_b64 exec, exec, s[0:1]
.LBB27_71:
	s_or_b64 exec, exec, s[10:11]
.LBB27_72:
	s_or_b64 exec, exec, s[6:7]
.LBB27_73:
	s_or_b64 exec, exec, s[4:5]
	v_or_b32_e32 v10, 0x100, v0
	v_cmp_gt_i32_e64 s[0:1], s20, v10
	s_and_saveexec_b64 s[4:5], s[0:1]
	s_cbranch_execz .LBB27_87
; %bb.74:
	s_waitcnt vmcnt(0)
	v_trunc_f32_e32 v3, v8
	s_mov_b32 s0, 0x2f800000
	v_mul_f32_e64 v8, |v3|, s0
	v_floor_f32_e32 v8, v8
	s_mov_b32 s0, 0xcf800000
	v_cvt_u32_f32_e32 v9, v8
	v_fma_f32 v8, v8, s0, |v3|
	v_cvt_u32_f32_e32 v8, v8
	v_ashrrev_i32_e32 v3, 31, v3
	v_xor_b32_e32 v9, v9, v3
	v_xor_b32_e32 v8, v8, v3
	v_sub_co_u32_e64 v8, s[0:1], v8, v3
	v_subb_co_u32_e64 v9, s[0:1], v9, v3, s[0:1]
	v_cmp_lt_i64_e64 s[0:1], -1, v[8:9]
	v_mov_b32_e32 v3, 0
	s_and_saveexec_b64 s[6:7], s[0:1]
	s_cbranch_execz .LBB27_86
; %bb.75:
	v_cmp_lt_i64_e64 s[0:1], 0, v[8:9]
	v_mov_b32_e32 v3, 1.0
	s_and_saveexec_b64 s[10:11], s[0:1]
	s_cbranch_execz .LBB27_85
; %bb.76:
	v_cmp_ne_u64_e64 s[0:1], 1, v[8:9]
	s_and_saveexec_b64 s[12:13], s[0:1]
	s_xor_b64 s[12:13], exec, s[12:13]
	s_cbranch_execz .LBB27_82
; %bb.77:
	s_mov_b64 s[0:1], 0x81
	v_cmp_gt_u64_e64 s[0:1], s[0:1], v[8:9]
	v_mov_b32_e32 v3, 0x7fc00000
	s_and_saveexec_b64 s[14:15], s[0:1]
	s_cbranch_execz .LBB27_81
; %bb.78:
	s_mov_b64 s[18:19], 1
	s_mov_b64 s[16:17], 0
	v_mov_b32_e32 v3, s21
	v_mov_b32_e32 v11, 1.0
.LBB27_79:                              ; =>This Inner Loop Header: Depth=1
	s_flbit_i32_b32 s0, s19
	s_min_u32 s3, s0, 32
	s_lshl_b64 s[0:1], s[18:19], s3
	s_min_u32 s0, s0, 1
	s_or_b32 s0, s1, s0
	v_cvt_f32_u32_e32 v12, s0
	s_sub_i32 s3, 32, s3
	s_add_u32 s18, s18, 1
	s_addc_u32 s19, s19, 0
	v_ldexp_f32 v12, v12, s3
	v_cmp_eq_u64_e64 s[0:1], s[18:19], v[8:9]
	v_mul_f32_e32 v12, v11, v12
	s_or_b64 s[16:17], s[0:1], s[16:17]
	v_mov_b32_e32 v11, v3
	v_fma_f32 v3, v3, s21, -v12
	s_andn2_b64 exec, exec, s[16:17]
	s_cbranch_execnz .LBB27_79
; %bb.80:
	s_or_b64 exec, exec, s[16:17]
.LBB27_81:
	s_or_b64 exec, exec, s[14:15]
.LBB27_82:
	s_andn2_saveexec_b64 s[0:1], s[12:13]
; %bb.83:
	v_mov_b32_e32 v3, s21
; %bb.84:
	s_or_b64 exec, exec, s[0:1]
.LBB27_85:
	s_or_b64 exec, exec, s[10:11]
.LBB27_86:
	s_or_b64 exec, exec, s[6:7]
.LBB27_87:
	s_or_b64 exec, exec, s[4:5]
	s_waitcnt vmcnt(0)
	v_or_b32_e32 v8, 0x200, v0
	v_cmp_gt_i32_e64 s[0:1], s20, v8
	s_and_saveexec_b64 s[4:5], s[0:1]
	s_cbranch_execz .LBB27_101
; %bb.88:
	v_trunc_f32_e32 v4, v7
	s_mov_b32 s0, 0x2f800000
	v_mul_f32_e64 v7, |v4|, s0
	v_floor_f32_e32 v7, v7
	s_mov_b32 s0, 0xcf800000
	v_cvt_u32_f32_e32 v8, v7
	v_fma_f32 v7, v7, s0, |v4|
	v_cvt_u32_f32_e32 v7, v7
	v_ashrrev_i32_e32 v4, 31, v4
	v_xor_b32_e32 v9, v8, v4
	v_xor_b32_e32 v7, v7, v4
	v_sub_co_u32_e64 v8, s[0:1], v7, v4
	v_subb_co_u32_e64 v9, s[0:1], v9, v4, s[0:1]
	v_cmp_lt_i64_e64 s[0:1], -1, v[8:9]
	v_mov_b32_e32 v4, 0
	s_and_saveexec_b64 s[6:7], s[0:1]
	s_cbranch_execz .LBB27_100
; %bb.89:
	v_cmp_lt_i64_e64 s[0:1], 0, v[8:9]
	v_mov_b32_e32 v4, 1.0
	s_and_saveexec_b64 s[10:11], s[0:1]
	s_cbranch_execz .LBB27_99
; %bb.90:
	v_cmp_ne_u64_e64 s[0:1], 1, v[8:9]
	s_and_saveexec_b64 s[12:13], s[0:1]
	s_xor_b64 s[12:13], exec, s[12:13]
	s_cbranch_execz .LBB27_96
; %bb.91:
	s_mov_b64 s[0:1], 0x81
	v_cmp_gt_u64_e64 s[0:1], s[0:1], v[8:9]
	v_mov_b32_e32 v4, 0x7fc00000
	s_and_saveexec_b64 s[14:15], s[0:1]
	s_cbranch_execz .LBB27_95
; %bb.92:
	s_mov_b64 s[18:19], 1
	s_mov_b64 s[16:17], 0
	v_mov_b32_e32 v4, s21
	v_mov_b32_e32 v7, 1.0
.LBB27_93:                              ; =>This Inner Loop Header: Depth=1
	s_flbit_i32_b32 s0, s19
	s_min_u32 s3, s0, 32
	s_lshl_b64 s[0:1], s[18:19], s3
	s_min_u32 s0, s0, 1
	s_or_b32 s0, s1, s0
	v_cvt_f32_u32_e32 v11, s0
	s_sub_i32 s3, 32, s3
	s_add_u32 s18, s18, 1
	s_addc_u32 s19, s19, 0
	v_ldexp_f32 v11, v11, s3
	v_cmp_eq_u64_e64 s[0:1], s[18:19], v[8:9]
	v_mul_f32_e32 v11, v7, v11
	s_or_b64 s[16:17], s[0:1], s[16:17]
	v_mov_b32_e32 v7, v4
	v_fma_f32 v4, v4, s21, -v11
	s_andn2_b64 exec, exec, s[16:17]
	s_cbranch_execnz .LBB27_93
; %bb.94:
	s_or_b64 exec, exec, s[16:17]
.LBB27_95:
	s_or_b64 exec, exec, s[14:15]
.LBB27_96:
	s_andn2_saveexec_b64 s[0:1], s[12:13]
; %bb.97:
	v_mov_b32_e32 v4, s21
; %bb.98:
	s_or_b64 exec, exec, s[0:1]
.LBB27_99:
	s_or_b64 exec, exec, s[10:11]
.LBB27_100:
	s_or_b64 exec, exec, s[6:7]
.LBB27_101:
	s_or_b64 exec, exec, s[4:5]
	v_or_b32_e32 v7, 0x300, v0
	v_cmp_gt_i32_e64 s[0:1], s20, v7
	s_and_saveexec_b64 s[4:5], s[0:1]
	s_cbranch_execnz .LBB27_108
; %bb.102:
	s_or_b64 exec, exec, s[4:5]
	s_and_saveexec_b64 s[0:1], vcc
	s_xor_b64 s[0:1], exec, s[0:1]
	s_cbranch_execnz .LBB27_121
.LBB27_103:
	s_or_b64 exec, exec, s[0:1]
	v_cmp_gt_i32_e32 vcc, s20, v0
	s_and_saveexec_b64 s[0:1], vcc
	s_cbranch_execnz .LBB27_122
.LBB27_104:
	s_or_b64 exec, exec, s[0:1]
	v_cmp_gt_i32_e32 vcc, s20, v0
	s_and_saveexec_b64 s[0:1], vcc
	s_cbranch_execnz .LBB27_123
.LBB27_105:
	s_or_b64 exec, exec, s[0:1]
	v_cmp_gt_i32_e32 vcc, s20, v0
	s_and_saveexec_b64 s[0:1], vcc
	s_cbranch_execz .LBB27_107
.LBB27_106:
	v_add_u32_e32 v0, s2, v0
	v_mov_b32_e32 v1, 0
	v_lshlrev_b64 v[0:1], 2, v[0:1]
	v_mov_b32_e32 v2, s9
	v_add_co_u32_e32 v0, vcc, s8, v0
	v_addc_co_u32_e32 v1, vcc, v2, v1, vcc
	global_store_dword v[0:1], v5, off
.LBB27_107:
	s_endpgm
.LBB27_108:
	v_trunc_f32_e32 v1, v1
	s_mov_b32 s0, 0x2f800000
	v_mul_f32_e64 v5, |v1|, s0
	v_floor_f32_e32 v5, v5
	s_mov_b32 s0, 0xcf800000
	v_cvt_u32_f32_e32 v7, v5
	v_fma_f32 v5, v5, s0, |v1|
	v_cvt_u32_f32_e32 v5, v5
	v_ashrrev_i32_e32 v1, 31, v1
	v_xor_b32_e32 v7, v7, v1
	v_xor_b32_e32 v5, v5, v1
	v_sub_co_u32_e64 v8, s[0:1], v5, v1
	v_subb_co_u32_e64 v9, s[0:1], v7, v1, s[0:1]
	v_cmp_lt_i64_e64 s[0:1], -1, v[8:9]
	v_mov_b32_e32 v5, 0
	s_and_saveexec_b64 s[6:7], s[0:1]
	s_cbranch_execz .LBB27_120
; %bb.109:
	v_cmp_lt_i64_e64 s[0:1], 0, v[8:9]
	v_mov_b32_e32 v5, 1.0
	s_and_saveexec_b64 s[10:11], s[0:1]
	s_cbranch_execz .LBB27_119
; %bb.110:
	v_cmp_ne_u64_e64 s[0:1], 1, v[8:9]
	s_and_saveexec_b64 s[12:13], s[0:1]
	s_xor_b64 s[12:13], exec, s[12:13]
	s_cbranch_execz .LBB27_116
; %bb.111:
	s_mov_b64 s[0:1], 0x81
	v_cmp_gt_u64_e64 s[0:1], s[0:1], v[8:9]
	v_mov_b32_e32 v5, 0x7fc00000
	s_and_saveexec_b64 s[14:15], s[0:1]
	s_cbranch_execz .LBB27_115
; %bb.112:
	s_mov_b64 s[18:19], 1
	s_mov_b64 s[16:17], 0
	v_mov_b32_e32 v5, s21
	v_mov_b32_e32 v1, 1.0
.LBB27_113:                             ; =>This Inner Loop Header: Depth=1
	s_flbit_i32_b32 s0, s19
	s_min_u32 s3, s0, 32
	s_lshl_b64 s[0:1], s[18:19], s3
	s_min_u32 s0, s0, 1
	s_or_b32 s0, s1, s0
	v_cvt_f32_u32_e32 v7, s0
	s_sub_i32 s3, 32, s3
	s_add_u32 s18, s18, 1
	s_addc_u32 s19, s19, 0
	v_ldexp_f32 v7, v7, s3
	v_cmp_eq_u64_e64 s[0:1], s[18:19], v[8:9]
	v_mul_f32_e32 v7, v1, v7
	s_or_b64 s[16:17], s[0:1], s[16:17]
	v_mov_b32_e32 v1, v5
	v_fma_f32 v5, v5, s21, -v7
	s_andn2_b64 exec, exec, s[16:17]
	s_cbranch_execnz .LBB27_113
; %bb.114:
	s_or_b64 exec, exec, s[16:17]
.LBB27_115:
	s_or_b64 exec, exec, s[14:15]
.LBB27_116:
	s_andn2_saveexec_b64 s[0:1], s[12:13]
; %bb.117:
	v_mov_b32_e32 v5, s21
; %bb.118:
	s_or_b64 exec, exec, s[0:1]
.LBB27_119:
	s_or_b64 exec, exec, s[10:11]
.LBB27_120:
	s_or_b64 exec, exec, s[6:7]
	s_or_b64 exec, exec, s[4:5]
	s_and_saveexec_b64 s[0:1], vcc
	s_xor_b64 s[0:1], exec, s[0:1]
	s_cbranch_execz .LBB27_103
.LBB27_121:
	v_mov_b32_e32 v7, 0
	v_lshlrev_b64 v[0:1], 2, v[6:7]
	v_mov_b32_e32 v6, s9
	v_add_co_u32_e32 v0, vcc, s8, v0
	v_addc_co_u32_e32 v1, vcc, v6, v1, vcc
	global_store_dword v[0:1], v2, off
	v_mov_b32_e32 v0, v10
	s_or_b64 exec, exec, s[0:1]
	v_cmp_gt_i32_e32 vcc, s20, v0
	s_and_saveexec_b64 s[0:1], vcc
	s_cbranch_execz .LBB27_104
.LBB27_122:
	v_add_u32_e32 v6, s2, v0
	v_mov_b32_e32 v7, 0
	v_lshlrev_b64 v[6:7], 2, v[6:7]
	v_mov_b32_e32 v1, s9
	v_add_co_u32_e32 v6, vcc, s8, v6
	v_addc_co_u32_e32 v7, vcc, v1, v7, vcc
	v_add_u32_e32 v0, 0x100, v0
	global_store_dword v[6:7], v3, off
	s_or_b64 exec, exec, s[0:1]
	v_cmp_gt_i32_e32 vcc, s20, v0
	s_and_saveexec_b64 s[0:1], vcc
	s_cbranch_execz .LBB27_105
.LBB27_123:
	v_add_u32_e32 v2, s2, v0
	v_mov_b32_e32 v3, 0
	v_lshlrev_b64 v[2:3], 2, v[2:3]
	v_mov_b32_e32 v1, s9
	v_add_co_u32_e32 v2, vcc, s8, v2
	v_addc_co_u32_e32 v3, vcc, v1, v3, vcc
	v_add_u32_e32 v0, 0x100, v0
	global_store_dword v[2:3], v4, off
	s_or_b64 exec, exec, s[0:1]
	v_cmp_gt_i32_e32 vcc, s20, v0
	s_and_saveexec_b64 s[0:1], vcc
	s_cbranch_execnz .LBB27_106
	s_branch .LBB27_107
	.section	.rodata,"a",@progbits
	.p2align	6, 0x0
	.amdhsa_kernel _ZN2at6native29vectorized_elementwise_kernelILi2ENS0_13AUnaryFunctorIfffZZZNS0_12_GLOBAL__N_133hermite_polynomial_he_kernel_cudaERNS_18TensorIteratorBaseEENKUlvE_clEvENKUlvE0_clEvEUlffE_EESt5arrayIPcLm2EEEEviT0_T1_
		.amdhsa_group_segment_fixed_size 0
		.amdhsa_private_segment_fixed_size 0
		.amdhsa_kernarg_size 32
		.amdhsa_user_sgpr_count 6
		.amdhsa_user_sgpr_private_segment_buffer 1
		.amdhsa_user_sgpr_dispatch_ptr 0
		.amdhsa_user_sgpr_queue_ptr 0
		.amdhsa_user_sgpr_kernarg_segment_ptr 1
		.amdhsa_user_sgpr_dispatch_id 0
		.amdhsa_user_sgpr_flat_scratch_init 0
		.amdhsa_user_sgpr_kernarg_preload_length 0
		.amdhsa_user_sgpr_kernarg_preload_offset 0
		.amdhsa_user_sgpr_private_segment_size 0
		.amdhsa_uses_dynamic_stack 0
		.amdhsa_system_sgpr_private_segment_wavefront_offset 0
		.amdhsa_system_sgpr_workgroup_id_x 1
		.amdhsa_system_sgpr_workgroup_id_y 0
		.amdhsa_system_sgpr_workgroup_id_z 0
		.amdhsa_system_sgpr_workgroup_info 0
		.amdhsa_system_vgpr_workitem_id 0
		.amdhsa_next_free_vgpr 13
		.amdhsa_next_free_sgpr 24
		.amdhsa_accum_offset 16
		.amdhsa_reserve_vcc 1
		.amdhsa_reserve_flat_scratch 0
		.amdhsa_float_round_mode_32 0
		.amdhsa_float_round_mode_16_64 0
		.amdhsa_float_denorm_mode_32 3
		.amdhsa_float_denorm_mode_16_64 3
		.amdhsa_dx10_clamp 1
		.amdhsa_ieee_mode 1
		.amdhsa_fp16_overflow 0
		.amdhsa_tg_split 0
		.amdhsa_exception_fp_ieee_invalid_op 0
		.amdhsa_exception_fp_denorm_src 0
		.amdhsa_exception_fp_ieee_div_zero 0
		.amdhsa_exception_fp_ieee_overflow 0
		.amdhsa_exception_fp_ieee_underflow 0
		.amdhsa_exception_fp_ieee_inexact 0
		.amdhsa_exception_int_div_zero 0
	.end_amdhsa_kernel
	.section	.text._ZN2at6native29vectorized_elementwise_kernelILi2ENS0_13AUnaryFunctorIfffZZZNS0_12_GLOBAL__N_133hermite_polynomial_he_kernel_cudaERNS_18TensorIteratorBaseEENKUlvE_clEvENKUlvE0_clEvEUlffE_EESt5arrayIPcLm2EEEEviT0_T1_,"axG",@progbits,_ZN2at6native29vectorized_elementwise_kernelILi2ENS0_13AUnaryFunctorIfffZZZNS0_12_GLOBAL__N_133hermite_polynomial_he_kernel_cudaERNS_18TensorIteratorBaseEENKUlvE_clEvENKUlvE0_clEvEUlffE_EESt5arrayIPcLm2EEEEviT0_T1_,comdat
.Lfunc_end27:
	.size	_ZN2at6native29vectorized_elementwise_kernelILi2ENS0_13AUnaryFunctorIfffZZZNS0_12_GLOBAL__N_133hermite_polynomial_he_kernel_cudaERNS_18TensorIteratorBaseEENKUlvE_clEvENKUlvE0_clEvEUlffE_EESt5arrayIPcLm2EEEEviT0_T1_, .Lfunc_end27-_ZN2at6native29vectorized_elementwise_kernelILi2ENS0_13AUnaryFunctorIfffZZZNS0_12_GLOBAL__N_133hermite_polynomial_he_kernel_cudaERNS_18TensorIteratorBaseEENKUlvE_clEvENKUlvE0_clEvEUlffE_EESt5arrayIPcLm2EEEEviT0_T1_
                                        ; -- End function
	.section	.AMDGPU.csdata,"",@progbits
; Kernel info:
; codeLenInByte = 3084
; NumSgprs: 28
; NumVgprs: 13
; NumAgprs: 0
; TotalNumVgprs: 13
; ScratchSize: 0
; MemoryBound: 0
; FloatMode: 240
; IeeeMode: 1
; LDSByteSize: 0 bytes/workgroup (compile time only)
; SGPRBlocks: 3
; VGPRBlocks: 1
; NumSGPRsForWavesPerEU: 28
; NumVGPRsForWavesPerEU: 13
; AccumOffset: 16
; Occupancy: 8
; WaveLimiterHint : 1
; COMPUTE_PGM_RSRC2:SCRATCH_EN: 0
; COMPUTE_PGM_RSRC2:USER_SGPR: 6
; COMPUTE_PGM_RSRC2:TRAP_HANDLER: 0
; COMPUTE_PGM_RSRC2:TGID_X_EN: 1
; COMPUTE_PGM_RSRC2:TGID_Y_EN: 0
; COMPUTE_PGM_RSRC2:TGID_Z_EN: 0
; COMPUTE_PGM_RSRC2:TIDIG_COMP_CNT: 0
; COMPUTE_PGM_RSRC3_GFX90A:ACCUM_OFFSET: 3
; COMPUTE_PGM_RSRC3_GFX90A:TG_SPLIT: 0
	.section	.text._ZN2at6native27unrolled_elementwise_kernelINS0_13AUnaryFunctorIfffZZZNS0_12_GLOBAL__N_133hermite_polynomial_he_kernel_cudaERNS_18TensorIteratorBaseEENKUlvE_clEvENKUlvE0_clEvEUlffE_EESt5arrayIPcLm2EELi4E23TrivialOffsetCalculatorILi1EjESE_NS0_6memory15LoadWithoutCastENSF_16StoreWithoutCastEEEviT_T0_T2_T3_T4_T5_,"axG",@progbits,_ZN2at6native27unrolled_elementwise_kernelINS0_13AUnaryFunctorIfffZZZNS0_12_GLOBAL__N_133hermite_polynomial_he_kernel_cudaERNS_18TensorIteratorBaseEENKUlvE_clEvENKUlvE0_clEvEUlffE_EESt5arrayIPcLm2EELi4E23TrivialOffsetCalculatorILi1EjESE_NS0_6memory15LoadWithoutCastENSF_16StoreWithoutCastEEEviT_T0_T2_T3_T4_T5_,comdat
	.globl	_ZN2at6native27unrolled_elementwise_kernelINS0_13AUnaryFunctorIfffZZZNS0_12_GLOBAL__N_133hermite_polynomial_he_kernel_cudaERNS_18TensorIteratorBaseEENKUlvE_clEvENKUlvE0_clEvEUlffE_EESt5arrayIPcLm2EELi4E23TrivialOffsetCalculatorILi1EjESE_NS0_6memory15LoadWithoutCastENSF_16StoreWithoutCastEEEviT_T0_T2_T3_T4_T5_ ; -- Begin function _ZN2at6native27unrolled_elementwise_kernelINS0_13AUnaryFunctorIfffZZZNS0_12_GLOBAL__N_133hermite_polynomial_he_kernel_cudaERNS_18TensorIteratorBaseEENKUlvE_clEvENKUlvE0_clEvEUlffE_EESt5arrayIPcLm2EELi4E23TrivialOffsetCalculatorILi1EjESE_NS0_6memory15LoadWithoutCastENSF_16StoreWithoutCastEEEviT_T0_T2_T3_T4_T5_
	.p2align	8
	.type	_ZN2at6native27unrolled_elementwise_kernelINS0_13AUnaryFunctorIfffZZZNS0_12_GLOBAL__N_133hermite_polynomial_he_kernel_cudaERNS_18TensorIteratorBaseEENKUlvE_clEvENKUlvE0_clEvEUlffE_EESt5arrayIPcLm2EELi4E23TrivialOffsetCalculatorILi1EjESE_NS0_6memory15LoadWithoutCastENSF_16StoreWithoutCastEEEviT_T0_T2_T3_T4_T5_,@function
_ZN2at6native27unrolled_elementwise_kernelINS0_13AUnaryFunctorIfffZZZNS0_12_GLOBAL__N_133hermite_polynomial_he_kernel_cudaERNS_18TensorIteratorBaseEENKUlvE_clEvENKUlvE0_clEvEUlffE_EESt5arrayIPcLm2EELi4E23TrivialOffsetCalculatorILi1EjESE_NS0_6memory15LoadWithoutCastENSF_16StoreWithoutCastEEEviT_T0_T2_T3_T4_T5_: ; @_ZN2at6native27unrolled_elementwise_kernelINS0_13AUnaryFunctorIfffZZZNS0_12_GLOBAL__N_133hermite_polynomial_he_kernel_cudaERNS_18TensorIteratorBaseEENKUlvE_clEvENKUlvE0_clEvEUlffE_EESt5arrayIPcLm2EELi4E23TrivialOffsetCalculatorILi1EjESE_NS0_6memory15LoadWithoutCastENSF_16StoreWithoutCastEEEviT_T0_T2_T3_T4_T5_
; %bb.0:
	s_load_dword s0, s[4:5], 0x0
	s_load_dwordx4 s[8:11], s[4:5], 0x10
	s_lshl_b32 s18, s6, 10
	v_mov_b32_e32 v8, 0
	v_or_b32_e32 v6, s18, v0
	s_waitcnt lgkmcnt(0)
	s_sub_i32 s19, s0, s18
	v_cmp_gt_i32_e32 vcc, s19, v0
	v_mov_b32_e32 v9, 0
	v_mov_b32_e32 v2, v0
	s_and_saveexec_b64 s[2:3], vcc
	s_cbranch_execz .LBB28_2
; %bb.1:
	v_mov_b32_e32 v7, 0
	v_lshlrev_b64 v[2:3], 2, v[6:7]
	v_mov_b32_e32 v1, s11
	v_add_co_u32_e64 v2, s[0:1], s10, v2
	v_addc_co_u32_e64 v3, s[0:1], v1, v3, s[0:1]
	global_load_dword v9, v[2:3], off
	v_or_b32_e32 v2, 0x100, v0
.LBB28_2:
	s_or_b64 exec, exec, s[2:3]
	v_cmp_gt_i32_e64 s[0:1], s19, v2
	s_and_saveexec_b64 s[2:3], s[0:1]
	s_cbranch_execz .LBB28_4
; %bb.3:
	v_add_u32_e32 v4, s18, v2
	v_mov_b32_e32 v5, 0
	v_lshlrev_b64 v[4:5], 2, v[4:5]
	v_mov_b32_e32 v1, s11
	v_add_co_u32_e64 v4, s[0:1], s10, v4
	v_addc_co_u32_e64 v5, s[0:1], v1, v5, s[0:1]
	global_load_dword v8, v[4:5], off
	v_add_u32_e32 v2, 0x100, v2
.LBB28_4:
	s_or_b64 exec, exec, s[2:3]
	v_cmp_gt_i32_e64 s[0:1], s19, v2
	v_mov_b32_e32 v1, 0
	v_mov_b32_e32 v7, 0
	s_and_saveexec_b64 s[2:3], s[0:1]
	s_cbranch_execz .LBB28_6
; %bb.5:
	v_add_u32_e32 v4, s18, v2
	v_mov_b32_e32 v5, 0
	v_lshlrev_b64 v[4:5], 2, v[4:5]
	v_mov_b32_e32 v3, s11
	v_add_co_u32_e64 v4, s[0:1], s10, v4
	v_addc_co_u32_e64 v5, s[0:1], v3, v5, s[0:1]
	global_load_dword v7, v[4:5], off
	v_add_u32_e32 v2, 0x100, v2
.LBB28_6:
	s_or_b64 exec, exec, s[2:3]
	s_load_dword s20, s[4:5], 0x8
	v_cmp_gt_i32_e64 s[0:1], s19, v2
	s_and_saveexec_b64 s[2:3], s[0:1]
	s_cbranch_execz .LBB28_8
; %bb.7:
	v_add_u32_e32 v2, s18, v2
	v_mov_b32_e32 v3, 0
	v_lshlrev_b64 v[2:3], 2, v[2:3]
	v_mov_b32_e32 v1, s11
	v_add_co_u32_e64 v2, s[0:1], s10, v2
	v_addc_co_u32_e64 v3, s[0:1], v1, v3, s[0:1]
	global_load_dword v1, v[2:3], off
.LBB28_8:
	s_or_b64 exec, exec, s[2:3]
                                        ; implicit-def: $vgpr2_vgpr3_vgpr4_vgpr5
	s_and_saveexec_b64 s[2:3], vcc
	s_cbranch_execz .LBB28_22
; %bb.9:
	s_waitcnt vmcnt(0)
	v_trunc_f32_e32 v2, v9
	s_mov_b32 s0, 0x2f800000
	v_mul_f32_e64 v3, |v2|, s0
	v_floor_f32_e32 v3, v3
	s_mov_b32 s0, 0xcf800000
	v_cvt_u32_f32_e32 v4, v3
	v_fma_f32 v3, v3, s0, |v2|
	v_cvt_u32_f32_e32 v3, v3
	v_ashrrev_i32_e32 v2, 31, v2
	v_xor_b32_e32 v5, v4, v2
	v_xor_b32_e32 v3, v3, v2
	v_sub_co_u32_e64 v4, s[0:1], v3, v2
	v_subb_co_u32_e64 v5, s[0:1], v5, v2, s[0:1]
	v_cmp_lt_i64_e64 s[0:1], -1, v[4:5]
	v_mov_b32_e32 v2, 0
	s_and_saveexec_b64 s[4:5], s[0:1]
	s_cbranch_execz .LBB28_21
; %bb.10:
	v_cmp_lt_i64_e64 s[0:1], 0, v[4:5]
	v_mov_b32_e32 v2, 1.0
	s_and_saveexec_b64 s[6:7], s[0:1]
	s_cbranch_execz .LBB28_20
; %bb.11:
	v_cmp_ne_u64_e64 s[0:1], 1, v[4:5]
                                        ; implicit-def: $vgpr2
	s_and_saveexec_b64 s[10:11], s[0:1]
	s_xor_b64 s[10:11], exec, s[10:11]
	s_cbranch_execz .LBB28_17
; %bb.12:
	s_mov_b64 s[0:1], 0x81
	v_cmp_gt_u64_e64 s[0:1], s[0:1], v[4:5]
	v_mov_b32_e32 v2, 0x7fc00000
	s_and_saveexec_b64 s[12:13], s[0:1]
	s_cbranch_execz .LBB28_16
; %bb.13:
	s_mov_b64 s[16:17], 1
	s_mov_b64 s[14:15], 0
	s_waitcnt lgkmcnt(0)
	v_mov_b32_e32 v2, s20
	v_mov_b32_e32 v3, 1.0
.LBB28_14:                              ; =>This Inner Loop Header: Depth=1
	s_flbit_i32_b32 s0, s17
	s_min_u32 s21, s0, 32
	s_lshl_b64 s[0:1], s[16:17], s21
	s_min_u32 s0, s0, 1
	s_or_b32 s0, s1, s0
	v_cvt_f32_u32_e32 v9, s0
	s_sub_i32 s21, 32, s21
	s_add_u32 s16, s16, 1
	s_addc_u32 s17, s17, 0
	v_ldexp_f32 v9, v9, s21
	v_cmp_eq_u64_e64 s[0:1], s[16:17], v[4:5]
	v_mul_f32_e32 v9, v3, v9
	s_or_b64 s[14:15], s[0:1], s[14:15]
	v_mov_b32_e32 v3, v2
	v_fma_f32 v2, s20, v2, -v9
	s_andn2_b64 exec, exec, s[14:15]
	s_cbranch_execnz .LBB28_14
; %bb.15:
	s_or_b64 exec, exec, s[14:15]
.LBB28_16:
	s_or_b64 exec, exec, s[12:13]
.LBB28_17:
	s_andn2_saveexec_b64 s[0:1], s[10:11]
	s_cbranch_execz .LBB28_19
; %bb.18:
	s_waitcnt lgkmcnt(0)
	v_mov_b32_e32 v2, s20
.LBB28_19:
	s_or_b64 exec, exec, s[0:1]
.LBB28_20:
	s_or_b64 exec, exec, s[6:7]
.LBB28_21:
	s_or_b64 exec, exec, s[4:5]
.LBB28_22:
	s_or_b64 exec, exec, s[2:3]
	v_or_b32_e32 v10, 0x100, v0
	v_cmp_gt_i32_e64 s[0:1], s19, v10
	s_and_saveexec_b64 s[2:3], s[0:1]
	s_cbranch_execz .LBB28_36
; %bb.23:
	s_waitcnt vmcnt(0)
	v_trunc_f32_e32 v3, v8
	s_mov_b32 s0, 0x2f800000
	v_mul_f32_e64 v8, |v3|, s0
	v_floor_f32_e32 v8, v8
	s_mov_b32 s0, 0xcf800000
	v_cvt_u32_f32_e32 v9, v8
	v_fma_f32 v8, v8, s0, |v3|
	v_cvt_u32_f32_e32 v8, v8
	v_ashrrev_i32_e32 v3, 31, v3
	v_xor_b32_e32 v9, v9, v3
	v_xor_b32_e32 v8, v8, v3
	v_sub_co_u32_e64 v8, s[0:1], v8, v3
	v_subb_co_u32_e64 v9, s[0:1], v9, v3, s[0:1]
	v_cmp_lt_i64_e64 s[0:1], -1, v[8:9]
	v_mov_b32_e32 v3, 0
	s_and_saveexec_b64 s[4:5], s[0:1]
	s_cbranch_execz .LBB28_35
; %bb.24:
	v_cmp_lt_i64_e64 s[0:1], 0, v[8:9]
	v_mov_b32_e32 v3, 1.0
	s_and_saveexec_b64 s[6:7], s[0:1]
	s_cbranch_execz .LBB28_34
; %bb.25:
	v_cmp_ne_u64_e64 s[0:1], 1, v[8:9]
	s_and_saveexec_b64 s[10:11], s[0:1]
	s_xor_b64 s[10:11], exec, s[10:11]
	s_cbranch_execz .LBB28_31
; %bb.26:
	s_mov_b64 s[0:1], 0x81
	v_cmp_gt_u64_e64 s[0:1], s[0:1], v[8:9]
	v_mov_b32_e32 v3, 0x7fc00000
	s_and_saveexec_b64 s[12:13], s[0:1]
	s_cbranch_execz .LBB28_30
; %bb.27:
	s_mov_b64 s[16:17], 1
	s_mov_b64 s[14:15], 0
	s_waitcnt lgkmcnt(0)
	v_mov_b32_e32 v3, s20
	v_mov_b32_e32 v11, 1.0
.LBB28_28:                              ; =>This Inner Loop Header: Depth=1
	s_flbit_i32_b32 s0, s17
	s_min_u32 s21, s0, 32
	s_lshl_b64 s[0:1], s[16:17], s21
	s_min_u32 s0, s0, 1
	s_or_b32 s0, s1, s0
	v_cvt_f32_u32_e32 v12, s0
	s_sub_i32 s21, 32, s21
	s_add_u32 s16, s16, 1
	s_addc_u32 s17, s17, 0
	v_ldexp_f32 v12, v12, s21
	v_cmp_eq_u64_e64 s[0:1], s[16:17], v[8:9]
	v_mul_f32_e32 v12, v11, v12
	s_or_b64 s[14:15], s[0:1], s[14:15]
	v_mov_b32_e32 v11, v3
	v_fma_f32 v3, s20, v3, -v12
	s_andn2_b64 exec, exec, s[14:15]
	s_cbranch_execnz .LBB28_28
; %bb.29:
	s_or_b64 exec, exec, s[14:15]
.LBB28_30:
	s_or_b64 exec, exec, s[12:13]
.LBB28_31:
	s_andn2_saveexec_b64 s[0:1], s[10:11]
	s_cbranch_execz .LBB28_33
; %bb.32:
	s_waitcnt lgkmcnt(0)
	v_mov_b32_e32 v3, s20
.LBB28_33:
	s_or_b64 exec, exec, s[0:1]
.LBB28_34:
	s_or_b64 exec, exec, s[6:7]
.LBB28_35:
	s_or_b64 exec, exec, s[4:5]
.LBB28_36:
	s_or_b64 exec, exec, s[2:3]
	s_waitcnt vmcnt(0)
	v_or_b32_e32 v8, 0x200, v0
	v_cmp_gt_i32_e64 s[0:1], s19, v8
	s_and_saveexec_b64 s[2:3], s[0:1]
	s_cbranch_execz .LBB28_50
; %bb.37:
	v_trunc_f32_e32 v4, v7
	s_mov_b32 s0, 0x2f800000
	v_mul_f32_e64 v7, |v4|, s0
	v_floor_f32_e32 v7, v7
	s_mov_b32 s0, 0xcf800000
	v_cvt_u32_f32_e32 v8, v7
	v_fma_f32 v7, v7, s0, |v4|
	v_cvt_u32_f32_e32 v7, v7
	v_ashrrev_i32_e32 v4, 31, v4
	v_xor_b32_e32 v9, v8, v4
	v_xor_b32_e32 v7, v7, v4
	v_sub_co_u32_e64 v8, s[0:1], v7, v4
	v_subb_co_u32_e64 v9, s[0:1], v9, v4, s[0:1]
	v_cmp_lt_i64_e64 s[0:1], -1, v[8:9]
	v_mov_b32_e32 v4, 0
	s_and_saveexec_b64 s[4:5], s[0:1]
	s_cbranch_execz .LBB28_49
; %bb.38:
	v_cmp_lt_i64_e64 s[0:1], 0, v[8:9]
	v_mov_b32_e32 v4, 1.0
	s_and_saveexec_b64 s[6:7], s[0:1]
	s_cbranch_execz .LBB28_48
; %bb.39:
	v_cmp_ne_u64_e64 s[0:1], 1, v[8:9]
	s_and_saveexec_b64 s[10:11], s[0:1]
	s_xor_b64 s[10:11], exec, s[10:11]
	s_cbranch_execz .LBB28_45
; %bb.40:
	s_mov_b64 s[0:1], 0x81
	v_cmp_gt_u64_e64 s[0:1], s[0:1], v[8:9]
	v_mov_b32_e32 v4, 0x7fc00000
	s_and_saveexec_b64 s[12:13], s[0:1]
	s_cbranch_execz .LBB28_44
; %bb.41:
	s_mov_b64 s[16:17], 1
	s_mov_b64 s[14:15], 0
	s_waitcnt lgkmcnt(0)
	v_mov_b32_e32 v4, s20
	v_mov_b32_e32 v7, 1.0
.LBB28_42:                              ; =>This Inner Loop Header: Depth=1
	s_flbit_i32_b32 s0, s17
	s_min_u32 s21, s0, 32
	s_lshl_b64 s[0:1], s[16:17], s21
	s_min_u32 s0, s0, 1
	s_or_b32 s0, s1, s0
	v_cvt_f32_u32_e32 v11, s0
	s_sub_i32 s21, 32, s21
	s_add_u32 s16, s16, 1
	s_addc_u32 s17, s17, 0
	v_ldexp_f32 v11, v11, s21
	v_cmp_eq_u64_e64 s[0:1], s[16:17], v[8:9]
	v_mul_f32_e32 v11, v7, v11
	s_or_b64 s[14:15], s[0:1], s[14:15]
	v_mov_b32_e32 v7, v4
	v_fma_f32 v4, s20, v4, -v11
	s_andn2_b64 exec, exec, s[14:15]
	s_cbranch_execnz .LBB28_42
; %bb.43:
	s_or_b64 exec, exec, s[14:15]
.LBB28_44:
	s_or_b64 exec, exec, s[12:13]
.LBB28_45:
	s_andn2_saveexec_b64 s[0:1], s[10:11]
	s_cbranch_execz .LBB28_47
; %bb.46:
	s_waitcnt lgkmcnt(0)
	v_mov_b32_e32 v4, s20
.LBB28_47:
	s_or_b64 exec, exec, s[0:1]
.LBB28_48:
	s_or_b64 exec, exec, s[6:7]
.LBB28_49:
	s_or_b64 exec, exec, s[4:5]
.LBB28_50:
	s_or_b64 exec, exec, s[2:3]
	v_or_b32_e32 v7, 0x300, v0
	v_cmp_gt_i32_e64 s[0:1], s19, v7
	s_and_saveexec_b64 s[2:3], s[0:1]
	s_cbranch_execnz .LBB28_56
; %bb.51:
	s_or_b64 exec, exec, s[2:3]
	s_and_saveexec_b64 s[0:1], vcc
	s_xor_b64 s[0:1], exec, s[0:1]
	s_cbranch_execnz .LBB28_69
.LBB28_52:
	s_or_b64 exec, exec, s[0:1]
	v_cmp_gt_i32_e32 vcc, s19, v0
	s_and_saveexec_b64 s[0:1], vcc
	s_cbranch_execnz .LBB28_70
.LBB28_53:
	s_or_b64 exec, exec, s[0:1]
	v_cmp_gt_i32_e32 vcc, s19, v0
	s_and_saveexec_b64 s[0:1], vcc
	s_cbranch_execnz .LBB28_71
.LBB28_54:
	s_or_b64 exec, exec, s[0:1]
	v_cmp_gt_i32_e32 vcc, s19, v0
	s_and_saveexec_b64 s[0:1], vcc
	s_cbranch_execnz .LBB28_72
.LBB28_55:
	s_endpgm
.LBB28_56:
	v_trunc_f32_e32 v1, v1
	s_mov_b32 s0, 0x2f800000
	v_mul_f32_e64 v5, |v1|, s0
	v_floor_f32_e32 v5, v5
	s_mov_b32 s0, 0xcf800000
	v_cvt_u32_f32_e32 v7, v5
	v_fma_f32 v5, v5, s0, |v1|
	v_cvt_u32_f32_e32 v5, v5
	v_ashrrev_i32_e32 v1, 31, v1
	v_xor_b32_e32 v7, v7, v1
	v_xor_b32_e32 v5, v5, v1
	v_sub_co_u32_e64 v8, s[0:1], v5, v1
	v_subb_co_u32_e64 v9, s[0:1], v7, v1, s[0:1]
	v_cmp_lt_i64_e64 s[0:1], -1, v[8:9]
	v_mov_b32_e32 v5, 0
	s_and_saveexec_b64 s[4:5], s[0:1]
	s_cbranch_execz .LBB28_68
; %bb.57:
	v_cmp_lt_i64_e64 s[0:1], 0, v[8:9]
	v_mov_b32_e32 v5, 1.0
	s_and_saveexec_b64 s[6:7], s[0:1]
	s_cbranch_execz .LBB28_67
; %bb.58:
	v_cmp_ne_u64_e64 s[0:1], 1, v[8:9]
	s_and_saveexec_b64 s[10:11], s[0:1]
	s_xor_b64 s[10:11], exec, s[10:11]
	s_cbranch_execz .LBB28_64
; %bb.59:
	s_mov_b64 s[0:1], 0x81
	v_cmp_gt_u64_e64 s[0:1], s[0:1], v[8:9]
	v_mov_b32_e32 v5, 0x7fc00000
	s_and_saveexec_b64 s[12:13], s[0:1]
	s_cbranch_execz .LBB28_63
; %bb.60:
	s_mov_b64 s[16:17], 1
	s_mov_b64 s[14:15], 0
	s_waitcnt lgkmcnt(0)
	v_mov_b32_e32 v5, s20
	v_mov_b32_e32 v1, 1.0
.LBB28_61:                              ; =>This Inner Loop Header: Depth=1
	s_flbit_i32_b32 s0, s17
	s_min_u32 s21, s0, 32
	s_lshl_b64 s[0:1], s[16:17], s21
	s_min_u32 s0, s0, 1
	s_or_b32 s0, s1, s0
	v_cvt_f32_u32_e32 v7, s0
	s_sub_i32 s21, 32, s21
	s_add_u32 s16, s16, 1
	s_addc_u32 s17, s17, 0
	v_ldexp_f32 v7, v7, s21
	v_cmp_eq_u64_e64 s[0:1], s[16:17], v[8:9]
	v_mul_f32_e32 v7, v1, v7
	s_or_b64 s[14:15], s[0:1], s[14:15]
	v_mov_b32_e32 v1, v5
	v_fma_f32 v5, s20, v5, -v7
	s_andn2_b64 exec, exec, s[14:15]
	s_cbranch_execnz .LBB28_61
; %bb.62:
	s_or_b64 exec, exec, s[14:15]
.LBB28_63:
	s_or_b64 exec, exec, s[12:13]
.LBB28_64:
	s_andn2_saveexec_b64 s[0:1], s[10:11]
	s_cbranch_execz .LBB28_66
; %bb.65:
	s_waitcnt lgkmcnt(0)
	v_mov_b32_e32 v5, s20
.LBB28_66:
	s_or_b64 exec, exec, s[0:1]
.LBB28_67:
	s_or_b64 exec, exec, s[6:7]
.LBB28_68:
	s_or_b64 exec, exec, s[4:5]
	s_or_b64 exec, exec, s[2:3]
	s_and_saveexec_b64 s[0:1], vcc
	s_xor_b64 s[0:1], exec, s[0:1]
	s_cbranch_execz .LBB28_52
.LBB28_69:
	v_mov_b32_e32 v7, 0
	v_lshlrev_b64 v[0:1], 2, v[6:7]
	v_mov_b32_e32 v6, s9
	v_add_co_u32_e32 v0, vcc, s8, v0
	v_addc_co_u32_e32 v1, vcc, v6, v1, vcc
	global_store_dword v[0:1], v2, off
	v_mov_b32_e32 v0, v10
	s_or_b64 exec, exec, s[0:1]
	v_cmp_gt_i32_e32 vcc, s19, v0
	s_and_saveexec_b64 s[0:1], vcc
	s_cbranch_execz .LBB28_53
.LBB28_70:
	v_add_u32_e32 v2, 0x100, v0
	v_add_u32_e32 v0, s18, v0
	v_mov_b32_e32 v1, 0
	v_lshlrev_b64 v[0:1], 2, v[0:1]
	v_mov_b32_e32 v6, s9
	v_add_co_u32_e32 v0, vcc, s8, v0
	v_addc_co_u32_e32 v1, vcc, v6, v1, vcc
	global_store_dword v[0:1], v3, off
	v_mov_b32_e32 v0, v2
	s_or_b64 exec, exec, s[0:1]
	v_cmp_gt_i32_e32 vcc, s19, v0
	s_and_saveexec_b64 s[0:1], vcc
	s_cbranch_execz .LBB28_54
.LBB28_71:
	v_add_u32_e32 v2, 0x100, v0
	v_add_u32_e32 v0, s18, v0
	v_mov_b32_e32 v1, 0
	v_lshlrev_b64 v[0:1], 2, v[0:1]
	v_mov_b32_e32 v3, s9
	v_add_co_u32_e32 v0, vcc, s8, v0
	v_addc_co_u32_e32 v1, vcc, v3, v1, vcc
	global_store_dword v[0:1], v4, off
	v_mov_b32_e32 v0, v2
	s_or_b64 exec, exec, s[0:1]
	v_cmp_gt_i32_e32 vcc, s19, v0
	s_and_saveexec_b64 s[0:1], vcc
	s_cbranch_execz .LBB28_55
.LBB28_72:
	v_add_u32_e32 v0, s18, v0
	v_mov_b32_e32 v1, 0
	v_lshlrev_b64 v[0:1], 2, v[0:1]
	v_mov_b32_e32 v2, s9
	v_add_co_u32_e32 v0, vcc, s8, v0
	v_addc_co_u32_e32 v1, vcc, v2, v1, vcc
	global_store_dword v[0:1], v5, off
	s_endpgm
	.section	.rodata,"a",@progbits
	.p2align	6, 0x0
	.amdhsa_kernel _ZN2at6native27unrolled_elementwise_kernelINS0_13AUnaryFunctorIfffZZZNS0_12_GLOBAL__N_133hermite_polynomial_he_kernel_cudaERNS_18TensorIteratorBaseEENKUlvE_clEvENKUlvE0_clEvEUlffE_EESt5arrayIPcLm2EELi4E23TrivialOffsetCalculatorILi1EjESE_NS0_6memory15LoadWithoutCastENSF_16StoreWithoutCastEEEviT_T0_T2_T3_T4_T5_
		.amdhsa_group_segment_fixed_size 0
		.amdhsa_private_segment_fixed_size 0
		.amdhsa_kernarg_size 36
		.amdhsa_user_sgpr_count 6
		.amdhsa_user_sgpr_private_segment_buffer 1
		.amdhsa_user_sgpr_dispatch_ptr 0
		.amdhsa_user_sgpr_queue_ptr 0
		.amdhsa_user_sgpr_kernarg_segment_ptr 1
		.amdhsa_user_sgpr_dispatch_id 0
		.amdhsa_user_sgpr_flat_scratch_init 0
		.amdhsa_user_sgpr_kernarg_preload_length 0
		.amdhsa_user_sgpr_kernarg_preload_offset 0
		.amdhsa_user_sgpr_private_segment_size 0
		.amdhsa_uses_dynamic_stack 0
		.amdhsa_system_sgpr_private_segment_wavefront_offset 0
		.amdhsa_system_sgpr_workgroup_id_x 1
		.amdhsa_system_sgpr_workgroup_id_y 0
		.amdhsa_system_sgpr_workgroup_id_z 0
		.amdhsa_system_sgpr_workgroup_info 0
		.amdhsa_system_vgpr_workitem_id 0
		.amdhsa_next_free_vgpr 13
		.amdhsa_next_free_sgpr 22
		.amdhsa_accum_offset 16
		.amdhsa_reserve_vcc 1
		.amdhsa_reserve_flat_scratch 0
		.amdhsa_float_round_mode_32 0
		.amdhsa_float_round_mode_16_64 0
		.amdhsa_float_denorm_mode_32 3
		.amdhsa_float_denorm_mode_16_64 3
		.amdhsa_dx10_clamp 1
		.amdhsa_ieee_mode 1
		.amdhsa_fp16_overflow 0
		.amdhsa_tg_split 0
		.amdhsa_exception_fp_ieee_invalid_op 0
		.amdhsa_exception_fp_denorm_src 0
		.amdhsa_exception_fp_ieee_div_zero 0
		.amdhsa_exception_fp_ieee_overflow 0
		.amdhsa_exception_fp_ieee_underflow 0
		.amdhsa_exception_fp_ieee_inexact 0
		.amdhsa_exception_int_div_zero 0
	.end_amdhsa_kernel
	.section	.text._ZN2at6native27unrolled_elementwise_kernelINS0_13AUnaryFunctorIfffZZZNS0_12_GLOBAL__N_133hermite_polynomial_he_kernel_cudaERNS_18TensorIteratorBaseEENKUlvE_clEvENKUlvE0_clEvEUlffE_EESt5arrayIPcLm2EELi4E23TrivialOffsetCalculatorILi1EjESE_NS0_6memory15LoadWithoutCastENSF_16StoreWithoutCastEEEviT_T0_T2_T3_T4_T5_,"axG",@progbits,_ZN2at6native27unrolled_elementwise_kernelINS0_13AUnaryFunctorIfffZZZNS0_12_GLOBAL__N_133hermite_polynomial_he_kernel_cudaERNS_18TensorIteratorBaseEENKUlvE_clEvENKUlvE0_clEvEUlffE_EESt5arrayIPcLm2EELi4E23TrivialOffsetCalculatorILi1EjESE_NS0_6memory15LoadWithoutCastENSF_16StoreWithoutCastEEEviT_T0_T2_T3_T4_T5_,comdat
.Lfunc_end28:
	.size	_ZN2at6native27unrolled_elementwise_kernelINS0_13AUnaryFunctorIfffZZZNS0_12_GLOBAL__N_133hermite_polynomial_he_kernel_cudaERNS_18TensorIteratorBaseEENKUlvE_clEvENKUlvE0_clEvEUlffE_EESt5arrayIPcLm2EELi4E23TrivialOffsetCalculatorILi1EjESE_NS0_6memory15LoadWithoutCastENSF_16StoreWithoutCastEEEviT_T0_T2_T3_T4_T5_, .Lfunc_end28-_ZN2at6native27unrolled_elementwise_kernelINS0_13AUnaryFunctorIfffZZZNS0_12_GLOBAL__N_133hermite_polynomial_he_kernel_cudaERNS_18TensorIteratorBaseEENKUlvE_clEvENKUlvE0_clEvEUlffE_EESt5arrayIPcLm2EELi4E23TrivialOffsetCalculatorILi1EjESE_NS0_6memory15LoadWithoutCastENSF_16StoreWithoutCastEEEviT_T0_T2_T3_T4_T5_
                                        ; -- End function
	.section	.AMDGPU.csdata,"",@progbits
; Kernel info:
; codeLenInByte = 1956
; NumSgprs: 26
; NumVgprs: 13
; NumAgprs: 0
; TotalNumVgprs: 13
; ScratchSize: 0
; MemoryBound: 0
; FloatMode: 240
; IeeeMode: 1
; LDSByteSize: 0 bytes/workgroup (compile time only)
; SGPRBlocks: 3
; VGPRBlocks: 1
; NumSGPRsForWavesPerEU: 26
; NumVGPRsForWavesPerEU: 13
; AccumOffset: 16
; Occupancy: 8
; WaveLimiterHint : 0
; COMPUTE_PGM_RSRC2:SCRATCH_EN: 0
; COMPUTE_PGM_RSRC2:USER_SGPR: 6
; COMPUTE_PGM_RSRC2:TRAP_HANDLER: 0
; COMPUTE_PGM_RSRC2:TGID_X_EN: 1
; COMPUTE_PGM_RSRC2:TGID_Y_EN: 0
; COMPUTE_PGM_RSRC2:TGID_Z_EN: 0
; COMPUTE_PGM_RSRC2:TIDIG_COMP_CNT: 0
; COMPUTE_PGM_RSRC3_GFX90A:ACCUM_OFFSET: 3
; COMPUTE_PGM_RSRC3_GFX90A:TG_SPLIT: 0
	.section	.text._ZN2at6native32elementwise_kernel_manual_unrollILi128ELi4EZNS0_22gpu_kernel_impl_nocastINS0_13AUnaryFunctorIfffZZZNS0_12_GLOBAL__N_133hermite_polynomial_he_kernel_cudaERNS_18TensorIteratorBaseEENKUlvE_clEvENKUlvE0_clEvEUlffE_EEEEvS6_RKT_EUlibE_EEviT1_,"axG",@progbits,_ZN2at6native32elementwise_kernel_manual_unrollILi128ELi4EZNS0_22gpu_kernel_impl_nocastINS0_13AUnaryFunctorIfffZZZNS0_12_GLOBAL__N_133hermite_polynomial_he_kernel_cudaERNS_18TensorIteratorBaseEENKUlvE_clEvENKUlvE0_clEvEUlffE_EEEEvS6_RKT_EUlibE_EEviT1_,comdat
	.globl	_ZN2at6native32elementwise_kernel_manual_unrollILi128ELi4EZNS0_22gpu_kernel_impl_nocastINS0_13AUnaryFunctorIfffZZZNS0_12_GLOBAL__N_133hermite_polynomial_he_kernel_cudaERNS_18TensorIteratorBaseEENKUlvE_clEvENKUlvE0_clEvEUlffE_EEEEvS6_RKT_EUlibE_EEviT1_ ; -- Begin function _ZN2at6native32elementwise_kernel_manual_unrollILi128ELi4EZNS0_22gpu_kernel_impl_nocastINS0_13AUnaryFunctorIfffZZZNS0_12_GLOBAL__N_133hermite_polynomial_he_kernel_cudaERNS_18TensorIteratorBaseEENKUlvE_clEvENKUlvE0_clEvEUlffE_EEEEvS6_RKT_EUlibE_EEviT1_
	.p2align	8
	.type	_ZN2at6native32elementwise_kernel_manual_unrollILi128ELi4EZNS0_22gpu_kernel_impl_nocastINS0_13AUnaryFunctorIfffZZZNS0_12_GLOBAL__N_133hermite_polynomial_he_kernel_cudaERNS_18TensorIteratorBaseEENKUlvE_clEvENKUlvE0_clEvEUlffE_EEEEvS6_RKT_EUlibE_EEviT1_,@function
_ZN2at6native32elementwise_kernel_manual_unrollILi128ELi4EZNS0_22gpu_kernel_impl_nocastINS0_13AUnaryFunctorIfffZZZNS0_12_GLOBAL__N_133hermite_polynomial_he_kernel_cudaERNS_18TensorIteratorBaseEENKUlvE_clEvENKUlvE0_clEvEUlffE_EEEEvS6_RKT_EUlibE_EEviT1_: ; @_ZN2at6native32elementwise_kernel_manual_unrollILi128ELi4EZNS0_22gpu_kernel_impl_nocastINS0_13AUnaryFunctorIfffZZZNS0_12_GLOBAL__N_133hermite_polynomial_he_kernel_cudaERNS_18TensorIteratorBaseEENKUlvE_clEvENKUlvE0_clEvEUlffE_EEEEvS6_RKT_EUlibE_EEviT1_
; %bb.0:
	s_load_dword s58, s[4:5], 0x0
	s_load_dword s33, s[4:5], 0x8
	s_or_b32 s4, s4, 8
	v_lshl_or_b32 v6, s6, 9, v0
	v_or_b32_e32 v15, 0x180, v6
	s_waitcnt lgkmcnt(0)
	v_cmp_le_i32_e32 vcc, s58, v15
	s_add_i32 s56, s33, -1
	s_cmp_gt_u32 s56, 1
	s_cselect_b64 s[6:7], -1, 0
	s_and_saveexec_b64 s[0:1], vcc
	s_xor_b64 s[34:35], exec, s[0:1]
	s_cbranch_execz .LBB29_8
; %bb.1:
	s_load_dwordx4 s[28:31], s[4:5], 0x4
	s_load_dwordx2 s[40:41], s[4:5], 0x14
	s_load_dwordx4 s[24:27], s[4:5], 0xc4
	s_load_dwordx4 s[0:3], s[4:5], 0x148
	s_load_dword s57, s[4:5], 0x15c
	s_cmp_lg_u32 s33, 0
	s_cselect_b64 s[46:47], -1, 0
	s_add_u32 s44, s4, 0xc4
	s_addc_u32 s45, s5, 0
	s_min_u32 s59, s56, 15
	s_cmp_gt_u32 s33, 1
	s_cselect_b64 s[42:43], -1, 0
	v_cmp_gt_i32_e32 vcc, s58, v6
	s_and_saveexec_b64 s[48:49], vcc
	s_cbranch_execz .LBB29_16
; %bb.2:
	s_andn2_b64 vcc, exec, s[6:7]
	s_cbranch_vccnz .LBB29_24
; %bb.3:
	s_mov_b32 s50, 0
	s_andn2_b64 vcc, exec, s[46:47]
	v_mov_b32_e32 v2, 0
	v_mov_b32_e32 v0, 0
	s_cbranch_vccnz .LBB29_128
; %bb.4:
	s_add_i32 s60, s59, 1
	s_cmp_eq_u32 s56, 2
	s_cbranch_scc1 .LBB29_123
; %bb.5:
	s_and_b32 s50, s60, 28
	s_mov_b32 s51, 0
	v_mov_b32_e32 v0, 0
	s_mov_b64 s[52:53], s[4:5]
	s_mov_b64 s[54:55], s[44:45]
	v_mov_b32_e32 v3, v6
	v_mov_b32_e32 v2, 0
.LBB29_6:                               ; =>This Inner Loop Header: Depth=1
	s_load_dwordx8 s[16:23], s[52:53], 0x4
	s_load_dwordx4 s[36:39], s[52:53], 0x24
	s_load_dwordx8 s[8:15], s[54:55], 0x0
	s_add_u32 s52, s52, 48
	s_addc_u32 s53, s53, 0
	s_waitcnt lgkmcnt(0)
	v_mul_hi_u32 v1, s17, v3
	v_add_u32_e32 v1, v3, v1
	v_lshrrev_b32_e32 v1, s18, v1
	v_mul_lo_u32 v4, v1, s16
	v_mul_hi_u32 v5, s20, v1
	v_sub_u32_e32 v3, v3, v4
	v_add_u32_e32 v4, v1, v5
	v_lshrrev_b32_e32 v4, s21, v4
	v_mul_lo_u32 v7, v4, s19
	v_mul_hi_u32 v8, s23, v4
	v_sub_u32_e32 v1, v1, v7
	v_add_u32_e32 v7, v4, v8
	v_mul_lo_u32 v5, v3, s9
	v_mul_lo_u32 v3, v3, s8
	;; [unrolled: 1-line block ×4, first 2 shown]
	v_lshrrev_b32_e32 v7, s36, v7
	v_add3_u32 v0, v3, v0, v1
	v_mul_hi_u32 v3, s38, v7
	v_add_u32_e32 v3, v7, v3
	v_lshrrev_b32_e32 v3, s39, v3
	s_add_i32 s51, s51, 4
	v_add3_u32 v1, v5, v2, v8
	v_mul_lo_u32 v2, v7, s22
	v_mul_lo_u32 v5, v3, s37
	s_add_u32 s54, s54, 32
	v_sub_u32_e32 v2, v4, v2
	v_sub_u32_e32 v5, v7, v5
	s_addc_u32 s55, s55, 0
	v_mul_lo_u32 v4, v2, s12
	v_mul_lo_u32 v2, v2, s13
	;; [unrolled: 1-line block ×4, first 2 shown]
	s_cmp_lg_u32 s50, s51
	v_add3_u32 v2, v2, v1, v5
	v_add3_u32 v0, v4, v0, v7
	s_cbranch_scc1 .LBB29_6
; %bb.7:
	v_mov_b32_e32 v1, v2
	s_branch .LBB29_124
.LBB29_8:
	s_andn2_saveexec_b64 s[0:1], s[34:35]
	s_cbranch_execz .LBB29_175
.LBB29_9:
	v_cndmask_b32_e64 v0, 0, 1, s[6:7]
	v_cmp_ne_u32_e64 s[0:1], 1, v0
	s_andn2_b64 vcc, exec, s[6:7]
	s_cbranch_vccnz .LBB29_23
; %bb.10:
	s_mov_b32 s2, 0
	s_cmp_lg_u32 s33, 0
	v_mov_b32_e32 v4, 0
	v_mov_b32_e32 v0, 0
	s_cbranch_scc0 .LBB29_15
; %bb.11:
	s_min_u32 s30, s56, 15
	s_add_i32 s30, s30, 1
	s_cmp_eq_u32 s56, 2
	s_cbranch_scc1 .LBB29_26
; %bb.12:
	s_add_u32 s6, s4, 0xc4
	s_addc_u32 s7, s5, 0
	s_and_b32 s2, s30, 28
	s_mov_b32 s3, 0
	v_mov_b32_e32 v0, 0
	s_mov_b64 s[28:29], s[4:5]
	v_mov_b32_e32 v2, v6
	v_mov_b32_e32 v4, 0
.LBB29_13:                              ; =>This Inner Loop Header: Depth=1
	s_load_dwordx8 s[16:23], s[28:29], 0x4
	s_load_dwordx4 s[24:27], s[28:29], 0x24
	s_load_dwordx8 s[8:15], s[6:7], 0x0
	s_add_u32 s28, s28, 48
	s_addc_u32 s29, s29, 0
	s_waitcnt lgkmcnt(0)
	v_mul_hi_u32 v1, s17, v2
	v_add_u32_e32 v1, v2, v1
	v_lshrrev_b32_e32 v1, s18, v1
	v_mul_lo_u32 v3, v1, s16
	v_mul_hi_u32 v5, s20, v1
	v_sub_u32_e32 v2, v2, v3
	v_add_u32_e32 v3, v1, v5
	v_lshrrev_b32_e32 v3, s21, v3
	v_mul_lo_u32 v7, v3, s19
	v_mul_hi_u32 v8, s23, v3
	v_sub_u32_e32 v1, v1, v7
	v_add_u32_e32 v7, v3, v8
	v_mul_lo_u32 v5, v2, s9
	v_mul_lo_u32 v2, v2, s8
	;; [unrolled: 1-line block ×4, first 2 shown]
	v_lshrrev_b32_e32 v7, s24, v7
	v_add3_u32 v0, v2, v0, v1
	v_add3_u32 v1, v5, v4, v8
	v_mul_lo_u32 v2, v7, s22
	v_mul_hi_u32 v4, s26, v7
	v_sub_u32_e32 v2, v3, v2
	v_add_u32_e32 v3, v7, v4
	v_mul_lo_u32 v5, v2, s12
	v_mul_lo_u32 v4, v2, s13
	v_lshrrev_b32_e32 v2, s27, v3
	s_add_i32 s3, s3, 4
	v_mul_lo_u32 v3, v2, s25
	s_add_u32 s6, s6, 32
	v_sub_u32_e32 v3, v7, v3
	s_addc_u32 s7, s7, 0
	v_mul_lo_u32 v7, v3, s14
	v_mul_lo_u32 v3, v3, s15
	s_cmp_lg_u32 s2, s3
	v_add3_u32 v4, v4, v1, v3
	v_add3_u32 v0, v5, v0, v7
	s_cbranch_scc1 .LBB29_13
; %bb.14:
	v_mov_b32_e32 v1, v4
	s_and_b32 s8, s30, 3
	s_cmp_eq_u32 s8, 0
	s_cbranch_scc0 .LBB29_27
.LBB29_15:
	s_cbranch_execz .LBB29_30
	s_branch .LBB29_32
.LBB29_16:
	s_or_b64 exec, exec, s[48:49]
	v_cmp_gt_i32_e32 vcc, s58, v6
	s_and_saveexec_b64 s[48:49], vcc
	s_cbranch_execz .LBB29_144
.LBB29_17:
	s_andn2_b64 vcc, exec, s[6:7]
	s_cbranch_vccnz .LBB29_25
; %bb.18:
	s_mov_b32 s50, 0
	s_andn2_b64 vcc, exec, s[46:47]
	v_mov_b32_e32 v2, 0
	v_mov_b32_e32 v0, 0
	s_cbranch_vccnz .LBB29_157
; %bb.19:
	s_add_i32 s60, s59, 1
	s_cmp_eq_u32 s56, 2
	s_cbranch_scc1 .LBB29_152
; %bb.20:
	s_and_b32 s50, s60, 28
	s_mov_b32 s51, 0
	v_mov_b32_e32 v0, 0
	s_mov_b64 s[52:53], s[4:5]
	s_mov_b64 s[54:55], s[44:45]
	v_mov_b32_e32 v3, v6
	v_mov_b32_e32 v2, 0
.LBB29_21:                              ; =>This Inner Loop Header: Depth=1
	s_load_dwordx8 s[16:23], s[52:53], 0x4
	s_load_dwordx4 s[36:39], s[52:53], 0x24
	s_load_dwordx8 s[8:15], s[54:55], 0x0
	s_add_u32 s52, s52, 48
	s_addc_u32 s53, s53, 0
	s_waitcnt lgkmcnt(0)
	v_mul_hi_u32 v1, s17, v3
	v_add_u32_e32 v1, v3, v1
	v_lshrrev_b32_e32 v1, s18, v1
	v_mul_lo_u32 v4, v1, s16
	v_mul_hi_u32 v5, s20, v1
	v_sub_u32_e32 v3, v3, v4
	v_add_u32_e32 v4, v1, v5
	v_lshrrev_b32_e32 v4, s21, v4
	v_mul_lo_u32 v7, v4, s19
	v_mul_hi_u32 v8, s23, v4
	v_sub_u32_e32 v1, v1, v7
	v_add_u32_e32 v7, v4, v8
	v_mul_lo_u32 v5, v3, s9
	v_mul_lo_u32 v3, v3, s8
	;; [unrolled: 1-line block ×4, first 2 shown]
	v_lshrrev_b32_e32 v7, s36, v7
	v_add3_u32 v0, v3, v0, v1
	v_mul_hi_u32 v3, s38, v7
	v_add_u32_e32 v3, v7, v3
	v_lshrrev_b32_e32 v3, s39, v3
	s_add_i32 s51, s51, 4
	v_add3_u32 v1, v5, v2, v8
	v_mul_lo_u32 v2, v7, s22
	v_mul_lo_u32 v5, v3, s37
	s_add_u32 s54, s54, 32
	v_sub_u32_e32 v2, v4, v2
	v_sub_u32_e32 v5, v7, v5
	s_addc_u32 s55, s55, 0
	v_mul_lo_u32 v4, v2, s12
	v_mul_lo_u32 v2, v2, s13
	;; [unrolled: 1-line block ×4, first 2 shown]
	s_cmp_eq_u32 s50, s51
	v_add3_u32 v2, v2, v1, v5
	v_add3_u32 v0, v4, v0, v7
	s_cbranch_scc0 .LBB29_21
; %bb.22:
	v_mov_b32_e32 v1, v2
	s_branch .LBB29_153
.LBB29_23:
                                        ; implicit-def: $vgpr4
                                        ; implicit-def: $vgpr0
	s_branch .LBB29_30
.LBB29_24:
                                        ; implicit-def: $vgpr2
                                        ; implicit-def: $vgpr0
	s_branch .LBB29_129
.LBB29_25:
                                        ; implicit-def: $vgpr2
                                        ; implicit-def: $vgpr0
	s_branch .LBB29_158
.LBB29_26:
	s_mov_b32 s3, s2
	v_pk_mov_b32 v[0:1], s[2:3], s[2:3] op_sel:[0,1]
                                        ; implicit-def: $vgpr4
	v_mov_b32_e32 v2, v6
	s_and_b32 s8, s30, 3
	s_cmp_eq_u32 s8, 0
	s_cbranch_scc1 .LBB29_15
.LBB29_27:
	s_lshl_b32 s3, s2, 3
	s_add_u32 s3, s3, s4
	s_addc_u32 s7, 0, s5
	s_add_u32 s6, s3, 0xc4
	s_addc_u32 s7, s7, 0
	s_mul_i32 s2, s2, 12
	s_add_u32 s2, s4, s2
	s_addc_u32 s3, 0, s5
.LBB29_28:                              ; =>This Inner Loop Header: Depth=1
	s_load_dwordx2 s[10:11], s[2:3], 0x4
	s_load_dword s9, s[2:3], 0xc
	s_load_dwordx2 s[12:13], s[6:7], 0x0
	v_mov_b32_e32 v4, v1
	s_add_u32 s2, s2, 12
	s_waitcnt lgkmcnt(0)
	v_mul_hi_u32 v1, s11, v2
	v_add_u32_e32 v1, v2, v1
	v_lshrrev_b32_e32 v1, s9, v1
	s_addc_u32 s3, s3, 0
	v_mul_lo_u32 v3, v1, s10
	s_add_u32 s6, s6, 8
	v_sub_u32_e32 v3, v2, v3
	s_addc_u32 s7, s7, 0
	s_add_i32 s8, s8, -1
	v_mov_b32_e32 v2, v1
	v_mad_u64_u32 v[4:5], s[10:11], v3, s13, v[4:5]
	v_mad_u64_u32 v[0:1], s[10:11], v3, s12, v[0:1]
	s_cmp_lg_u32 s8, 0
	v_mov_b32_e32 v1, v4
	s_cbranch_scc1 .LBB29_28
; %bb.29:
	v_mov_b32_e32 v4, v1
	s_cbranch_execnz .LBB29_32
.LBB29_30:
	s_load_dwordx4 s[8:11], s[4:5], 0x4
	s_load_dwordx2 s[2:3], s[4:5], 0xc4
	s_cmp_lt_u32 s33, 2
	s_waitcnt lgkmcnt(0)
	v_mul_hi_u32 v0, s9, v6
	v_add_u32_e32 v0, v6, v0
	v_lshrrev_b32_e32 v1, s10, v0
	v_mul_lo_u32 v0, v1, s8
	v_sub_u32_e32 v0, v6, v0
	v_mul_lo_u32 v4, v0, s3
	v_mul_lo_u32 v0, v0, s2
	s_cbranch_scc1 .LBB29_32
; %bb.31:
	s_load_dwordx4 s[8:11], s[4:5], 0x10
	s_load_dwordx2 s[2:3], s[4:5], 0xcc
	s_waitcnt lgkmcnt(0)
	v_mul_hi_u32 v2, s9, v1
	v_add_u32_e32 v2, v1, v2
	v_lshrrev_b32_e32 v2, s10, v2
	v_mul_lo_u32 v2, v2, s8
	v_sub_u32_e32 v2, v1, v2
	v_mad_u64_u32 v[0:1], s[6:7], v2, s2, v[0:1]
	v_mad_u64_u32 v[4:5], s[2:3], v2, s3, v[4:5]
.LBB29_32:
	s_and_b64 vcc, exec, s[0:1]
	v_add_u32_e32 v1, 0x80, v6
	s_cbranch_vccnz .LBB29_39
; %bb.33:
	s_mov_b32 s2, 0
	s_cmp_lg_u32 s33, 0
	v_mov_b32_e32 v8, 0
	v_mov_b32_e32 v2, 0
	s_cbranch_scc0 .LBB29_38
; %bb.34:
	s_min_u32 s30, s56, 15
	s_add_i32 s30, s30, 1
	s_cmp_eq_u32 s56, 2
	s_cbranch_scc1 .LBB29_40
; %bb.35:
	s_add_u32 s6, s4, 0xc4
	s_addc_u32 s7, s5, 0
	s_and_b32 s2, s30, 28
	s_mov_b32 s3, 0
	v_mov_b32_e32 v2, 0
	s_mov_b64 s[28:29], s[4:5]
	v_mov_b32_e32 v5, v1
	v_mov_b32_e32 v8, 0
.LBB29_36:                              ; =>This Inner Loop Header: Depth=1
	s_load_dwordx8 s[16:23], s[28:29], 0x4
	s_load_dwordx4 s[24:27], s[28:29], 0x24
	s_load_dwordx8 s[8:15], s[6:7], 0x0
	s_add_u32 s28, s28, 48
	s_addc_u32 s29, s29, 0
	s_waitcnt lgkmcnt(0)
	v_mul_hi_u32 v3, s17, v5
	v_add_u32_e32 v3, v5, v3
	v_lshrrev_b32_e32 v3, s18, v3
	v_mul_lo_u32 v7, v3, s16
	v_mul_hi_u32 v9, s20, v3
	v_sub_u32_e32 v5, v5, v7
	v_add_u32_e32 v7, v3, v9
	v_lshrrev_b32_e32 v7, s21, v7
	v_mul_lo_u32 v10, v7, s19
	v_mul_hi_u32 v11, s23, v7
	v_sub_u32_e32 v3, v3, v10
	v_add_u32_e32 v10, v7, v11
	v_mul_lo_u32 v9, v5, s9
	v_mul_lo_u32 v5, v5, s8
	;; [unrolled: 1-line block ×4, first 2 shown]
	v_lshrrev_b32_e32 v10, s24, v10
	v_add3_u32 v2, v5, v2, v3
	v_add3_u32 v3, v9, v8, v11
	v_mul_lo_u32 v5, v10, s22
	v_mul_hi_u32 v8, s26, v10
	v_sub_u32_e32 v5, v7, v5
	v_add_u32_e32 v7, v10, v8
	v_mul_lo_u32 v9, v5, s12
	v_mul_lo_u32 v8, v5, s13
	v_lshrrev_b32_e32 v5, s27, v7
	s_add_i32 s3, s3, 4
	v_mul_lo_u32 v7, v5, s25
	s_add_u32 s6, s6, 32
	v_sub_u32_e32 v7, v10, v7
	s_addc_u32 s7, s7, 0
	v_mul_lo_u32 v10, v7, s14
	v_mul_lo_u32 v7, v7, s15
	s_cmp_lg_u32 s2, s3
	v_add3_u32 v8, v8, v3, v7
	v_add3_u32 v2, v9, v2, v10
	s_cbranch_scc1 .LBB29_36
; %bb.37:
	v_mov_b32_e32 v3, v8
	s_and_b32 s8, s30, 3
	s_cmp_eq_u32 s8, 0
	s_cbranch_scc0 .LBB29_41
.LBB29_38:
	s_cbranch_execz .LBB29_44
	s_branch .LBB29_46
.LBB29_39:
                                        ; implicit-def: $vgpr8
                                        ; implicit-def: $vgpr2
	s_branch .LBB29_44
.LBB29_40:
	s_mov_b32 s3, s2
	v_pk_mov_b32 v[2:3], s[2:3], s[2:3] op_sel:[0,1]
                                        ; implicit-def: $vgpr8
	v_mov_b32_e32 v5, v1
	s_and_b32 s8, s30, 3
	s_cmp_eq_u32 s8, 0
	s_cbranch_scc1 .LBB29_38
.LBB29_41:
	s_lshl_b32 s3, s2, 3
	s_add_u32 s3, s3, s4
	s_addc_u32 s7, 0, s5
	s_add_u32 s6, s3, 0xc4
	s_addc_u32 s7, s7, 0
	s_mul_i32 s2, s2, 12
	s_add_u32 s2, s4, s2
	s_addc_u32 s3, 0, s5
.LBB29_42:                              ; =>This Inner Loop Header: Depth=1
	s_load_dwordx2 s[10:11], s[2:3], 0x4
	s_load_dword s9, s[2:3], 0xc
	s_load_dwordx2 s[12:13], s[6:7], 0x0
	v_mov_b32_e32 v8, v3
	s_add_u32 s2, s2, 12
	s_waitcnt lgkmcnt(0)
	v_mul_hi_u32 v3, s11, v5
	v_add_u32_e32 v3, v5, v3
	v_lshrrev_b32_e32 v3, s9, v3
	s_addc_u32 s3, s3, 0
	v_mul_lo_u32 v7, v3, s10
	s_add_u32 s6, s6, 8
	v_sub_u32_e32 v7, v5, v7
	s_addc_u32 s7, s7, 0
	s_add_i32 s8, s8, -1
	v_mov_b32_e32 v5, v3
	v_mad_u64_u32 v[8:9], s[10:11], v7, s13, v[8:9]
	v_mad_u64_u32 v[2:3], s[10:11], v7, s12, v[2:3]
	s_cmp_lg_u32 s8, 0
	v_mov_b32_e32 v3, v8
	s_cbranch_scc1 .LBB29_42
; %bb.43:
	v_mov_b32_e32 v8, v3
	s_cbranch_execnz .LBB29_46
.LBB29_44:
	s_load_dwordx4 s[8:11], s[4:5], 0x4
	s_load_dwordx2 s[2:3], s[4:5], 0xc4
	s_cmp_lt_u32 s33, 2
	s_waitcnt lgkmcnt(0)
	v_mul_hi_u32 v2, s9, v1
	v_add_u32_e32 v2, v1, v2
	v_lshrrev_b32_e32 v3, s10, v2
	v_mul_lo_u32 v2, v3, s8
	v_sub_u32_e32 v1, v1, v2
	v_mul_lo_u32 v8, v1, s3
	v_mul_lo_u32 v2, v1, s2
	s_cbranch_scc1 .LBB29_46
; %bb.45:
	s_load_dwordx4 s[8:11], s[4:5], 0x10
	s_load_dwordx2 s[2:3], s[4:5], 0xcc
	s_waitcnt lgkmcnt(0)
	v_mul_hi_u32 v1, s9, v3
	v_add_u32_e32 v1, v3, v1
	v_lshrrev_b32_e32 v1, s10, v1
	v_mul_lo_u32 v1, v1, s8
	v_sub_u32_e32 v1, v3, v1
	v_mad_u64_u32 v[2:3], s[6:7], v1, s2, v[2:3]
	v_mad_u64_u32 v[8:9], s[2:3], v1, s3, v[8:9]
.LBB29_46:
	s_and_b64 vcc, exec, s[0:1]
	v_add_u32_e32 v1, 0x100, v6
	s_cbranch_vccnz .LBB29_53
; %bb.47:
	s_mov_b32 s2, 0
	s_cmp_lg_u32 s33, 0
	v_mov_b32_e32 v12, 0
	v_mov_b32_e32 v6, 0
	s_cbranch_scc0 .LBB29_52
; %bb.48:
	s_min_u32 s30, s56, 15
	s_add_i32 s30, s30, 1
	s_cmp_eq_u32 s56, 2
	s_cbranch_scc1 .LBB29_54
; %bb.49:
	s_add_u32 s6, s4, 0xc4
	s_addc_u32 s7, s5, 0
	s_and_b32 s2, s30, 28
	s_mov_b32 s3, 0
	v_mov_b32_e32 v6, 0
	s_mov_b64 s[28:29], s[4:5]
	v_mov_b32_e32 v3, v1
	v_mov_b32_e32 v12, 0
.LBB29_50:                              ; =>This Inner Loop Header: Depth=1
	s_load_dwordx8 s[16:23], s[28:29], 0x4
	s_load_dwordx4 s[24:27], s[28:29], 0x24
	s_load_dwordx8 s[8:15], s[6:7], 0x0
	s_add_u32 s28, s28, 48
	s_addc_u32 s29, s29, 0
	s_waitcnt lgkmcnt(0)
	v_mul_hi_u32 v5, s17, v3
	v_add_u32_e32 v5, v3, v5
	v_lshrrev_b32_e32 v5, s18, v5
	v_mul_lo_u32 v7, v5, s16
	v_mul_hi_u32 v9, s20, v5
	v_sub_u32_e32 v3, v3, v7
	v_add_u32_e32 v7, v5, v9
	v_lshrrev_b32_e32 v7, s21, v7
	v_mul_lo_u32 v10, v7, s19
	v_mul_hi_u32 v11, s23, v7
	v_sub_u32_e32 v5, v5, v10
	v_add_u32_e32 v10, v7, v11
	v_mul_lo_u32 v9, v3, s9
	v_mul_lo_u32 v3, v3, s8
	v_mul_lo_u32 v11, v5, s11
	v_mul_lo_u32 v5, v5, s10
	v_lshrrev_b32_e32 v10, s24, v10
	v_add3_u32 v5, v3, v6, v5
	v_add3_u32 v6, v9, v12, v11
	v_mul_lo_u32 v3, v10, s22
	v_mul_hi_u32 v9, s26, v10
	v_sub_u32_e32 v3, v7, v3
	v_add_u32_e32 v7, v10, v9
	v_mul_lo_u32 v9, v3, s12
	v_mul_lo_u32 v11, v3, s13
	v_lshrrev_b32_e32 v3, s27, v7
	s_add_i32 s3, s3, 4
	v_mul_lo_u32 v7, v3, s25
	s_add_u32 s6, s6, 32
	v_sub_u32_e32 v7, v10, v7
	s_addc_u32 s7, s7, 0
	v_mul_lo_u32 v10, v7, s14
	v_mul_lo_u32 v7, v7, s15
	s_cmp_lg_u32 s2, s3
	v_add3_u32 v12, v11, v6, v7
	v_add3_u32 v6, v9, v5, v10
	s_cbranch_scc1 .LBB29_50
; %bb.51:
	v_mov_b32_e32 v7, v12
	s_and_b32 s8, s30, 3
	s_cmp_eq_u32 s8, 0
	s_cbranch_scc0 .LBB29_55
.LBB29_52:
	s_cbranch_execz .LBB29_58
	s_branch .LBB29_60
.LBB29_53:
                                        ; implicit-def: $vgpr12
                                        ; implicit-def: $vgpr6
	s_branch .LBB29_58
.LBB29_54:
	s_mov_b32 s3, s2
	v_pk_mov_b32 v[6:7], s[2:3], s[2:3] op_sel:[0,1]
                                        ; implicit-def: $vgpr12
	v_mov_b32_e32 v3, v1
	s_and_b32 s8, s30, 3
	s_cmp_eq_u32 s8, 0
	s_cbranch_scc1 .LBB29_52
.LBB29_55:
	s_lshl_b32 s3, s2, 3
	s_add_u32 s3, s3, s4
	s_addc_u32 s7, 0, s5
	s_add_u32 s6, s3, 0xc4
	s_addc_u32 s7, s7, 0
	s_mul_i32 s2, s2, 12
	s_add_u32 s2, s4, s2
	s_addc_u32 s3, 0, s5
.LBB29_56:                              ; =>This Inner Loop Header: Depth=1
	s_load_dwordx2 s[10:11], s[2:3], 0x4
	s_load_dword s9, s[2:3], 0xc
	s_load_dwordx2 s[12:13], s[6:7], 0x0
	s_add_u32 s2, s2, 12
	v_mov_b32_e32 v10, v7
	s_waitcnt lgkmcnt(0)
	v_mul_hi_u32 v5, s11, v3
	v_add_u32_e32 v5, v3, v5
	v_lshrrev_b32_e32 v5, s9, v5
	s_addc_u32 s3, s3, 0
	v_mul_lo_u32 v7, v5, s10
	s_add_u32 s6, s6, 8
	v_sub_u32_e32 v7, v3, v7
	s_addc_u32 s7, s7, 0
	s_add_i32 s8, s8, -1
	v_mad_u64_u32 v[10:11], s[10:11], v7, s13, v[10:11]
	v_mad_u64_u32 v[6:7], s[10:11], v7, s12, v[6:7]
	s_cmp_lg_u32 s8, 0
	v_mov_b32_e32 v3, v5
	v_mov_b32_e32 v7, v10
	s_cbranch_scc1 .LBB29_56
; %bb.57:
	v_mov_b32_e32 v12, v7
	s_cbranch_execnz .LBB29_60
.LBB29_58:
	s_load_dwordx4 s[8:11], s[4:5], 0x4
	s_load_dwordx2 s[2:3], s[4:5], 0xc4
	s_cmp_lt_u32 s33, 2
	s_waitcnt lgkmcnt(0)
	v_mul_hi_u32 v3, s9, v1
	v_add_u32_e32 v3, v1, v3
	v_lshrrev_b32_e32 v3, s10, v3
	v_mul_lo_u32 v5, v3, s8
	v_sub_u32_e32 v1, v1, v5
	v_mul_lo_u32 v12, v1, s3
	v_mul_lo_u32 v6, v1, s2
	s_cbranch_scc1 .LBB29_60
; %bb.59:
	s_load_dwordx4 s[8:11], s[4:5], 0x10
	s_load_dwordx2 s[2:3], s[4:5], 0xcc
	s_waitcnt lgkmcnt(0)
	v_mul_hi_u32 v1, s9, v3
	v_add_u32_e32 v1, v3, v1
	v_lshrrev_b32_e32 v1, s10, v1
	v_mul_lo_u32 v1, v1, s8
	v_sub_u32_e32 v1, v3, v1
	v_mad_u64_u32 v[6:7], s[6:7], v1, s2, v[6:7]
	v_mad_u64_u32 v[12:13], s[2:3], v1, s3, v[12:13]
.LBB29_60:
	s_and_b64 vcc, exec, s[0:1]
	s_cbranch_vccnz .LBB29_67
; %bb.61:
	s_mov_b32 s6, 0
	s_cmp_lg_u32 s33, 0
	v_mov_b32_e32 v14, 0
	v_mov_b32_e32 v10, 0
	s_cbranch_scc0 .LBB29_66
; %bb.62:
	s_min_u32 s28, s56, 15
	s_add_i32 s28, s28, 1
	s_cmp_eq_u32 s56, 2
	s_cbranch_scc1 .LBB29_68
; %bb.63:
	s_add_u32 s24, s4, 0xc4
	s_addc_u32 s25, s5, 0
	s_and_b32 s6, s28, 28
	s_mov_b32 s7, 0
	v_mov_b32_e32 v10, 0
	s_mov_b64 s[26:27], s[4:5]
	v_mov_b32_e32 v1, v15
	v_mov_b32_e32 v14, 0
.LBB29_64:                              ; =>This Inner Loop Header: Depth=1
	s_load_dwordx8 s[16:23], s[26:27], 0x4
	s_load_dwordx4 s[0:3], s[26:27], 0x24
	s_load_dwordx8 s[8:15], s[24:25], 0x0
	s_add_u32 s26, s26, 48
	s_addc_u32 s27, s27, 0
	s_waitcnt lgkmcnt(0)
	v_mul_hi_u32 v3, s17, v1
	v_add_u32_e32 v3, v1, v3
	v_lshrrev_b32_e32 v3, s18, v3
	v_mul_lo_u32 v5, v3, s16
	v_mul_hi_u32 v7, s20, v3
	v_sub_u32_e32 v1, v1, v5
	v_add_u32_e32 v5, v3, v7
	v_lshrrev_b32_e32 v5, s21, v5
	v_mul_lo_u32 v9, v5, s19
	v_mul_hi_u32 v11, s23, v5
	v_sub_u32_e32 v3, v3, v9
	v_add_u32_e32 v9, v5, v11
	v_mul_lo_u32 v7, v1, s9
	v_mul_lo_u32 v1, v1, s8
	;; [unrolled: 1-line block ×4, first 2 shown]
	v_lshrrev_b32_e32 v9, s0, v9
	v_add3_u32 v3, v1, v10, v3
	v_mul_lo_u32 v1, v9, s22
	v_mul_hi_u32 v10, s2, v9
	v_sub_u32_e32 v1, v5, v1
	v_add_u32_e32 v5, v9, v10
	v_add3_u32 v7, v7, v14, v11
	v_mul_lo_u32 v10, v1, s12
	v_mul_lo_u32 v11, v1, s13
	v_lshrrev_b32_e32 v1, s3, v5
	s_add_i32 s7, s7, 4
	v_mul_lo_u32 v5, v1, s1
	s_add_u32 s24, s24, 32
	v_sub_u32_e32 v5, v9, v5
	s_addc_u32 s25, s25, 0
	v_mul_lo_u32 v9, v5, s14
	v_mul_lo_u32 v5, v5, s15
	s_cmp_lg_u32 s6, s7
	v_add3_u32 v14, v11, v7, v5
	v_add3_u32 v10, v10, v3, v9
	s_cbranch_scc1 .LBB29_64
; %bb.65:
	v_mov_b32_e32 v11, v14
	s_and_b32 s7, s28, 3
	s_cmp_eq_u32 s7, 0
	s_cbranch_scc0 .LBB29_69
.LBB29_66:
	s_cbranch_execz .LBB29_72
	s_branch .LBB29_74
.LBB29_67:
                                        ; implicit-def: $vgpr14
                                        ; implicit-def: $vgpr10
	s_branch .LBB29_72
.LBB29_68:
	s_mov_b32 s7, s6
	v_pk_mov_b32 v[10:11], s[6:7], s[6:7] op_sel:[0,1]
                                        ; implicit-def: $vgpr14
	v_mov_b32_e32 v1, v15
	s_and_b32 s7, s28, 3
	s_cmp_eq_u32 s7, 0
	s_cbranch_scc1 .LBB29_66
.LBB29_69:
	s_lshl_b32 s0, s6, 3
	s_add_u32 s0, s0, s4
	s_addc_u32 s1, 0, s5
	s_add_u32 s0, s0, 0xc4
	s_addc_u32 s1, s1, 0
	s_mul_i32 s2, s6, 12
	s_add_u32 s2, s4, s2
	s_addc_u32 s3, 0, s5
.LBB29_70:                              ; =>This Inner Loop Header: Depth=1
	s_load_dwordx2 s[8:9], s[2:3], 0x4
	s_load_dword s6, s[2:3], 0xc
	s_load_dwordx2 s[10:11], s[0:1], 0x0
	s_add_u32 s2, s2, 12
	s_addc_u32 s3, s3, 0
	s_waitcnt lgkmcnt(0)
	v_mul_hi_u32 v3, s9, v1
	v_add_u32_e32 v3, v1, v3
	v_lshrrev_b32_e32 v3, s6, v3
	v_mul_lo_u32 v5, v3, s8
	v_mov_b32_e32 v14, v11
	s_add_u32 s0, s0, 8
	v_sub_u32_e32 v5, v1, v5
	s_addc_u32 s1, s1, 0
	s_add_i32 s7, s7, -1
	v_mad_u64_u32 v[16:17], s[8:9], v5, s11, v[14:15]
	v_mad_u64_u32 v[10:11], s[8:9], v5, s10, v[10:11]
	s_cmp_lg_u32 s7, 0
	v_mov_b32_e32 v1, v3
	v_mov_b32_e32 v11, v16
	s_cbranch_scc1 .LBB29_70
; %bb.71:
	v_mov_b32_e32 v14, v11
	s_cbranch_execnz .LBB29_74
.LBB29_72:
	s_load_dwordx4 s[0:3], s[4:5], 0x4
	s_load_dwordx2 s[6:7], s[4:5], 0xc4
	s_cmp_lt_u32 s33, 2
	s_waitcnt lgkmcnt(0)
	v_mul_hi_u32 v1, s1, v15
	v_add_u32_e32 v1, v15, v1
	v_lshrrev_b32_e32 v1, s2, v1
	v_mul_lo_u32 v3, v1, s0
	v_sub_u32_e32 v3, v15, v3
	v_mul_lo_u32 v14, v3, s7
	v_mul_lo_u32 v10, v3, s6
	s_cbranch_scc1 .LBB29_74
; %bb.73:
	s_load_dwordx4 s[0:3], s[4:5], 0x10
	s_load_dwordx2 s[6:7], s[4:5], 0xcc
	s_waitcnt lgkmcnt(0)
	v_mul_hi_u32 v3, s1, v1
	v_add_u32_e32 v3, v1, v3
	v_lshrrev_b32_e32 v3, s2, v3
	v_mul_lo_u32 v3, v3, s0
	v_sub_u32_e32 v1, v1, v3
	v_mad_u64_u32 v[10:11], s[0:1], v1, s6, v[10:11]
	v_mad_u64_u32 v[14:15], s[0:1], v1, s7, v[14:15]
.LBB29_74:
	s_load_dwordx4 s[0:3], s[4:5], 0x148
	s_load_dword s16, s[4:5], 0x15c
	s_mov_b32 s4, 0x2f800000
	s_mov_b32 s5, 0xcf800000
	s_waitcnt lgkmcnt(0)
	global_load_dword v1, v4, s[2:3]
	s_waitcnt vmcnt(0)
	v_trunc_f32_e32 v1, v1
	v_mul_f32_e64 v3, |v1|, s4
	v_floor_f32_e32 v3, v3
	v_fma_f32 v4, v3, s5, |v1|
	v_cvt_u32_f32_e32 v4, v4
	v_cvt_u32_f32_e32 v3, v3
	v_ashrrev_i32_e32 v1, 31, v1
	v_xor_b32_e32 v4, v4, v1
	v_xor_b32_e32 v3, v3, v1
	v_sub_co_u32_e32 v4, vcc, v4, v1
	v_subb_co_u32_e32 v5, vcc, v3, v1, vcc
	v_cmp_lt_i64_e32 vcc, -1, v[4:5]
	v_mov_b32_e32 v1, 0
	s_and_saveexec_b64 s[4:5], vcc
	s_cbranch_execz .LBB29_86
; %bb.75:
	v_cmp_lt_i64_e32 vcc, 0, v[4:5]
	v_mov_b32_e32 v1, 1.0
	s_and_saveexec_b64 s[6:7], vcc
	s_cbranch_execz .LBB29_85
; %bb.76:
	v_cmp_ne_u64_e32 vcc, 1, v[4:5]
                                        ; implicit-def: $vgpr1
	s_and_saveexec_b64 s[8:9], vcc
	s_xor_b64 s[8:9], exec, s[8:9]
	s_cbranch_execz .LBB29_82
; %bb.77:
	s_mov_b64 s[10:11], 0x81
	v_cmp_gt_u64_e32 vcc, s[10:11], v[4:5]
	v_mov_b32_e32 v1, 0x7fc00000
	s_and_saveexec_b64 s[10:11], vcc
	s_cbranch_execz .LBB29_81
; %bb.78:
	s_mov_b64 s[14:15], 1
	s_mov_b64 s[12:13], 0
	v_mov_b32_e32 v1, s16
	v_mov_b32_e32 v3, 1.0
.LBB29_79:                              ; =>This Inner Loop Header: Depth=1
	s_flbit_i32_b32 s17, s15
	s_min_u32 s17, s17, 32
	s_lshl_b64 s[18:19], s[14:15], s17
	s_min_u32 s18, s18, 1
	s_or_b32 s18, s19, s18
	v_cvt_f32_u32_e32 v7, s18
	s_sub_i32 s17, 32, s17
	s_add_u32 s14, s14, 1
	s_addc_u32 s15, s15, 0
	v_ldexp_f32 v7, v7, s17
	v_cmp_eq_u64_e32 vcc, s[14:15], v[4:5]
	v_mul_f32_e32 v7, v3, v7
	s_or_b64 s[12:13], vcc, s[12:13]
	v_mov_b32_e32 v3, v1
	v_fma_f32 v1, s16, v1, -v7
	s_andn2_b64 exec, exec, s[12:13]
	s_cbranch_execnz .LBB29_79
; %bb.80:
	s_or_b64 exec, exec, s[12:13]
.LBB29_81:
	s_or_b64 exec, exec, s[10:11]
.LBB29_82:
	s_andn2_saveexec_b64 s[8:9], s[8:9]
; %bb.83:
	v_mov_b32_e32 v1, s16
; %bb.84:
	s_or_b64 exec, exec, s[8:9]
.LBB29_85:
	s_or_b64 exec, exec, s[6:7]
.LBB29_86:
	s_or_b64 exec, exec, s[4:5]
	global_load_dword v3, v8, s[2:3]
	s_mov_b32 s4, 0x2f800000
	s_mov_b32 s5, 0xcf800000
	s_waitcnt vmcnt(0)
	v_trunc_f32_e32 v3, v3
	v_mul_f32_e64 v4, |v3|, s4
	v_floor_f32_e32 v4, v4
	v_fma_f32 v5, v4, s5, |v3|
	v_cvt_u32_f32_e32 v4, v4
	v_cvt_u32_f32_e32 v5, v5
	v_ashrrev_i32_e32 v3, 31, v3
	v_xor_b32_e32 v7, v4, v3
	v_xor_b32_e32 v4, v5, v3
	v_sub_co_u32_e32 v4, vcc, v4, v3
	v_subb_co_u32_e32 v5, vcc, v7, v3, vcc
	v_cmp_lt_i64_e32 vcc, -1, v[4:5]
	v_mov_b32_e32 v3, 0
	s_and_saveexec_b64 s[4:5], vcc
	s_cbranch_execz .LBB29_98
; %bb.87:
	v_cmp_lt_i64_e32 vcc, 0, v[4:5]
	v_mov_b32_e32 v3, 1.0
	s_and_saveexec_b64 s[6:7], vcc
	s_cbranch_execz .LBB29_97
; %bb.88:
	v_cmp_ne_u64_e32 vcc, 1, v[4:5]
                                        ; implicit-def: $vgpr3
	s_and_saveexec_b64 s[8:9], vcc
	s_xor_b64 s[8:9], exec, s[8:9]
	s_cbranch_execz .LBB29_94
; %bb.89:
	s_mov_b64 s[10:11], 0x81
	v_cmp_gt_u64_e32 vcc, s[10:11], v[4:5]
	v_mov_b32_e32 v3, 0x7fc00000
	s_and_saveexec_b64 s[10:11], vcc
	s_cbranch_execz .LBB29_93
; %bb.90:
	s_mov_b64 s[14:15], 1
	s_mov_b64 s[12:13], 0
	v_mov_b32_e32 v3, s16
	v_mov_b32_e32 v7, 1.0
.LBB29_91:                              ; =>This Inner Loop Header: Depth=1
	s_flbit_i32_b32 s17, s15
	s_min_u32 s17, s17, 32
	s_lshl_b64 s[18:19], s[14:15], s17
	s_min_u32 s18, s18, 1
	s_or_b32 s18, s19, s18
	v_cvt_f32_u32_e32 v8, s18
	s_sub_i32 s17, 32, s17
	s_add_u32 s14, s14, 1
	s_addc_u32 s15, s15, 0
	v_ldexp_f32 v8, v8, s17
	v_cmp_eq_u64_e32 vcc, s[14:15], v[4:5]
	v_mul_f32_e32 v8, v7, v8
	s_or_b64 s[12:13], vcc, s[12:13]
	v_mov_b32_e32 v7, v3
	v_fma_f32 v3, s16, v3, -v8
	s_andn2_b64 exec, exec, s[12:13]
	s_cbranch_execnz .LBB29_91
; %bb.92:
	s_or_b64 exec, exec, s[12:13]
.LBB29_93:
	s_or_b64 exec, exec, s[10:11]
.LBB29_94:
	s_andn2_saveexec_b64 s[8:9], s[8:9]
; %bb.95:
	v_mov_b32_e32 v3, s16
; %bb.96:
	s_or_b64 exec, exec, s[8:9]
.LBB29_97:
	s_or_b64 exec, exec, s[6:7]
.LBB29_98:
	s_or_b64 exec, exec, s[4:5]
	global_load_dword v4, v12, s[2:3]
	s_mov_b32 s4, 0x2f800000
	s_mov_b32 s5, 0xcf800000
	s_waitcnt vmcnt(0)
	v_trunc_f32_e32 v4, v4
	v_mul_f32_e64 v5, |v4|, s4
	v_floor_f32_e32 v5, v5
	v_fma_f32 v7, v5, s5, |v4|
	v_cvt_u32_f32_e32 v7, v7
	v_cvt_u32_f32_e32 v5, v5
	v_ashrrev_i32_e32 v8, 31, v4
	v_xor_b32_e32 v4, v7, v8
	v_xor_b32_e32 v5, v5, v8
	v_sub_co_u32_e32 v4, vcc, v4, v8
	v_subb_co_u32_e32 v5, vcc, v5, v8, vcc
	v_cmp_lt_i64_e32 vcc, -1, v[4:5]
	v_mov_b32_e32 v7, 0
	s_and_saveexec_b64 s[4:5], vcc
	s_cbranch_execz .LBB29_110
; %bb.99:
	v_cmp_lt_i64_e32 vcc, 0, v[4:5]
	v_mov_b32_e32 v7, 1.0
	s_and_saveexec_b64 s[6:7], vcc
	s_cbranch_execz .LBB29_109
; %bb.100:
	v_cmp_ne_u64_e32 vcc, 1, v[4:5]
                                        ; implicit-def: $vgpr7
	s_and_saveexec_b64 s[8:9], vcc
	s_xor_b64 s[8:9], exec, s[8:9]
	s_cbranch_execz .LBB29_106
; %bb.101:
	s_mov_b64 s[10:11], 0x81
	v_cmp_gt_u64_e32 vcc, s[10:11], v[4:5]
	v_mov_b32_e32 v7, 0x7fc00000
	s_and_saveexec_b64 s[10:11], vcc
	s_cbranch_execz .LBB29_105
; %bb.102:
	s_mov_b64 s[14:15], 1
	s_mov_b64 s[12:13], 0
	v_mov_b32_e32 v7, s16
	v_mov_b32_e32 v8, 1.0
.LBB29_103:                             ; =>This Inner Loop Header: Depth=1
	s_flbit_i32_b32 s17, s15
	s_min_u32 s17, s17, 32
	s_lshl_b64 s[18:19], s[14:15], s17
	s_min_u32 s18, s18, 1
	s_or_b32 s18, s19, s18
	v_cvt_f32_u32_e32 v9, s18
	s_sub_i32 s17, 32, s17
	s_add_u32 s14, s14, 1
	s_addc_u32 s15, s15, 0
	v_ldexp_f32 v9, v9, s17
	v_cmp_eq_u64_e32 vcc, s[14:15], v[4:5]
	v_mul_f32_e32 v9, v8, v9
	s_or_b64 s[12:13], vcc, s[12:13]
	v_mov_b32_e32 v8, v7
	v_fma_f32 v7, s16, v7, -v9
	s_andn2_b64 exec, exec, s[12:13]
	s_cbranch_execnz .LBB29_103
; %bb.104:
	s_or_b64 exec, exec, s[12:13]
.LBB29_105:
	s_or_b64 exec, exec, s[10:11]
.LBB29_106:
	s_andn2_saveexec_b64 s[8:9], s[8:9]
; %bb.107:
	v_mov_b32_e32 v7, s16
; %bb.108:
	s_or_b64 exec, exec, s[8:9]
.LBB29_109:
	s_or_b64 exec, exec, s[6:7]
.LBB29_110:
	s_or_b64 exec, exec, s[4:5]
	global_load_dword v4, v14, s[2:3]
	s_mov_b32 s2, 0x2f800000
	s_mov_b32 s3, 0xcf800000
	s_waitcnt vmcnt(0)
	v_trunc_f32_e32 v4, v4
	v_mul_f32_e64 v5, |v4|, s2
	v_floor_f32_e32 v5, v5
	v_fma_f32 v8, v5, s3, |v4|
	v_cvt_u32_f32_e32 v8, v8
	v_cvt_u32_f32_e32 v5, v5
	v_ashrrev_i32_e32 v9, 31, v4
	v_xor_b32_e32 v4, v8, v9
	v_xor_b32_e32 v5, v5, v9
	v_sub_co_u32_e32 v4, vcc, v4, v9
	v_subb_co_u32_e32 v5, vcc, v5, v9, vcc
	v_cmp_lt_i64_e32 vcc, -1, v[4:5]
	v_mov_b32_e32 v8, 0
	s_and_saveexec_b64 s[2:3], vcc
	s_cbranch_execz .LBB29_122
; %bb.111:
	v_cmp_lt_i64_e32 vcc, 0, v[4:5]
	v_mov_b32_e32 v8, 1.0
	s_and_saveexec_b64 s[4:5], vcc
	s_cbranch_execz .LBB29_121
; %bb.112:
	v_cmp_ne_u64_e32 vcc, 1, v[4:5]
                                        ; implicit-def: $vgpr8
	s_and_saveexec_b64 s[6:7], vcc
	s_xor_b64 s[6:7], exec, s[6:7]
	s_cbranch_execz .LBB29_118
; %bb.113:
	s_mov_b64 s[8:9], 0x81
	v_cmp_gt_u64_e32 vcc, s[8:9], v[4:5]
	v_mov_b32_e32 v8, 0x7fc00000
	s_and_saveexec_b64 s[8:9], vcc
	s_cbranch_execz .LBB29_117
; %bb.114:
	s_mov_b64 s[12:13], 1
	s_mov_b64 s[10:11], 0
	v_mov_b32_e32 v8, s16
	v_mov_b32_e32 v9, 1.0
.LBB29_115:                             ; =>This Inner Loop Header: Depth=1
	s_flbit_i32_b32 s14, s13
	s_min_u32 s17, s14, 32
	s_lshl_b64 s[14:15], s[12:13], s17
	s_min_u32 s14, s14, 1
	s_or_b32 s14, s15, s14
	v_cvt_f32_u32_e32 v11, s14
	s_sub_i32 s17, 32, s17
	s_add_u32 s12, s12, 1
	s_addc_u32 s13, s13, 0
	v_ldexp_f32 v11, v11, s17
	v_cmp_eq_u64_e32 vcc, s[12:13], v[4:5]
	v_mul_f32_e32 v11, v9, v11
	s_or_b64 s[10:11], vcc, s[10:11]
	v_mov_b32_e32 v9, v8
	v_fma_f32 v8, s16, v8, -v11
	s_andn2_b64 exec, exec, s[10:11]
	s_cbranch_execnz .LBB29_115
; %bb.116:
	s_or_b64 exec, exec, s[10:11]
.LBB29_117:
	s_or_b64 exec, exec, s[8:9]
.LBB29_118:
	s_andn2_saveexec_b64 s[6:7], s[6:7]
; %bb.119:
	v_mov_b32_e32 v8, s16
; %bb.120:
	s_or_b64 exec, exec, s[6:7]
.LBB29_121:
	s_or_b64 exec, exec, s[4:5]
.LBB29_122:
	s_or_b64 exec, exec, s[2:3]
	global_store_dword v0, v1, s[0:1]
	global_store_dword v2, v3, s[0:1]
	;; [unrolled: 1-line block ×4, first 2 shown]
	s_endpgm
.LBB29_123:
	s_mov_b32 s51, s50
	v_pk_mov_b32 v[0:1], s[50:51], s[50:51] op_sel:[0,1]
                                        ; implicit-def: $vgpr2
	v_mov_b32_e32 v3, v6
.LBB29_124:
	s_and_b32 s12, s60, 3
	s_cmp_eq_u32 s12, 0
	s_cbranch_scc1 .LBB29_128
; %bb.125:
	s_lshl_b32 s8, s50, 3
	s_add_u32 s8, s8, s4
	s_addc_u32 s9, s5, 0
	s_add_u32 s8, s8, 0xc4
	s_addc_u32 s9, s9, 0
	s_mul_i32 s10, s50, 12
	s_add_u32 s10, s4, s10
	s_addc_u32 s11, s5, 0
.LBB29_126:                             ; =>This Inner Loop Header: Depth=1
	s_load_dwordx2 s[14:15], s[10:11], 0x4
	s_load_dword s13, s[10:11], 0xc
	s_load_dwordx2 s[16:17], s[8:9], 0x0
	v_mov_b32_e32 v2, v1
	s_add_u32 s10, s10, 12
	s_waitcnt lgkmcnt(0)
	v_mul_hi_u32 v1, s15, v3
	v_add_u32_e32 v1, v3, v1
	v_lshrrev_b32_e32 v1, s13, v1
	s_addc_u32 s11, s11, 0
	v_mul_lo_u32 v4, v1, s14
	s_add_u32 s8, s8, 8
	v_sub_u32_e32 v7, v3, v4
	v_mov_b32_e32 v3, v1
	s_addc_u32 s9, s9, 0
	s_add_i32 s12, s12, -1
	v_mad_u64_u32 v[4:5], s[14:15], v7, s17, v[2:3]
	v_mad_u64_u32 v[0:1], s[14:15], v7, s16, v[0:1]
	s_cmp_lg_u32 s12, 0
	v_mov_b32_e32 v1, v4
	s_cbranch_scc1 .LBB29_126
; %bb.127:
	v_mov_b32_e32 v2, v1
.LBB29_128:
	s_cbranch_execnz .LBB29_131
.LBB29_129:
	s_waitcnt lgkmcnt(0)
	v_mul_hi_u32 v0, s29, v6
	v_add_u32_e32 v0, v6, v0
	v_lshrrev_b32_e32 v1, s30, v0
	v_mul_lo_u32 v0, v1, s28
	v_sub_u32_e32 v0, v6, v0
	v_mul_lo_u32 v2, v0, s25
	s_andn2_b64 vcc, exec, s[42:43]
	v_mul_lo_u32 v0, v0, s24
	s_cbranch_vccnz .LBB29_131
; %bb.130:
	v_mul_hi_u32 v3, s40, v1
	v_add_u32_e32 v3, v1, v3
	v_lshrrev_b32_e32 v3, s41, v3
	v_mul_lo_u32 v3, v3, s31
	v_sub_u32_e32 v3, v1, v3
	v_mad_u64_u32 v[0:1], s[8:9], v3, s26, v[0:1]
	v_mad_u64_u32 v[2:3], s[8:9], v3, s27, v[2:3]
.LBB29_131:
	s_waitcnt lgkmcnt(0)
	global_load_dword v1, v2, s[2:3]
	s_mov_b32 s8, 0x2f800000
	s_mov_b32 s9, 0xcf800000
	s_waitcnt vmcnt(0)
	v_trunc_f32_e32 v1, v1
	v_mul_f32_e64 v2, |v1|, s8
	v_floor_f32_e32 v2, v2
	v_fma_f32 v3, v2, s9, |v1|
	v_cvt_u32_f32_e32 v2, v2
	v_cvt_u32_f32_e32 v3, v3
	v_ashrrev_i32_e32 v1, 31, v1
	v_xor_b32_e32 v4, v2, v1
	v_xor_b32_e32 v2, v3, v1
	v_sub_co_u32_e32 v2, vcc, v2, v1
	v_subb_co_u32_e32 v3, vcc, v4, v1, vcc
	v_cmp_lt_i64_e32 vcc, -1, v[2:3]
	v_mov_b32_e32 v1, 0
	s_and_saveexec_b64 s[8:9], vcc
	s_cbranch_execz .LBB29_143
; %bb.132:
	v_cmp_lt_i64_e32 vcc, 0, v[2:3]
	v_mov_b32_e32 v1, 1.0
	s_and_saveexec_b64 s[10:11], vcc
	s_cbranch_execz .LBB29_142
; %bb.133:
	v_cmp_ne_u64_e32 vcc, 1, v[2:3]
                                        ; implicit-def: $vgpr1
	s_and_saveexec_b64 s[12:13], vcc
	s_xor_b64 s[12:13], exec, s[12:13]
	s_cbranch_execz .LBB29_139
; %bb.134:
	s_mov_b64 s[14:15], 0x81
	v_cmp_gt_u64_e32 vcc, s[14:15], v[2:3]
	v_mov_b32_e32 v1, 0x7fc00000
	s_and_saveexec_b64 s[14:15], vcc
	s_cbranch_execz .LBB29_138
; %bb.135:
	s_mov_b64 s[18:19], 1
	s_mov_b64 s[16:17], 0
	v_mov_b32_e32 v1, s57
	v_mov_b32_e32 v4, 1.0
.LBB29_136:                             ; =>This Inner Loop Header: Depth=1
	s_flbit_i32_b32 s20, s19
	s_min_u32 s22, s20, 32
	s_lshl_b64 s[20:21], s[18:19], s22
	s_min_u32 s20, s20, 1
	s_or_b32 s20, s21, s20
	v_cvt_f32_u32_e32 v5, s20
	s_sub_i32 s22, 32, s22
	s_add_u32 s18, s18, 1
	s_addc_u32 s19, s19, 0
	v_ldexp_f32 v5, v5, s22
	v_cmp_eq_u64_e32 vcc, s[18:19], v[2:3]
	v_mul_f32_e32 v5, v4, v5
	s_or_b64 s[16:17], vcc, s[16:17]
	v_mov_b32_e32 v4, v1
	v_fma_f32 v1, s57, v1, -v5
	s_andn2_b64 exec, exec, s[16:17]
	s_cbranch_execnz .LBB29_136
; %bb.137:
	s_or_b64 exec, exec, s[16:17]
.LBB29_138:
	s_or_b64 exec, exec, s[14:15]
.LBB29_139:
	s_andn2_saveexec_b64 s[12:13], s[12:13]
; %bb.140:
	v_mov_b32_e32 v1, s57
; %bb.141:
	s_or_b64 exec, exec, s[12:13]
.LBB29_142:
	s_or_b64 exec, exec, s[10:11]
.LBB29_143:
	s_or_b64 exec, exec, s[8:9]
	v_add_u32_e32 v6, 0x80, v6
	global_store_dword v0, v1, s[0:1]
	s_or_b64 exec, exec, s[48:49]
	v_cmp_gt_i32_e32 vcc, s58, v6
	s_and_saveexec_b64 s[48:49], vcc
	s_cbranch_execnz .LBB29_17
.LBB29_144:
	s_or_b64 exec, exec, s[48:49]
	v_cmp_gt_i32_e32 vcc, s58, v6
	s_and_saveexec_b64 s[48:49], vcc
	s_cbranch_execz .LBB29_173
.LBB29_145:
	s_andn2_b64 vcc, exec, s[6:7]
	s_cbranch_vccnz .LBB29_151
; %bb.146:
	s_mov_b32 s50, 0
	s_andn2_b64 vcc, exec, s[46:47]
	v_mov_b32_e32 v2, 0
	v_mov_b32_e32 v0, 0
	s_cbranch_vccnz .LBB29_181
; %bb.147:
	s_add_i32 s60, s59, 1
	s_cmp_eq_u32 s56, 2
	s_cbranch_scc1 .LBB29_176
; %bb.148:
	s_and_b32 s50, s60, 28
	s_mov_b32 s51, 0
	v_mov_b32_e32 v0, 0
	s_mov_b64 s[52:53], s[4:5]
	s_mov_b64 s[54:55], s[44:45]
	v_mov_b32_e32 v3, v6
	v_mov_b32_e32 v2, 0
.LBB29_149:                             ; =>This Inner Loop Header: Depth=1
	s_load_dwordx8 s[16:23], s[52:53], 0x4
	s_load_dwordx4 s[36:39], s[52:53], 0x24
	s_load_dwordx8 s[8:15], s[54:55], 0x0
	s_add_u32 s52, s52, 48
	s_addc_u32 s53, s53, 0
	s_waitcnt lgkmcnt(0)
	v_mul_hi_u32 v1, s17, v3
	v_add_u32_e32 v1, v3, v1
	v_lshrrev_b32_e32 v1, s18, v1
	v_mul_lo_u32 v4, v1, s16
	v_mul_hi_u32 v5, s20, v1
	v_sub_u32_e32 v3, v3, v4
	v_add_u32_e32 v4, v1, v5
	v_lshrrev_b32_e32 v4, s21, v4
	v_mul_lo_u32 v7, v4, s19
	v_mul_hi_u32 v8, s23, v4
	v_sub_u32_e32 v1, v1, v7
	v_add_u32_e32 v7, v4, v8
	v_mul_lo_u32 v5, v3, s9
	v_mul_lo_u32 v3, v3, s8
	;; [unrolled: 1-line block ×4, first 2 shown]
	v_lshrrev_b32_e32 v7, s36, v7
	v_add3_u32 v0, v3, v0, v1
	v_mul_hi_u32 v3, s38, v7
	v_add_u32_e32 v3, v7, v3
	v_lshrrev_b32_e32 v3, s39, v3
	s_add_i32 s51, s51, 4
	v_add3_u32 v1, v5, v2, v8
	v_mul_lo_u32 v2, v7, s22
	v_mul_lo_u32 v5, v3, s37
	s_add_u32 s54, s54, 32
	v_sub_u32_e32 v2, v4, v2
	v_sub_u32_e32 v5, v7, v5
	s_addc_u32 s55, s55, 0
	v_mul_lo_u32 v4, v2, s12
	v_mul_lo_u32 v2, v2, s13
	;; [unrolled: 1-line block ×4, first 2 shown]
	s_cmp_eq_u32 s50, s51
	v_add3_u32 v2, v2, v1, v5
	v_add3_u32 v0, v4, v0, v7
	s_cbranch_scc0 .LBB29_149
; %bb.150:
	v_mov_b32_e32 v1, v2
	s_branch .LBB29_177
.LBB29_151:
                                        ; implicit-def: $vgpr2
                                        ; implicit-def: $vgpr0
	s_branch .LBB29_182
.LBB29_152:
	s_mov_b32 s51, s50
	v_pk_mov_b32 v[0:1], s[50:51], s[50:51] op_sel:[0,1]
                                        ; implicit-def: $vgpr2
	v_mov_b32_e32 v3, v6
.LBB29_153:
	s_and_b32 s12, s60, 3
	s_cmp_eq_u32 s12, 0
	s_cbranch_scc1 .LBB29_157
; %bb.154:
	s_lshl_b32 s8, s50, 3
	s_add_u32 s8, s8, s4
	s_addc_u32 s9, s5, 0
	s_add_u32 s8, s8, 0xc4
	s_addc_u32 s9, s9, 0
	s_mul_i32 s10, s50, 12
	s_add_u32 s10, s4, s10
	s_addc_u32 s11, s5, 0
.LBB29_155:                             ; =>This Inner Loop Header: Depth=1
	s_load_dwordx2 s[14:15], s[10:11], 0x4
	s_load_dword s13, s[10:11], 0xc
	s_load_dwordx2 s[16:17], s[8:9], 0x0
	v_mov_b32_e32 v2, v1
	s_add_u32 s10, s10, 12
	s_waitcnt lgkmcnt(0)
	v_mul_hi_u32 v1, s15, v3
	v_add_u32_e32 v1, v3, v1
	v_lshrrev_b32_e32 v1, s13, v1
	s_addc_u32 s11, s11, 0
	v_mul_lo_u32 v4, v1, s14
	s_add_u32 s8, s8, 8
	v_sub_u32_e32 v7, v3, v4
	v_mov_b32_e32 v3, v1
	s_addc_u32 s9, s9, 0
	s_add_i32 s12, s12, -1
	v_mad_u64_u32 v[4:5], s[14:15], v7, s17, v[2:3]
	v_mad_u64_u32 v[0:1], s[14:15], v7, s16, v[0:1]
	s_cmp_lg_u32 s12, 0
	v_mov_b32_e32 v1, v4
	s_cbranch_scc1 .LBB29_155
; %bb.156:
	v_mov_b32_e32 v2, v1
.LBB29_157:
	s_cbranch_execnz .LBB29_160
.LBB29_158:
	s_waitcnt lgkmcnt(0)
	v_mul_hi_u32 v0, s29, v6
	v_add_u32_e32 v0, v6, v0
	v_lshrrev_b32_e32 v1, s30, v0
	v_mul_lo_u32 v0, v1, s28
	v_sub_u32_e32 v0, v6, v0
	v_mul_lo_u32 v2, v0, s25
	s_andn2_b64 vcc, exec, s[42:43]
	v_mul_lo_u32 v0, v0, s24
	s_cbranch_vccnz .LBB29_160
; %bb.159:
	v_mul_hi_u32 v3, s40, v1
	v_add_u32_e32 v3, v1, v3
	v_lshrrev_b32_e32 v3, s41, v3
	v_mul_lo_u32 v3, v3, s31
	v_sub_u32_e32 v3, v1, v3
	v_mad_u64_u32 v[0:1], s[8:9], v3, s26, v[0:1]
	v_mad_u64_u32 v[2:3], s[8:9], v3, s27, v[2:3]
.LBB29_160:
	s_waitcnt lgkmcnt(0)
	global_load_dword v1, v2, s[2:3]
	s_mov_b32 s8, 0x2f800000
	s_mov_b32 s9, 0xcf800000
	s_waitcnt vmcnt(0)
	v_trunc_f32_e32 v1, v1
	v_mul_f32_e64 v2, |v1|, s8
	v_floor_f32_e32 v2, v2
	v_fma_f32 v3, v2, s9, |v1|
	v_cvt_u32_f32_e32 v2, v2
	v_cvt_u32_f32_e32 v3, v3
	v_ashrrev_i32_e32 v1, 31, v1
	v_xor_b32_e32 v4, v2, v1
	v_xor_b32_e32 v2, v3, v1
	v_sub_co_u32_e32 v2, vcc, v2, v1
	v_subb_co_u32_e32 v3, vcc, v4, v1, vcc
	v_cmp_lt_i64_e32 vcc, -1, v[2:3]
	v_mov_b32_e32 v1, 0
	s_and_saveexec_b64 s[8:9], vcc
	s_cbranch_execz .LBB29_172
; %bb.161:
	v_cmp_lt_i64_e32 vcc, 0, v[2:3]
	v_mov_b32_e32 v1, 1.0
	s_and_saveexec_b64 s[10:11], vcc
	s_cbranch_execz .LBB29_171
; %bb.162:
	v_cmp_ne_u64_e32 vcc, 1, v[2:3]
                                        ; implicit-def: $vgpr1
	s_and_saveexec_b64 s[12:13], vcc
	s_xor_b64 s[12:13], exec, s[12:13]
	s_cbranch_execz .LBB29_168
; %bb.163:
	s_mov_b64 s[14:15], 0x81
	v_cmp_gt_u64_e32 vcc, s[14:15], v[2:3]
	v_mov_b32_e32 v1, 0x7fc00000
	s_and_saveexec_b64 s[14:15], vcc
	s_cbranch_execz .LBB29_167
; %bb.164:
	s_mov_b64 s[18:19], 1
	s_mov_b64 s[16:17], 0
	v_mov_b32_e32 v1, s57
	v_mov_b32_e32 v4, 1.0
.LBB29_165:                             ; =>This Inner Loop Header: Depth=1
	s_flbit_i32_b32 s20, s19
	s_min_u32 s22, s20, 32
	s_lshl_b64 s[20:21], s[18:19], s22
	s_min_u32 s20, s20, 1
	s_or_b32 s20, s21, s20
	v_cvt_f32_u32_e32 v5, s20
	s_sub_i32 s22, 32, s22
	s_add_u32 s18, s18, 1
	s_addc_u32 s19, s19, 0
	v_ldexp_f32 v5, v5, s22
	v_cmp_eq_u64_e32 vcc, s[18:19], v[2:3]
	v_mul_f32_e32 v5, v4, v5
	s_or_b64 s[16:17], vcc, s[16:17]
	v_mov_b32_e32 v4, v1
	v_fma_f32 v1, s57, v1, -v5
	s_andn2_b64 exec, exec, s[16:17]
	s_cbranch_execnz .LBB29_165
; %bb.166:
	s_or_b64 exec, exec, s[16:17]
.LBB29_167:
	s_or_b64 exec, exec, s[14:15]
.LBB29_168:
	s_andn2_saveexec_b64 s[12:13], s[12:13]
; %bb.169:
	v_mov_b32_e32 v1, s57
; %bb.170:
	s_or_b64 exec, exec, s[12:13]
.LBB29_171:
	s_or_b64 exec, exec, s[10:11]
.LBB29_172:
	s_or_b64 exec, exec, s[8:9]
	v_add_u32_e32 v6, 0x80, v6
	global_store_dword v0, v1, s[0:1]
	s_or_b64 exec, exec, s[48:49]
	v_cmp_gt_i32_e32 vcc, s58, v6
	s_and_saveexec_b64 s[48:49], vcc
	s_cbranch_execnz .LBB29_145
.LBB29_173:
	s_or_b64 exec, exec, s[48:49]
	v_cmp_gt_i32_e32 vcc, s58, v6
	s_and_saveexec_b64 s[48:49], vcc
	s_cbranch_execnz .LBB29_197
.LBB29_174:
	s_or_b64 exec, exec, s[48:49]
                                        ; implicit-def: $vgpr15
                                        ; implicit-def: $vgpr6
	s_waitcnt lgkmcnt(0)
	s_andn2_saveexec_b64 s[0:1], s[34:35]
	s_cbranch_execnz .LBB29_9
.LBB29_175:
	s_endpgm
.LBB29_176:
	s_mov_b32 s51, s50
	v_pk_mov_b32 v[0:1], s[50:51], s[50:51] op_sel:[0,1]
                                        ; implicit-def: $vgpr2
	v_mov_b32_e32 v3, v6
.LBB29_177:
	s_and_b32 s12, s60, 3
	s_cmp_eq_u32 s12, 0
	s_cbranch_scc1 .LBB29_181
; %bb.178:
	s_lshl_b32 s8, s50, 3
	s_add_u32 s8, s8, s4
	s_addc_u32 s9, s5, 0
	s_add_u32 s8, s8, 0xc4
	s_addc_u32 s9, s9, 0
	s_mul_i32 s10, s50, 12
	s_add_u32 s10, s4, s10
	s_addc_u32 s11, s5, 0
.LBB29_179:                             ; =>This Inner Loop Header: Depth=1
	s_load_dwordx2 s[14:15], s[10:11], 0x4
	s_load_dword s13, s[10:11], 0xc
	s_load_dwordx2 s[16:17], s[8:9], 0x0
	v_mov_b32_e32 v2, v1
	s_add_u32 s10, s10, 12
	s_waitcnt lgkmcnt(0)
	v_mul_hi_u32 v1, s15, v3
	v_add_u32_e32 v1, v3, v1
	v_lshrrev_b32_e32 v1, s13, v1
	s_addc_u32 s11, s11, 0
	v_mul_lo_u32 v4, v1, s14
	s_add_u32 s8, s8, 8
	v_sub_u32_e32 v7, v3, v4
	v_mov_b32_e32 v3, v1
	s_addc_u32 s9, s9, 0
	s_add_i32 s12, s12, -1
	v_mad_u64_u32 v[4:5], s[14:15], v7, s17, v[2:3]
	v_mad_u64_u32 v[0:1], s[14:15], v7, s16, v[0:1]
	s_cmp_lg_u32 s12, 0
	v_mov_b32_e32 v1, v4
	s_cbranch_scc1 .LBB29_179
; %bb.180:
	v_mov_b32_e32 v2, v1
.LBB29_181:
	s_cbranch_execnz .LBB29_184
.LBB29_182:
	s_waitcnt lgkmcnt(0)
	v_mul_hi_u32 v0, s29, v6
	v_add_u32_e32 v0, v6, v0
	v_lshrrev_b32_e32 v1, s30, v0
	v_mul_lo_u32 v0, v1, s28
	v_sub_u32_e32 v0, v6, v0
	v_mul_lo_u32 v2, v0, s25
	s_andn2_b64 vcc, exec, s[42:43]
	v_mul_lo_u32 v0, v0, s24
	s_cbranch_vccnz .LBB29_184
; %bb.183:
	v_mul_hi_u32 v3, s40, v1
	v_add_u32_e32 v3, v1, v3
	v_lshrrev_b32_e32 v3, s41, v3
	v_mul_lo_u32 v3, v3, s31
	v_sub_u32_e32 v3, v1, v3
	v_mad_u64_u32 v[0:1], s[8:9], v3, s26, v[0:1]
	v_mad_u64_u32 v[2:3], s[8:9], v3, s27, v[2:3]
.LBB29_184:
	s_waitcnt lgkmcnt(0)
	global_load_dword v1, v2, s[2:3]
	s_mov_b32 s8, 0x2f800000
	s_mov_b32 s9, 0xcf800000
	s_waitcnt vmcnt(0)
	v_trunc_f32_e32 v1, v1
	v_mul_f32_e64 v2, |v1|, s8
	v_floor_f32_e32 v2, v2
	v_fma_f32 v3, v2, s9, |v1|
	v_cvt_u32_f32_e32 v2, v2
	v_cvt_u32_f32_e32 v3, v3
	v_ashrrev_i32_e32 v1, 31, v1
	v_xor_b32_e32 v4, v2, v1
	v_xor_b32_e32 v2, v3, v1
	v_sub_co_u32_e32 v2, vcc, v2, v1
	v_subb_co_u32_e32 v3, vcc, v4, v1, vcc
	v_cmp_lt_i64_e32 vcc, -1, v[2:3]
	v_mov_b32_e32 v1, 0
	s_and_saveexec_b64 s[8:9], vcc
	s_cbranch_execz .LBB29_196
; %bb.185:
	v_cmp_lt_i64_e32 vcc, 0, v[2:3]
	v_mov_b32_e32 v1, 1.0
	s_and_saveexec_b64 s[10:11], vcc
	s_cbranch_execz .LBB29_195
; %bb.186:
	v_cmp_ne_u64_e32 vcc, 1, v[2:3]
                                        ; implicit-def: $vgpr1
	s_and_saveexec_b64 s[12:13], vcc
	s_xor_b64 s[12:13], exec, s[12:13]
	s_cbranch_execz .LBB29_192
; %bb.187:
	s_mov_b64 s[14:15], 0x81
	v_cmp_gt_u64_e32 vcc, s[14:15], v[2:3]
	v_mov_b32_e32 v1, 0x7fc00000
	s_and_saveexec_b64 s[14:15], vcc
	s_cbranch_execz .LBB29_191
; %bb.188:
	s_mov_b64 s[18:19], 1
	s_mov_b64 s[16:17], 0
	v_mov_b32_e32 v1, s57
	v_mov_b32_e32 v4, 1.0
.LBB29_189:                             ; =>This Inner Loop Header: Depth=1
	s_flbit_i32_b32 s20, s19
	s_min_u32 s22, s20, 32
	s_lshl_b64 s[20:21], s[18:19], s22
	s_min_u32 s20, s20, 1
	s_or_b32 s20, s21, s20
	v_cvt_f32_u32_e32 v5, s20
	s_sub_i32 s22, 32, s22
	s_add_u32 s18, s18, 1
	s_addc_u32 s19, s19, 0
	v_ldexp_f32 v5, v5, s22
	v_cmp_eq_u64_e32 vcc, s[18:19], v[2:3]
	v_mul_f32_e32 v5, v4, v5
	s_or_b64 s[16:17], vcc, s[16:17]
	v_mov_b32_e32 v4, v1
	v_fma_f32 v1, s57, v1, -v5
	s_andn2_b64 exec, exec, s[16:17]
	s_cbranch_execnz .LBB29_189
; %bb.190:
	s_or_b64 exec, exec, s[16:17]
.LBB29_191:
	s_or_b64 exec, exec, s[14:15]
.LBB29_192:
	s_andn2_saveexec_b64 s[12:13], s[12:13]
; %bb.193:
	v_mov_b32_e32 v1, s57
; %bb.194:
	s_or_b64 exec, exec, s[12:13]
.LBB29_195:
	s_or_b64 exec, exec, s[10:11]
.LBB29_196:
	s_or_b64 exec, exec, s[8:9]
	v_add_u32_e32 v6, 0x80, v6
	global_store_dword v0, v1, s[0:1]
	s_or_b64 exec, exec, s[48:49]
	v_cmp_gt_i32_e32 vcc, s58, v6
	s_and_saveexec_b64 s[48:49], vcc
	s_cbranch_execz .LBB29_174
.LBB29_197:
	s_andn2_b64 vcc, exec, s[6:7]
	s_cbranch_vccnz .LBB29_203
; %bb.198:
	s_mov_b32 s50, 0
	s_andn2_b64 vcc, exec, s[46:47]
	v_mov_b32_e32 v2, 0
	v_mov_b32_e32 v0, 0
	s_cbranch_vccnz .LBB29_209
; %bb.199:
	s_add_i32 s59, s59, 1
	s_cmp_eq_u32 s56, 2
	s_cbranch_scc1 .LBB29_204
; %bb.200:
	s_and_b32 s50, s59, 28
	s_mov_b32 s51, 0
	v_mov_b32_e32 v0, 0
	s_mov_b64 s[46:47], s[4:5]
	v_mov_b32_e32 v3, v6
	v_mov_b32_e32 v2, 0
.LBB29_201:                             ; =>This Inner Loop Header: Depth=1
	s_load_dwordx8 s[16:23], s[46:47], 0x4
	s_load_dwordx4 s[36:39], s[46:47], 0x24
	s_load_dwordx8 s[8:15], s[44:45], 0x0
	s_add_u32 s46, s46, 48
	s_addc_u32 s47, s47, 0
	s_waitcnt lgkmcnt(0)
	v_mul_hi_u32 v1, s17, v3
	v_add_u32_e32 v1, v3, v1
	v_lshrrev_b32_e32 v1, s18, v1
	v_mul_lo_u32 v4, v1, s16
	v_mul_hi_u32 v5, s20, v1
	v_sub_u32_e32 v3, v3, v4
	v_add_u32_e32 v4, v1, v5
	v_lshrrev_b32_e32 v4, s21, v4
	v_mul_lo_u32 v7, v4, s19
	v_mul_hi_u32 v8, s23, v4
	v_sub_u32_e32 v1, v1, v7
	v_add_u32_e32 v7, v4, v8
	v_mul_lo_u32 v5, v3, s9
	v_mul_lo_u32 v3, v3, s8
	;; [unrolled: 1-line block ×4, first 2 shown]
	v_lshrrev_b32_e32 v7, s36, v7
	v_add3_u32 v0, v3, v0, v1
	v_mul_hi_u32 v3, s38, v7
	v_add_u32_e32 v3, v7, v3
	v_lshrrev_b32_e32 v3, s39, v3
	s_add_i32 s51, s51, 4
	v_add3_u32 v1, v5, v2, v8
	v_mul_lo_u32 v2, v7, s22
	v_mul_lo_u32 v5, v3, s37
	s_add_u32 s44, s44, 32
	v_sub_u32_e32 v2, v4, v2
	v_sub_u32_e32 v5, v7, v5
	s_addc_u32 s45, s45, 0
	v_mul_lo_u32 v4, v2, s12
	v_mul_lo_u32 v2, v2, s13
	;; [unrolled: 1-line block ×4, first 2 shown]
	s_cmp_eq_u32 s50, s51
	v_add3_u32 v2, v2, v1, v5
	v_add3_u32 v0, v4, v0, v7
	s_cbranch_scc0 .LBB29_201
; %bb.202:
	v_mov_b32_e32 v1, v2
	s_branch .LBB29_205
.LBB29_203:
                                        ; implicit-def: $vgpr2
                                        ; implicit-def: $vgpr0
	s_branch .LBB29_210
.LBB29_204:
	s_mov_b32 s51, s50
	v_pk_mov_b32 v[0:1], s[50:51], s[50:51] op_sel:[0,1]
                                        ; implicit-def: $vgpr2
	v_mov_b32_e32 v3, v6
.LBB29_205:
	s_and_b32 s12, s59, 3
	s_cmp_eq_u32 s12, 0
	s_cbranch_scc1 .LBB29_209
; %bb.206:
	s_lshl_b32 s8, s50, 3
	s_add_u32 s8, s8, s4
	s_addc_u32 s9, s5, 0
	s_add_u32 s8, s8, 0xc4
	s_addc_u32 s9, s9, 0
	s_mul_i32 s10, s50, 12
	s_add_u32 s10, s4, s10
	s_addc_u32 s11, s5, 0
.LBB29_207:                             ; =>This Inner Loop Header: Depth=1
	s_load_dwordx2 s[14:15], s[10:11], 0x4
	s_load_dword s13, s[10:11], 0xc
	s_load_dwordx2 s[16:17], s[8:9], 0x0
	v_mov_b32_e32 v2, v1
	s_add_u32 s10, s10, 12
	s_waitcnt lgkmcnt(0)
	v_mul_hi_u32 v1, s15, v3
	v_add_u32_e32 v1, v3, v1
	v_lshrrev_b32_e32 v1, s13, v1
	s_addc_u32 s11, s11, 0
	v_mul_lo_u32 v4, v1, s14
	s_add_u32 s8, s8, 8
	v_sub_u32_e32 v7, v3, v4
	v_mov_b32_e32 v3, v1
	s_addc_u32 s9, s9, 0
	s_add_i32 s12, s12, -1
	v_mad_u64_u32 v[4:5], s[14:15], v7, s17, v[2:3]
	v_mad_u64_u32 v[0:1], s[14:15], v7, s16, v[0:1]
	s_cmp_lg_u32 s12, 0
	v_mov_b32_e32 v1, v4
	s_cbranch_scc1 .LBB29_207
; %bb.208:
	v_mov_b32_e32 v2, v1
.LBB29_209:
	s_cbranch_execnz .LBB29_212
.LBB29_210:
	s_waitcnt lgkmcnt(0)
	v_mul_hi_u32 v0, s29, v6
	v_add_u32_e32 v0, v6, v0
	v_lshrrev_b32_e32 v1, s30, v0
	v_mul_lo_u32 v0, v1, s28
	v_sub_u32_e32 v0, v6, v0
	v_mul_lo_u32 v2, v0, s25
	s_andn2_b64 vcc, exec, s[42:43]
	v_mul_lo_u32 v0, v0, s24
	s_cbranch_vccnz .LBB29_212
; %bb.211:
	v_mul_hi_u32 v3, s40, v1
	v_add_u32_e32 v3, v1, v3
	v_lshrrev_b32_e32 v3, s41, v3
	v_mul_lo_u32 v3, v3, s31
	v_sub_u32_e32 v3, v1, v3
	v_mad_u64_u32 v[0:1], s[8:9], v3, s26, v[0:1]
	v_mad_u64_u32 v[2:3], s[8:9], v3, s27, v[2:3]
.LBB29_212:
	s_waitcnt lgkmcnt(0)
	global_load_dword v1, v2, s[2:3]
	s_mov_b32 s2, 0x2f800000
	s_mov_b32 s3, 0xcf800000
	s_waitcnt vmcnt(0)
	v_trunc_f32_e32 v1, v1
	v_mul_f32_e64 v2, |v1|, s2
	v_floor_f32_e32 v2, v2
	v_fma_f32 v3, v2, s3, |v1|
	v_cvt_u32_f32_e32 v2, v2
	v_cvt_u32_f32_e32 v3, v3
	v_ashrrev_i32_e32 v1, 31, v1
	v_xor_b32_e32 v4, v2, v1
	v_xor_b32_e32 v2, v3, v1
	v_sub_co_u32_e32 v2, vcc, v2, v1
	v_subb_co_u32_e32 v3, vcc, v4, v1, vcc
	v_cmp_lt_i64_e32 vcc, -1, v[2:3]
	v_mov_b32_e32 v1, 0
	s_and_saveexec_b64 s[2:3], vcc
	s_cbranch_execz .LBB29_224
; %bb.213:
	v_cmp_lt_i64_e32 vcc, 0, v[2:3]
	v_mov_b32_e32 v1, 1.0
	s_and_saveexec_b64 s[8:9], vcc
	s_cbranch_execz .LBB29_223
; %bb.214:
	v_cmp_ne_u64_e32 vcc, 1, v[2:3]
                                        ; implicit-def: $vgpr1
	s_and_saveexec_b64 s[10:11], vcc
	s_xor_b64 s[10:11], exec, s[10:11]
	s_cbranch_execz .LBB29_220
; %bb.215:
	s_mov_b64 s[12:13], 0x81
	v_cmp_gt_u64_e32 vcc, s[12:13], v[2:3]
	v_mov_b32_e32 v1, 0x7fc00000
	s_and_saveexec_b64 s[12:13], vcc
	s_cbranch_execz .LBB29_219
; %bb.216:
	s_mov_b64 s[16:17], 1
	s_mov_b64 s[14:15], 0
	v_mov_b32_e32 v1, s57
	v_mov_b32_e32 v4, 1.0
.LBB29_217:                             ; =>This Inner Loop Header: Depth=1
	s_flbit_i32_b32 s18, s17
	s_min_u32 s20, s18, 32
	s_lshl_b64 s[18:19], s[16:17], s20
	s_min_u32 s18, s18, 1
	s_or_b32 s18, s19, s18
	v_cvt_f32_u32_e32 v5, s18
	s_sub_i32 s20, 32, s20
	s_add_u32 s16, s16, 1
	s_addc_u32 s17, s17, 0
	v_ldexp_f32 v5, v5, s20
	v_cmp_eq_u64_e32 vcc, s[16:17], v[2:3]
	v_mul_f32_e32 v5, v4, v5
	s_or_b64 s[14:15], vcc, s[14:15]
	v_mov_b32_e32 v4, v1
	v_fma_f32 v1, s57, v1, -v5
	s_andn2_b64 exec, exec, s[14:15]
	s_cbranch_execnz .LBB29_217
; %bb.218:
	s_or_b64 exec, exec, s[14:15]
.LBB29_219:
	s_or_b64 exec, exec, s[12:13]
.LBB29_220:
	s_andn2_saveexec_b64 s[10:11], s[10:11]
; %bb.221:
	v_mov_b32_e32 v1, s57
; %bb.222:
	s_or_b64 exec, exec, s[10:11]
.LBB29_223:
	s_or_b64 exec, exec, s[8:9]
.LBB29_224:
	s_or_b64 exec, exec, s[2:3]
	global_store_dword v0, v1, s[0:1]
	s_or_b64 exec, exec, s[48:49]
                                        ; implicit-def: $vgpr15
                                        ; implicit-def: $vgpr6
	s_andn2_saveexec_b64 s[0:1], s[34:35]
	s_cbranch_execz .LBB29_175
	s_branch .LBB29_9
	.section	.rodata,"a",@progbits
	.p2align	6, 0x0
	.amdhsa_kernel _ZN2at6native32elementwise_kernel_manual_unrollILi128ELi4EZNS0_22gpu_kernel_impl_nocastINS0_13AUnaryFunctorIfffZZZNS0_12_GLOBAL__N_133hermite_polynomial_he_kernel_cudaERNS_18TensorIteratorBaseEENKUlvE_clEvENKUlvE0_clEvEUlffE_EEEEvS6_RKT_EUlibE_EEviT1_
		.amdhsa_group_segment_fixed_size 0
		.amdhsa_private_segment_fixed_size 0
		.amdhsa_kernarg_size 360
		.amdhsa_user_sgpr_count 6
		.amdhsa_user_sgpr_private_segment_buffer 1
		.amdhsa_user_sgpr_dispatch_ptr 0
		.amdhsa_user_sgpr_queue_ptr 0
		.amdhsa_user_sgpr_kernarg_segment_ptr 1
		.amdhsa_user_sgpr_dispatch_id 0
		.amdhsa_user_sgpr_flat_scratch_init 0
		.amdhsa_user_sgpr_kernarg_preload_length 0
		.amdhsa_user_sgpr_kernarg_preload_offset 0
		.amdhsa_user_sgpr_private_segment_size 0
		.amdhsa_uses_dynamic_stack 0
		.amdhsa_system_sgpr_private_segment_wavefront_offset 0
		.amdhsa_system_sgpr_workgroup_id_x 1
		.amdhsa_system_sgpr_workgroup_id_y 0
		.amdhsa_system_sgpr_workgroup_id_z 0
		.amdhsa_system_sgpr_workgroup_info 0
		.amdhsa_system_vgpr_workitem_id 0
		.amdhsa_next_free_vgpr 18
		.amdhsa_next_free_sgpr 61
		.amdhsa_accum_offset 20
		.amdhsa_reserve_vcc 1
		.amdhsa_reserve_flat_scratch 0
		.amdhsa_float_round_mode_32 0
		.amdhsa_float_round_mode_16_64 0
		.amdhsa_float_denorm_mode_32 3
		.amdhsa_float_denorm_mode_16_64 3
		.amdhsa_dx10_clamp 1
		.amdhsa_ieee_mode 1
		.amdhsa_fp16_overflow 0
		.amdhsa_tg_split 0
		.amdhsa_exception_fp_ieee_invalid_op 0
		.amdhsa_exception_fp_denorm_src 0
		.amdhsa_exception_fp_ieee_div_zero 0
		.amdhsa_exception_fp_ieee_overflow 0
		.amdhsa_exception_fp_ieee_underflow 0
		.amdhsa_exception_fp_ieee_inexact 0
		.amdhsa_exception_int_div_zero 0
	.end_amdhsa_kernel
	.section	.text._ZN2at6native32elementwise_kernel_manual_unrollILi128ELi4EZNS0_22gpu_kernel_impl_nocastINS0_13AUnaryFunctorIfffZZZNS0_12_GLOBAL__N_133hermite_polynomial_he_kernel_cudaERNS_18TensorIteratorBaseEENKUlvE_clEvENKUlvE0_clEvEUlffE_EEEEvS6_RKT_EUlibE_EEviT1_,"axG",@progbits,_ZN2at6native32elementwise_kernel_manual_unrollILi128ELi4EZNS0_22gpu_kernel_impl_nocastINS0_13AUnaryFunctorIfffZZZNS0_12_GLOBAL__N_133hermite_polynomial_he_kernel_cudaERNS_18TensorIteratorBaseEENKUlvE_clEvENKUlvE0_clEvEUlffE_EEEEvS6_RKT_EUlibE_EEviT1_,comdat
.Lfunc_end29:
	.size	_ZN2at6native32elementwise_kernel_manual_unrollILi128ELi4EZNS0_22gpu_kernel_impl_nocastINS0_13AUnaryFunctorIfffZZZNS0_12_GLOBAL__N_133hermite_polynomial_he_kernel_cudaERNS_18TensorIteratorBaseEENKUlvE_clEvENKUlvE0_clEvEUlffE_EEEEvS6_RKT_EUlibE_EEviT1_, .Lfunc_end29-_ZN2at6native32elementwise_kernel_manual_unrollILi128ELi4EZNS0_22gpu_kernel_impl_nocastINS0_13AUnaryFunctorIfffZZZNS0_12_GLOBAL__N_133hermite_polynomial_he_kernel_cudaERNS_18TensorIteratorBaseEENKUlvE_clEvENKUlvE0_clEvEUlffE_EEEEvS6_RKT_EUlibE_EEviT1_
                                        ; -- End function
	.section	.AMDGPU.csdata,"",@progbits
; Kernel info:
; codeLenInByte = 7936
; NumSgprs: 65
; NumVgprs: 18
; NumAgprs: 0
; TotalNumVgprs: 18
; ScratchSize: 0
; MemoryBound: 0
; FloatMode: 240
; IeeeMode: 1
; LDSByteSize: 0 bytes/workgroup (compile time only)
; SGPRBlocks: 8
; VGPRBlocks: 2
; NumSGPRsForWavesPerEU: 65
; NumVGPRsForWavesPerEU: 18
; AccumOffset: 20
; Occupancy: 8
; WaveLimiterHint : 1
; COMPUTE_PGM_RSRC2:SCRATCH_EN: 0
; COMPUTE_PGM_RSRC2:USER_SGPR: 6
; COMPUTE_PGM_RSRC2:TRAP_HANDLER: 0
; COMPUTE_PGM_RSRC2:TGID_X_EN: 1
; COMPUTE_PGM_RSRC2:TGID_Y_EN: 0
; COMPUTE_PGM_RSRC2:TGID_Z_EN: 0
; COMPUTE_PGM_RSRC2:TIDIG_COMP_CNT: 0
; COMPUTE_PGM_RSRC3_GFX90A:ACCUM_OFFSET: 4
; COMPUTE_PGM_RSRC3_GFX90A:TG_SPLIT: 0
	.section	.text._ZN2at6native32elementwise_kernel_manual_unrollILi128ELi4EZNS0_15gpu_kernel_implINS0_13AUnaryFunctorIfffZZZNS0_12_GLOBAL__N_133hermite_polynomial_he_kernel_cudaERNS_18TensorIteratorBaseEENKUlvE_clEvENKUlvE0_clEvEUlffE_EEEEvS6_RKT_EUlibE_EEviT1_,"axG",@progbits,_ZN2at6native32elementwise_kernel_manual_unrollILi128ELi4EZNS0_15gpu_kernel_implINS0_13AUnaryFunctorIfffZZZNS0_12_GLOBAL__N_133hermite_polynomial_he_kernel_cudaERNS_18TensorIteratorBaseEENKUlvE_clEvENKUlvE0_clEvEUlffE_EEEEvS6_RKT_EUlibE_EEviT1_,comdat
	.globl	_ZN2at6native32elementwise_kernel_manual_unrollILi128ELi4EZNS0_15gpu_kernel_implINS0_13AUnaryFunctorIfffZZZNS0_12_GLOBAL__N_133hermite_polynomial_he_kernel_cudaERNS_18TensorIteratorBaseEENKUlvE_clEvENKUlvE0_clEvEUlffE_EEEEvS6_RKT_EUlibE_EEviT1_ ; -- Begin function _ZN2at6native32elementwise_kernel_manual_unrollILi128ELi4EZNS0_15gpu_kernel_implINS0_13AUnaryFunctorIfffZZZNS0_12_GLOBAL__N_133hermite_polynomial_he_kernel_cudaERNS_18TensorIteratorBaseEENKUlvE_clEvENKUlvE0_clEvEUlffE_EEEEvS6_RKT_EUlibE_EEviT1_
	.p2align	8
	.type	_ZN2at6native32elementwise_kernel_manual_unrollILi128ELi4EZNS0_15gpu_kernel_implINS0_13AUnaryFunctorIfffZZZNS0_12_GLOBAL__N_133hermite_polynomial_he_kernel_cudaERNS_18TensorIteratorBaseEENKUlvE_clEvENKUlvE0_clEvEUlffE_EEEEvS6_RKT_EUlibE_EEviT1_,@function
_ZN2at6native32elementwise_kernel_manual_unrollILi128ELi4EZNS0_15gpu_kernel_implINS0_13AUnaryFunctorIfffZZZNS0_12_GLOBAL__N_133hermite_polynomial_he_kernel_cudaERNS_18TensorIteratorBaseEENKUlvE_clEvENKUlvE0_clEvEUlffE_EEEEvS6_RKT_EUlibE_EEviT1_: ; @_ZN2at6native32elementwise_kernel_manual_unrollILi128ELi4EZNS0_15gpu_kernel_implINS0_13AUnaryFunctorIfffZZZNS0_12_GLOBAL__N_133hermite_polynomial_he_kernel_cudaERNS_18TensorIteratorBaseEENKUlvE_clEvENKUlvE0_clEvEUlffE_EEEEvS6_RKT_EUlibE_EEviT1_
; %bb.0:
	s_load_dwordx2 s[2:3], s[4:5], 0x24
	s_load_dwordx2 s[12:13], s[4:5], 0x18
	s_load_dword s33, s[4:5], 0x0
	s_load_dwordx4 s[8:11], s[4:5], 0x8
	v_lshl_or_b32 v7, s6, 9, v0
	v_or_b32_e32 v0, 0x180, v7
	s_waitcnt lgkmcnt(0)
	v_lshrrev_b16_e64 v8, 8, s3
	v_cmp_le_i32_e32 vcc, s33, v0
	s_mov_b64 s[4:5], 0
	s_mov_b64 s[14:15], 0
	s_and_saveexec_b64 s[0:1], vcc
	s_xor_b64 s[6:7], exec, s[0:1]
	s_cbranch_execz .LBB30_1075
; %bb.1:
	v_cmp_gt_i32_e32 vcc, s33, v7
	s_mov_b64 s[20:21], -1
	s_mov_b64 s[22:23], 0
	s_mov_b64 s[16:17], 0
	s_and_saveexec_b64 s[18:19], vcc
	s_cbranch_execz .LBB30_264
; %bb.2:
	v_mul_lo_u32 v0, v7, s13
	v_ashrrev_i32_e32 v1, 31, v0
	v_mov_b32_e32 v2, s11
	v_add_co_u32_e32 v0, vcc, s10, v0
	v_addc_co_u32_e32 v1, vcc, v2, v1, vcc
	v_cmp_gt_i16_e32 vcc, 11, v8
	s_cbranch_vccnz .LBB30_9
; %bb.3:
	v_cmp_lt_i16_e32 vcc, 25, v8
	s_cbranch_vccz .LBB30_30
; %bb.4:
	v_cmp_lt_i16_e32 vcc, 28, v8
	s_cbranch_vccz .LBB30_34
	;; [unrolled: 3-line block ×4, first 2 shown]
; %bb.7:
	v_cmp_eq_u16_e32 vcc, 46, v8
	s_cbranch_vccz .LBB30_40
; %bb.8:
	global_load_dword v2, v[0:1], off
	s_mov_b64 s[0:1], -1
	s_waitcnt vmcnt(0)
	v_lshlrev_b32_e32 v2, 16, v2
	s_branch .LBB30_42
.LBB30_9:
                                        ; implicit-def: $vgpr2
	s_mov_b64 s[0:1], 0
	s_cbranch_execnz .LBB30_215
.LBB30_10:
	s_andn2_b64 vcc, exec, s[0:1]
	s_cbranch_vccnz .LBB30_262
.LBB30_11:
	s_waitcnt vmcnt(0)
	v_trunc_f32_e32 v0, v2
	s_mov_b32 s0, 0x2f800000
	v_mul_f32_e64 v1, |v0|, s0
	v_floor_f32_e32 v1, v1
	s_mov_b32 s0, 0xcf800000
	v_cvt_u32_f32_e32 v2, v1
	v_fma_f32 v1, v1, s0, |v0|
	v_cvt_u32_f32_e32 v1, v1
	v_ashrrev_i32_e32 v0, 31, v0
	v_xor_b32_e32 v3, v2, v0
	v_xor_b32_e32 v1, v1, v0
	v_sub_co_u32_e32 v2, vcc, v1, v0
	v_subb_co_u32_e32 v3, vcc, v3, v0, vcc
	v_cmp_lt_i64_e32 vcc, -1, v[2:3]
	v_mov_b32_e32 v0, 0
	s_and_saveexec_b64 s[0:1], vcc
	s_cbranch_execz .LBB30_23
; %bb.12:
	v_cmp_lt_i64_e32 vcc, 0, v[2:3]
	v_mov_b32_e32 v0, 1.0
	s_and_saveexec_b64 s[14:15], vcc
	s_cbranch_execz .LBB30_22
; %bb.13:
	v_cmp_ne_u64_e32 vcc, 1, v[2:3]
                                        ; implicit-def: $vgpr0
	s_and_saveexec_b64 s[20:21], vcc
	s_xor_b64 s[20:21], exec, s[20:21]
	s_cbranch_execz .LBB30_19
; %bb.14:
	s_mov_b64 s[24:25], 0x81
	v_cmp_gt_u64_e32 vcc, s[24:25], v[2:3]
	v_mov_b32_e32 v0, 0x7fc00000
	s_and_saveexec_b64 s[24:25], vcc
	s_cbranch_execz .LBB30_18
; %bb.15:
	s_mov_b64 s[28:29], 1
	s_mov_b64 s[26:27], 0
	v_mov_b32_e32 v0, s2
	v_mov_b32_e32 v1, 1.0
.LBB30_16:                              ; =>This Inner Loop Header: Depth=1
	s_flbit_i32_b32 s30, s29
	s_min_u32 s34, s30, 32
	s_lshl_b64 s[30:31], s[28:29], s34
	s_min_u32 s30, s30, 1
	s_or_b32 s30, s31, s30
	v_cvt_f32_u32_e32 v4, s30
	s_sub_i32 s34, 32, s34
	s_add_u32 s28, s28, 1
	s_addc_u32 s29, s29, 0
	v_ldexp_f32 v4, v4, s34
	v_cmp_eq_u64_e32 vcc, s[28:29], v[2:3]
	v_mul_f32_e32 v4, v1, v4
	s_or_b64 s[26:27], vcc, s[26:27]
	v_mov_b32_e32 v1, v0
	v_fma_f32 v0, s2, v0, -v4
	s_andn2_b64 exec, exec, s[26:27]
	s_cbranch_execnz .LBB30_16
; %bb.17:
	s_or_b64 exec, exec, s[26:27]
.LBB30_18:
	s_or_b64 exec, exec, s[24:25]
.LBB30_19:
	s_andn2_saveexec_b64 s[20:21], s[20:21]
; %bb.20:
	v_mov_b32_e32 v0, s2
; %bb.21:
	s_or_b64 exec, exec, s[20:21]
.LBB30_22:
	s_or_b64 exec, exec, s[14:15]
.LBB30_23:
	s_or_b64 exec, exec, s[0:1]
	v_mul_lo_u32 v1, v7, s12
	v_ashrrev_i32_e32 v3, 31, v1
	v_mov_b32_e32 v4, s9
	v_add_co_u32_e32 v2, vcc, s8, v1
	v_mov_b32_e32 v1, 11
	v_addc_co_u32_e32 v3, vcc, v4, v3, vcc
	v_cmp_lt_i16_sdwa s[0:1], s3, v1 src0_sel:BYTE_0 src1_sel:DWORD
	s_and_b64 vcc, exec, s[0:1]
	s_cbranch_vccnz .LBB30_31
; %bb.24:
	v_mov_b32_e32 v1, 25
	v_cmp_gt_i16_sdwa s[0:1], s3, v1 src0_sel:BYTE_0 src1_sel:DWORD
	s_and_b64 vcc, exec, s[0:1]
	s_cbranch_vccz .LBB30_35
; %bb.25:
	v_mov_b32_e32 v1, 28
	v_cmp_gt_i16_sdwa s[0:1], s3, v1 src0_sel:BYTE_0 src1_sel:DWORD
	s_and_b64 vcc, exec, s[0:1]
	s_cbranch_vccz .LBB30_37
	;; [unrolled: 5-line block ×4, first 2 shown]
; %bb.28:
	v_mov_b32_e32 v1, 46
	v_cmp_eq_u16_sdwa s[14:15], s3, v1 src0_sel:BYTE_0 src1_sel:DWORD
	s_mov_b64 s[20:21], 0
	s_mov_b64 s[0:1], -1
	s_and_b64 vcc, exec, s[14:15]
	s_mov_b64 s[14:15], 0
	s_cbranch_vccz .LBB30_46
; %bb.29:
	v_bfe_u32 v1, v0, 16, 1
	s_movk_i32 s0, 0x7fff
	v_add3_u32 v1, v0, v1, s0
	v_lshrrev_b32_e32 v1, 16, v1
	v_mov_b32_e32 v4, 0x7fc0
	v_cmp_o_f32_e32 vcc, v0, v0
	v_cndmask_b32_e32 v1, v4, v1, vcc
	global_store_dword v[2:3], v1, off
	s_mov_b64 s[14:15], -1
	s_mov_b64 s[0:1], 0
	s_branch .LBB30_46
.LBB30_30:
	s_mov_b64 s[0:1], 0
                                        ; implicit-def: $vgpr2
	s_cbranch_execnz .LBB30_180
	s_branch .LBB30_214
.LBB30_31:
	s_mov_b64 s[0:1], 0
	s_mov_b64 s[14:15], 0
	s_cbranch_execnz .LBB30_115
.LBB30_32:
	s_andn2_b64 vcc, exec, s[14:15]
	s_cbranch_vccnz .LBB30_153
.LBB30_33:
	v_add_u32_e32 v7, 0x80, v7
	s_mov_b64 s[20:21], -1
	s_branch .LBB30_263
.LBB30_34:
	s_mov_b64 s[14:15], -1
	s_mov_b64 s[0:1], 0
                                        ; implicit-def: $vgpr2
	s_branch .LBB30_161
.LBB30_35:
	s_mov_b64 s[20:21], -1
	s_mov_b64 s[0:1], 0
	s_mov_b64 s[14:15], 0
	s_branch .LBB30_73
.LBB30_36:
	s_mov_b64 s[14:15], -1
	s_mov_b64 s[0:1], 0
                                        ; implicit-def: $vgpr2
	s_branch .LBB30_156
.LBB30_37:
	s_mov_b64 s[20:21], -1
	s_mov_b64 s[0:1], 0
	s_mov_b64 s[14:15], 0
	s_branch .LBB30_56
.LBB30_38:
	s_mov_b64 s[14:15], -1
	s_branch .LBB30_41
.LBB30_39:
	s_mov_b64 s[20:21], -1
	s_mov_b64 s[0:1], 0
	s_mov_b64 s[14:15], 0
	s_branch .LBB30_52
.LBB30_40:
	s_mov_b64 s[16:17], -1
.LBB30_41:
	s_mov_b64 s[0:1], 0
                                        ; implicit-def: $vgpr2
.LBB30_42:
	s_and_b64 vcc, exec, s[14:15]
	s_cbranch_vccz .LBB30_155
; %bb.43:
	v_cmp_eq_u16_e32 vcc, 44, v8
	s_cbranch_vccz .LBB30_154
; %bb.44:
	global_load_ubyte v2, v[0:1], off
	s_movk_i32 s14, 0xff
	v_mov_b32_e32 v3, 0x7f800001
	v_mov_b32_e32 v4, 0x400000
	s_mov_b64 s[0:1], -1
	s_mov_b64 s[16:17], 0
	s_waitcnt vmcnt(0)
	v_lshlrev_b32_e32 v5, 23, v2
	v_cmp_ne_u32_e32 vcc, s14, v2
	v_cndmask_b32_e32 v3, v3, v5, vcc
	v_cmp_ne_u32_e32 vcc, 0, v2
	v_cndmask_b32_e32 v2, v4, v3, vcc
	s_branch .LBB30_155
.LBB30_45:
	s_mov_b64 s[20:21], -1
	s_mov_b64 s[0:1], 0
	s_mov_b64 s[14:15], 0
.LBB30_46:
	s_and_b64 vcc, exec, s[20:21]
	s_cbranch_vccz .LBB30_51
; %bb.47:
	v_mov_b32_e32 v1, 44
	v_cmp_eq_u16_sdwa s[20:21], s3, v1 src0_sel:BYTE_0 src1_sel:DWORD
	s_mov_b64 s[0:1], -1
	s_and_b64 vcc, exec, s[20:21]
	s_cbranch_vccz .LBB30_51
; %bb.48:
	v_bfe_u32 v1, v0, 23, 8
	s_movk_i32 s0, 0xff
	v_cmp_ne_u32_e32 vcc, s0, v1
	v_mov_b32_e32 v4, 0xff
	s_and_saveexec_b64 s[14:15], vcc
; %bb.49:
	s_mov_b32 s0, 0x3fffff
	v_and_b32_e32 v5, 0x400000, v0
	v_and_or_b32 v1, v0, s0, v1
	v_cmp_ne_u32_e32 vcc, 0, v5
	v_cmp_ne_u32_e64 s[0:1], 0, v1
	s_and_b64 s[0:1], vcc, s[0:1]
	v_lshrrev_b32_e32 v4, 23, v0
	v_cndmask_b32_e64 v1, 0, 1, s[0:1]
	v_add_u32_e32 v4, v4, v1
; %bb.50:
	s_or_b64 exec, exec, s[14:15]
	s_mov_b64 s[14:15], -1
	s_mov_b64 s[0:1], 0
	global_store_byte v[2:3], v4, off
.LBB30_51:
	s_mov_b64 s[20:21], 0
.LBB30_52:
	s_and_b64 vcc, exec, s[20:21]
	s_cbranch_vccz .LBB30_55
; %bb.53:
	v_mov_b32_e32 v1, 29
	v_cmp_eq_u16_sdwa s[20:21], s3, v1 src0_sel:BYTE_0 src1_sel:DWORD
	s_mov_b64 s[0:1], -1
	s_and_b64 vcc, exec, s[20:21]
	s_cbranch_vccz .LBB30_55
; %bb.54:
	v_trunc_f32_e32 v1, v0
	v_mul_f32_e32 v4, 0x2f800000, v1
	v_floor_f32_e32 v4, v4
	v_fmac_f32_e32 v1, 0xcf800000, v4
	v_cvt_u32_f32_e32 v5, v4
	v_cvt_u32_f32_e32 v4, v1
	s_mov_b64 s[14:15], -1
	s_mov_b64 s[0:1], 0
	s_mov_b64 s[20:21], 0
	global_store_dwordx2 v[2:3], v[4:5], off
	s_branch .LBB30_56
.LBB30_55:
	s_mov_b64 s[20:21], 0
.LBB30_56:
	s_and_b64 vcc, exec, s[20:21]
	s_cbranch_vccz .LBB30_72
; %bb.57:
	v_mov_b32_e32 v1, 27
	v_cmp_lt_i16_sdwa s[20:21], s3, v1 src0_sel:BYTE_0 src1_sel:DWORD
	s_mov_b64 s[14:15], -1
	s_and_b64 vcc, exec, s[20:21]
	s_cbranch_vccnz .LBB30_63
; %bb.58:
	v_cmp_gt_i16_sdwa s[20:21], s3, v1 src0_sel:BYTE_0 src1_sel:DWORD
	v_cvt_u32_f32_e32 v1, v0
	s_and_b64 vcc, exec, s[20:21]
	s_cbranch_vccz .LBB30_60
; %bb.59:
	s_mov_b64 s[14:15], 0
	global_store_dword v[2:3], v1, off
.LBB30_60:
	s_andn2_b64 vcc, exec, s[14:15]
	s_cbranch_vccnz .LBB30_62
; %bb.61:
	global_store_short v[2:3], v1, off
.LBB30_62:
	s_mov_b64 s[14:15], 0
.LBB30_63:
	s_andn2_b64 vcc, exec, s[14:15]
	s_cbranch_vccnz .LBB30_71
; %bb.64:
	v_and_b32_e32 v1, 0x7fffffff, v0
	s_mov_b32 s14, 0x43800000
	v_cmp_gt_u32_e32 vcc, s14, v1
	v_mov_b32_e32 v4, 0x80
	s_and_saveexec_b64 s[14:15], vcc
	s_cbranch_execz .LBB30_70
; %bb.65:
	s_mov_b32 s20, 0x3bffffff
	v_cmp_lt_u32_e32 vcc, s20, v1
	s_mov_b64 s[20:21], 0
                                        ; implicit-def: $vgpr1
	s_and_saveexec_b64 s[24:25], vcc
	s_xor_b64 s[24:25], exec, s[24:25]
	s_cbranch_execz .LBB30_303
; %bb.66:
	v_bfe_u32 v1, v0, 20, 1
	s_mov_b32 s26, 0x487ffff
	v_add3_u32 v1, v0, v1, s26
	s_mov_b64 s[20:21], exec
	v_lshrrev_b32_e32 v1, 20, v1
	s_or_saveexec_b64 s[24:25], s[24:25]
                                        ; implicit-def: $sgpr26
	s_xor_b64 exec, exec, s[24:25]
	s_cbranch_execnz .LBB30_304
.LBB30_67:
	s_or_b64 exec, exec, s[24:25]
	v_mov_b32_e32 v4, s26
	s_and_saveexec_b64 s[24:25], s[20:21]
.LBB30_68:
	v_lshrrev_b32_e32 v4, 24, v0
	s_movk_i32 s20, 0x80
	v_and_or_b32 v4, v4, s20, v1
.LBB30_69:
	s_or_b64 exec, exec, s[24:25]
.LBB30_70:
	s_or_b64 exec, exec, s[14:15]
	global_store_byte v[2:3], v4, off
.LBB30_71:
	s_mov_b64 s[14:15], -1
.LBB30_72:
	s_mov_b64 s[20:21], 0
.LBB30_73:
	s_and_b64 vcc, exec, s[20:21]
	s_cbranch_vccz .LBB30_114
; %bb.74:
	v_mov_b32_e32 v1, 22
	v_cmp_gt_i16_sdwa s[24:25], s3, v1 src0_sel:BYTE_0 src1_sel:DWORD
	s_mov_b64 s[20:21], -1
	s_and_b64 vcc, exec, s[24:25]
	s_cbranch_vccz .LBB30_106
; %bb.75:
	v_mov_b32_e32 v1, 24
	v_cmp_lt_i16_sdwa s[20:21], s3, v1 src0_sel:BYTE_0 src1_sel:DWORD
	s_mov_b64 s[14:15], -1
	s_and_b64 vcc, exec, s[20:21]
	s_cbranch_vccnz .LBB30_95
; %bb.76:
	v_cmp_gt_i16_sdwa s[20:21], s3, v1 src0_sel:BYTE_0 src1_sel:DWORD
	s_and_b64 vcc, exec, s[20:21]
	s_cbranch_vccz .LBB30_84
; %bb.77:
	v_and_b32_e32 v1, 0x7fffffff, v0
	s_mov_b32 s14, 0x47800000
	v_cmp_gt_u32_e32 vcc, s14, v1
	v_mov_b32_e32 v4, 0x80
	s_and_saveexec_b64 s[14:15], vcc
	s_cbranch_execz .LBB30_83
; %bb.78:
	s_mov_b32 s20, 0x37ffffff
	v_cmp_lt_u32_e32 vcc, s20, v1
	s_mov_b64 s[20:21], 0
                                        ; implicit-def: $vgpr1
	s_and_saveexec_b64 s[24:25], vcc
	s_xor_b64 s[24:25], exec, s[24:25]
	s_cbranch_execz .LBB30_307
; %bb.79:
	v_bfe_u32 v1, v0, 21, 1
	s_mov_b32 s26, 0x88fffff
	v_add3_u32 v1, v0, v1, s26
	s_mov_b64 s[20:21], exec
	v_lshrrev_b32_e32 v1, 21, v1
	s_or_saveexec_b64 s[24:25], s[24:25]
                                        ; implicit-def: $sgpr26
	s_xor_b64 exec, exec, s[24:25]
	s_cbranch_execnz .LBB30_308
.LBB30_80:
	s_or_b64 exec, exec, s[24:25]
	v_mov_b32_e32 v4, s26
	s_and_saveexec_b64 s[24:25], s[20:21]
.LBB30_81:
	v_lshrrev_b32_e32 v4, 24, v0
	s_movk_i32 s20, 0x80
	v_and_or_b32 v4, v4, s20, v1
.LBB30_82:
	s_or_b64 exec, exec, s[24:25]
.LBB30_83:
	s_or_b64 exec, exec, s[14:15]
	s_mov_b64 s[14:15], 0
	global_store_byte v[2:3], v4, off
.LBB30_84:
	s_and_b64 vcc, exec, s[14:15]
	s_cbranch_vccz .LBB30_94
; %bb.85:
	v_and_b32_e32 v4, 0x7fffffff, v0
	s_mov_b32 s14, 0x43f00000
	v_cmp_gt_u32_e32 vcc, s14, v4
                                        ; implicit-def: $vgpr1
	s_and_saveexec_b64 s[14:15], vcc
	s_xor_b64 s[14:15], exec, s[14:15]
	s_cbranch_execz .LBB30_91
; %bb.86:
	s_mov_b32 s20, 0x3c7fffff
	v_cmp_lt_u32_e32 vcc, s20, v4
                                        ; implicit-def: $vgpr1
	s_and_saveexec_b64 s[20:21], vcc
	s_xor_b64 s[20:21], exec, s[20:21]
; %bb.87:
	v_bfe_u32 v1, v0, 20, 1
	s_mov_b32 s24, 0x407ffff
	v_add3_u32 v1, v0, v1, s24
	v_lshrrev_b32_e32 v4, 20, v1
	v_and_b32_e32 v1, 0xff00000, v1
	s_mov_b32 s24, 0x7f00000
	v_mov_b32_e32 v5, 0x7e
	v_cmp_ne_u32_e32 vcc, s24, v1
	v_cndmask_b32_e32 v1, v5, v4, vcc
; %bb.88:
	s_andn2_saveexec_b64 s[20:21], s[20:21]
; %bb.89:
	s_mov_b32 s24, 0x46800000
	v_add_f32_e64 v1, |v0|, s24
; %bb.90:
	s_or_b64 exec, exec, s[20:21]
                                        ; implicit-def: $vgpr4
.LBB30_91:
	s_andn2_saveexec_b64 s[14:15], s[14:15]
; %bb.92:
	s_mov_b32 s20, 0x7f800000
	v_mov_b32_e32 v1, 0x7e
	v_mov_b32_e32 v5, 0x7f
	v_cmp_lt_u32_e32 vcc, s20, v4
	v_cndmask_b32_e32 v1, v1, v5, vcc
; %bb.93:
	s_or_b64 exec, exec, s[14:15]
	v_lshrrev_b32_e32 v4, 24, v0
	s_movk_i32 s14, 0x80
	v_and_or_b32 v1, v4, s14, v1
	global_store_byte v[2:3], v1, off
.LBB30_94:
	s_mov_b64 s[14:15], 0
.LBB30_95:
	s_andn2_b64 vcc, exec, s[14:15]
	s_cbranch_vccnz .LBB30_105
; %bb.96:
	v_and_b32_e32 v4, 0x7fffffff, v0
	s_mov_b32 s14, 0x47800000
	v_cmp_gt_u32_e32 vcc, s14, v4
                                        ; implicit-def: $vgpr1
	s_and_saveexec_b64 s[14:15], vcc
	s_xor_b64 s[14:15], exec, s[14:15]
	s_cbranch_execz .LBB30_102
; %bb.97:
	s_mov_b32 s20, 0x387fffff
	v_cmp_lt_u32_e32 vcc, s20, v4
                                        ; implicit-def: $vgpr1
	s_and_saveexec_b64 s[20:21], vcc
	s_xor_b64 s[20:21], exec, s[20:21]
; %bb.98:
	v_bfe_u32 v1, v0, 21, 1
	s_mov_b32 s24, 0x80fffff
	v_add3_u32 v1, v0, v1, s24
	v_lshrrev_b32_e32 v1, 21, v1
; %bb.99:
	s_andn2_saveexec_b64 s[20:21], s[20:21]
; %bb.100:
	s_mov_b32 s24, 0x43000000
	v_add_f32_e64 v1, |v0|, s24
; %bb.101:
	s_or_b64 exec, exec, s[20:21]
                                        ; implicit-def: $vgpr4
.LBB30_102:
	s_andn2_saveexec_b64 s[14:15], s[14:15]
; %bb.103:
	s_mov_b32 s20, 0x7f800000
	v_mov_b32_e32 v1, 0x7c
	v_mov_b32_e32 v5, 0x7f
	v_cmp_lt_u32_e32 vcc, s20, v4
	v_cndmask_b32_e32 v1, v1, v5, vcc
; %bb.104:
	s_or_b64 exec, exec, s[14:15]
	v_lshrrev_b32_e32 v4, 24, v0
	s_movk_i32 s14, 0x80
	v_and_or_b32 v1, v4, s14, v1
	global_store_byte v[2:3], v1, off
.LBB30_105:
	s_mov_b64 s[20:21], 0
	s_mov_b64 s[14:15], -1
.LBB30_106:
	s_andn2_b64 vcc, exec, s[20:21]
	s_cbranch_vccnz .LBB30_114
; %bb.107:
	v_mov_b32_e32 v1, 14
	v_cmp_gt_i16_sdwa s[24:25], s3, v1 src0_sel:BYTE_0 src1_sel:DWORD
	s_mov_b64 s[20:21], -1
	s_and_b64 vcc, exec, s[24:25]
	s_cbranch_vccz .LBB30_111
; %bb.108:
	v_mov_b32_e32 v1, 15
	v_cmp_eq_u16_sdwa s[20:21], s3, v1 src0_sel:BYTE_0 src1_sel:DWORD
	s_mov_b64 s[0:1], -1
	s_and_b64 vcc, exec, s[20:21]
	s_cbranch_vccz .LBB30_110
; %bb.109:
	v_bfe_u32 v1, v0, 16, 1
	s_movk_i32 s0, 0x7fff
	v_add3_u32 v1, v0, v1, s0
	v_lshrrev_b32_e32 v1, 16, v1
	v_mov_b32_e32 v4, 0x7fc0
	v_cmp_o_f32_e32 vcc, v0, v0
	v_cndmask_b32_e32 v1, v4, v1, vcc
	global_store_short v[2:3], v1, off
	s_mov_b64 s[14:15], -1
	s_mov_b64 s[0:1], 0
.LBB30_110:
	s_mov_b64 s[20:21], 0
.LBB30_111:
	s_and_b64 vcc, exec, s[20:21]
	s_cbranch_vccz .LBB30_114
; %bb.112:
	v_mov_b32_e32 v1, 11
	v_cmp_eq_u16_sdwa s[20:21], s3, v1 src0_sel:BYTE_0 src1_sel:DWORD
	s_mov_b64 s[0:1], -1
	s_and_b64 vcc, exec, s[20:21]
	s_cbranch_vccz .LBB30_114
; %bb.113:
	v_cmp_neq_f32_e32 vcc, 0, v0
	v_cndmask_b32_e64 v1, 0, 1, vcc
	s_mov_b64 s[14:15], -1
	s_mov_b64 s[0:1], 0
	global_store_byte v[2:3], v1, off
.LBB30_114:
	s_branch .LBB30_32
.LBB30_115:
	v_mov_b32_e32 v1, 5
	v_cmp_lt_i16_sdwa s[20:21], s3, v1 src0_sel:BYTE_0 src1_sel:DWORD
	s_mov_b64 s[14:15], -1
	s_and_b64 vcc, exec, s[20:21]
	s_cbranch_vccnz .LBB30_136
; %bb.116:
	v_mov_b32_e32 v1, 8
	v_cmp_lt_i16_sdwa s[20:21], s3, v1 src0_sel:BYTE_0 src1_sel:DWORD
	s_and_b64 vcc, exec, s[20:21]
	s_cbranch_vccnz .LBB30_126
; %bb.117:
	v_mov_b32_e32 v1, 9
	v_cmp_lt_i16_sdwa s[20:21], s3, v1 src0_sel:BYTE_0 src1_sel:DWORD
	s_and_b64 vcc, exec, s[20:21]
	s_cbranch_vccnz .LBB30_123
; %bb.118:
	v_cmp_gt_i16_sdwa s[20:21], s3, v1 src0_sel:BYTE_0 src1_sel:DWORD
	s_and_b64 vcc, exec, s[20:21]
	s_cbranch_vccz .LBB30_120
; %bb.119:
	v_mov_b32_e32 v12, 0
	v_cvt_f64_f32_e32 v[10:11], v0
	v_mov_b32_e32 v13, v12
	global_store_dwordx4 v[2:3], v[10:13], off
	s_mov_b64 s[14:15], 0
.LBB30_120:
	s_andn2_b64 vcc, exec, s[14:15]
	s_cbranch_vccnz .LBB30_122
; %bb.121:
	v_mov_b32_e32 v1, 0
	global_store_dwordx2 v[2:3], v[0:1], off
.LBB30_122:
	s_mov_b64 s[14:15], 0
.LBB30_123:
	s_andn2_b64 vcc, exec, s[14:15]
	s_cbranch_vccnz .LBB30_125
; %bb.124:
	v_cvt_f16_f32_e32 v1, v0
	global_store_dword v[2:3], v1, off
.LBB30_125:
	s_mov_b64 s[14:15], 0
.LBB30_126:
	s_andn2_b64 vcc, exec, s[14:15]
	s_cbranch_vccnz .LBB30_135
; %bb.127:
	v_mov_b32_e32 v1, 6
	v_cmp_lt_i16_sdwa s[20:21], s3, v1 src0_sel:BYTE_0 src1_sel:DWORD
	s_mov_b64 s[14:15], -1
	s_and_b64 vcc, exec, s[20:21]
	s_cbranch_vccnz .LBB30_133
; %bb.128:
	v_cmp_gt_i16_sdwa s[20:21], s3, v1 src0_sel:BYTE_0 src1_sel:DWORD
	s_and_b64 vcc, exec, s[20:21]
	s_cbranch_vccz .LBB30_130
; %bb.129:
	v_cvt_f64_f32_e32 v[4:5], v0
	global_store_dwordx2 v[2:3], v[4:5], off
	s_mov_b64 s[14:15], 0
.LBB30_130:
	s_andn2_b64 vcc, exec, s[14:15]
	s_cbranch_vccnz .LBB30_132
; %bb.131:
	global_store_dword v[2:3], v0, off
.LBB30_132:
	s_mov_b64 s[14:15], 0
.LBB30_133:
	s_andn2_b64 vcc, exec, s[14:15]
	s_cbranch_vccnz .LBB30_135
; %bb.134:
	v_cvt_f16_f32_e32 v1, v0
	global_store_short v[2:3], v1, off
.LBB30_135:
	s_mov_b64 s[14:15], 0
.LBB30_136:
	s_andn2_b64 vcc, exec, s[14:15]
	s_cbranch_vccnz .LBB30_152
; %bb.137:
	v_mov_b32_e32 v1, 2
	v_cmp_lt_i16_sdwa s[20:21], s3, v1 src0_sel:BYTE_0 src1_sel:DWORD
	s_mov_b64 s[14:15], -1
	s_and_b64 vcc, exec, s[20:21]
	s_cbranch_vccnz .LBB30_147
; %bb.138:
	v_mov_b32_e32 v1, 3
	v_cmp_lt_i16_sdwa s[20:21], s3, v1 src0_sel:BYTE_0 src1_sel:DWORD
	s_and_b64 vcc, exec, s[20:21]
	s_cbranch_vccnz .LBB30_144
; %bb.139:
	v_cmp_gt_i16_sdwa s[20:21], s3, v1 src0_sel:BYTE_0 src1_sel:DWORD
	s_and_b64 vcc, exec, s[20:21]
	s_cbranch_vccz .LBB30_141
; %bb.140:
	v_trunc_f32_e32 v1, v0
	s_mov_b32 s14, 0x2f800000
	v_mul_f32_e64 v4, |v1|, s14
	v_floor_f32_e32 v4, v4
	s_mov_b32 s14, 0xcf800000
	v_cvt_u32_f32_e32 v5, v4
	v_fma_f32 v4, v4, s14, |v1|
	v_cvt_u32_f32_e32 v4, v4
	v_ashrrev_i32_e32 v1, 31, v1
	v_xor_b32_e32 v5, v5, v1
	s_mov_b64 s[14:15], 0
	v_xor_b32_e32 v4, v4, v1
	v_sub_co_u32_e32 v4, vcc, v4, v1
	v_subb_co_u32_e32 v5, vcc, v5, v1, vcc
	global_store_dwordx2 v[2:3], v[4:5], off
.LBB30_141:
	s_andn2_b64 vcc, exec, s[14:15]
	s_cbranch_vccnz .LBB30_143
; %bb.142:
	v_cvt_i32_f32_e32 v1, v0
	global_store_dword v[2:3], v1, off
.LBB30_143:
	s_mov_b64 s[14:15], 0
.LBB30_144:
	s_andn2_b64 vcc, exec, s[14:15]
	s_cbranch_vccnz .LBB30_146
; %bb.145:
	v_cvt_i32_f32_e32 v1, v0
	global_store_short v[2:3], v1, off
.LBB30_146:
	s_mov_b64 s[14:15], 0
.LBB30_147:
	s_andn2_b64 vcc, exec, s[14:15]
	s_cbranch_vccnz .LBB30_152
; %bb.148:
	v_mov_b32_e32 v1, 0
	v_cmp_gt_i16_sdwa s[20:21], s3, v1 src0_sel:BYTE_0 src1_sel:DWORD
	s_mov_b64 s[14:15], -1
	s_and_b64 vcc, exec, s[20:21]
	s_cbranch_vccz .LBB30_150
; %bb.149:
	v_cvt_i32_f32_e32 v1, v0
	s_mov_b64 s[14:15], 0
	global_store_byte v[2:3], v1, off
.LBB30_150:
	s_andn2_b64 vcc, exec, s[14:15]
	s_cbranch_vccnz .LBB30_152
; %bb.151:
	v_trunc_f32_e32 v0, v0
	s_mov_b32 s14, 0x2f800000
	v_mul_f32_e64 v1, |v0|, s14
	v_floor_f32_e32 v1, v1
	s_mov_b32 s14, 0xcf800000
	v_fma_f32 v1, v1, s14, |v0|
	v_cvt_u32_f32_e32 v1, v1
	v_ashrrev_i32_e32 v0, 31, v0
	v_xor_b32_e32 v1, v1, v0
	v_sub_u32_e32 v0, v1, v0
	global_store_byte v[2:3], v0, off
.LBB30_152:
	s_branch .LBB30_33
.LBB30_153:
	s_mov_b64 s[20:21], 0
                                        ; implicit-def: $vgpr7
	s_branch .LBB30_263
.LBB30_154:
	s_mov_b64 s[16:17], -1
                                        ; implicit-def: $vgpr2
.LBB30_155:
	s_mov_b64 s[14:15], 0
.LBB30_156:
	s_and_b64 vcc, exec, s[14:15]
	s_cbranch_vccz .LBB30_160
; %bb.157:
	v_cmp_eq_u16_e32 vcc, 29, v8
	s_cbranch_vccz .LBB30_159
; %bb.158:
	global_load_dwordx2 v[2:3], v[0:1], off
	s_mov_b64 s[0:1], -1
	s_mov_b64 s[16:17], 0
	s_mov_b64 s[14:15], 0
	s_waitcnt vmcnt(0)
	v_ffbh_u32_e32 v4, v3
	v_min_u32_e32 v4, 32, v4
	v_lshlrev_b64 v[2:3], v4, v[2:3]
	v_min_u32_e32 v2, 1, v2
	v_or_b32_e32 v2, v3, v2
	v_cvt_f32_u32_e32 v2, v2
	v_sub_u32_e32 v3, 32, v4
	v_ldexp_f32 v2, v2, v3
	s_branch .LBB30_161
.LBB30_159:
	s_mov_b64 s[16:17], -1
                                        ; implicit-def: $vgpr2
.LBB30_160:
	s_mov_b64 s[14:15], 0
.LBB30_161:
	s_and_b64 vcc, exec, s[14:15]
	s_cbranch_vccz .LBB30_179
; %bb.162:
	v_cmp_gt_i16_e32 vcc, 27, v8
	s_cbranch_vccnz .LBB30_165
; %bb.163:
	v_cmp_lt_i16_e32 vcc, 27, v8
	s_cbranch_vccz .LBB30_166
; %bb.164:
	global_load_dword v2, v[0:1], off
	s_mov_b64 s[0:1], 0
	s_waitcnt vmcnt(0)
	v_cvt_f32_u32_e32 v2, v2
	s_branch .LBB30_167
.LBB30_165:
	s_mov_b64 s[0:1], -1
                                        ; implicit-def: $vgpr2
	s_branch .LBB30_170
.LBB30_166:
	s_mov_b64 s[0:1], -1
                                        ; implicit-def: $vgpr2
.LBB30_167:
	s_andn2_b64 vcc, exec, s[0:1]
	s_cbranch_vccnz .LBB30_169
; %bb.168:
	global_load_ushort v2, v[0:1], off
	s_waitcnt vmcnt(0)
	v_cvt_f32_u32_e32 v2, v2
.LBB30_169:
	s_mov_b64 s[0:1], 0
.LBB30_170:
	s_andn2_b64 vcc, exec, s[0:1]
	s_cbranch_vccnz .LBB30_178
; %bb.171:
	global_load_ubyte v3, v[0:1], off
	s_movk_i32 s0, 0x7f
                                        ; implicit-def: $sgpr24
	s_waitcnt vmcnt(0)
	v_cmp_lt_i16_e32 vcc, s0, v3
	s_mov_b64 s[0:1], 0
	s_and_saveexec_b64 s[14:15], vcc
	s_xor_b64 s[14:15], exec, s[14:15]
	s_cbranch_execz .LBB30_191
; %bb.172:
	s_movk_i32 s0, 0x80
	v_cmp_eq_u16_e32 vcc, s0, v3
	s_mov_b64 s[0:1], -1
                                        ; implicit-def: $sgpr24
	s_and_saveexec_b64 s[20:21], vcc
; %bb.173:
	s_mov_b32 s24, 0x7f800001
	s_xor_b64 s[0:1], exec, -1
; %bb.174:
	s_or_b64 exec, exec, s[20:21]
	s_and_b64 s[0:1], s[0:1], exec
	s_or_saveexec_b64 s[14:15], s[14:15]
	v_mov_b32_e32 v2, s24
	s_xor_b64 exec, exec, s[14:15]
	s_cbranch_execnz .LBB30_192
.LBB30_175:
	s_or_b64 exec, exec, s[14:15]
	s_and_saveexec_b64 s[14:15], s[0:1]
	s_cbranch_execz .LBB30_177
.LBB30_176:
	v_lshlrev_b32_e32 v2, 24, v3
	v_and_b32_e32 v3, 0xffff, v3
	v_and_b32_e32 v4, 7, v3
	v_ffbh_u32_e32 v6, v4
	v_min_u32_e32 v6, 32, v6
	v_subrev_u32_e32 v9, 28, v6
	v_bfe_u32 v5, v3, 3, 4
	v_lshlrev_b32_e32 v3, v9, v3
	v_sub_u32_e32 v6, 29, v6
	v_and_b32_e32 v3, 7, v3
	v_cmp_eq_u32_e32 vcc, 0, v5
	v_cndmask_b32_e32 v5, v5, v6, vcc
	v_cndmask_b32_e32 v3, v4, v3, vcc
	v_mov_b32_e32 v4, 0x3b800000
	v_lshlrev_b32_e32 v3, 20, v3
	v_and_b32_e32 v2, 0x80000000, v2
	v_lshl_add_u32 v4, v5, 23, v4
	v_or3_b32 v2, v2, v4, v3
.LBB30_177:
	s_or_b64 exec, exec, s[14:15]
.LBB30_178:
	s_mov_b64 s[0:1], -1
.LBB30_179:
	s_branch .LBB30_214
.LBB30_180:
	v_cmp_lt_i16_e32 vcc, 22, v8
	s_cbranch_vccz .LBB30_190
; %bb.181:
	v_cmp_gt_i16_e32 vcc, 24, v8
	s_cbranch_vccnz .LBB30_193
; %bb.182:
	v_cmp_lt_i16_e32 vcc, 24, v8
	s_cbranch_vccz .LBB30_194
; %bb.183:
	global_load_ubyte v3, v[0:1], off
	s_movk_i32 s0, 0x7f
                                        ; implicit-def: $sgpr24
	s_waitcnt vmcnt(0)
	v_cmp_lt_i16_e32 vcc, s0, v3
	s_mov_b64 s[0:1], 0
	s_and_saveexec_b64 s[14:15], vcc
	s_xor_b64 s[14:15], exec, s[14:15]
	s_cbranch_execz .LBB30_206
; %bb.184:
	s_movk_i32 s0, 0x80
	v_cmp_eq_u16_e32 vcc, s0, v3
	s_mov_b64 s[0:1], -1
                                        ; implicit-def: $sgpr24
	s_and_saveexec_b64 s[20:21], vcc
; %bb.185:
	s_mov_b32 s24, 0x7f800001
	s_xor_b64 s[0:1], exec, -1
; %bb.186:
	s_or_b64 exec, exec, s[20:21]
	s_and_b64 s[0:1], s[0:1], exec
	s_or_saveexec_b64 s[14:15], s[14:15]
	v_mov_b32_e32 v2, s24
	s_xor_b64 exec, exec, s[14:15]
	s_cbranch_execnz .LBB30_207
.LBB30_187:
	s_or_b64 exec, exec, s[14:15]
	s_and_saveexec_b64 s[14:15], s[0:1]
	s_cbranch_execz .LBB30_189
.LBB30_188:
	v_lshlrev_b32_e32 v2, 24, v3
	v_and_b32_e32 v3, 0xffff, v3
	v_and_b32_e32 v4, 3, v3
	v_ffbh_u32_e32 v6, v4
	v_min_u32_e32 v6, 32, v6
	v_subrev_u32_e32 v9, 29, v6
	v_bfe_u32 v5, v3, 2, 5
	v_lshlrev_b32_e32 v3, v9, v3
	v_sub_u32_e32 v6, 30, v6
	v_and_b32_e32 v3, 3, v3
	v_cmp_eq_u32_e32 vcc, 0, v5
	v_cndmask_b32_e32 v5, v5, v6, vcc
	v_cndmask_b32_e32 v3, v4, v3, vcc
	v_mov_b32_e32 v4, 0x37800000
	v_lshlrev_b32_e32 v3, 21, v3
	v_and_b32_e32 v2, 0x80000000, v2
	v_lshl_add_u32 v4, v5, 23, v4
	v_or3_b32 v2, v2, v4, v3
.LBB30_189:
	s_or_b64 exec, exec, s[14:15]
	s_mov_b64 s[0:1], 0
	s_branch .LBB30_195
.LBB30_190:
	s_mov_b64 s[14:15], -1
                                        ; implicit-def: $vgpr2
	s_branch .LBB30_201
.LBB30_191:
	s_or_saveexec_b64 s[14:15], s[14:15]
	v_mov_b32_e32 v2, s24
	s_xor_b64 exec, exec, s[14:15]
	s_cbranch_execz .LBB30_175
.LBB30_192:
	v_cmp_ne_u16_e32 vcc, 0, v3
	s_andn2_b64 s[0:1], s[0:1], exec
	s_and_b64 s[20:21], vcc, exec
	v_mov_b32_e32 v2, 0
	s_or_b64 s[0:1], s[0:1], s[20:21]
	s_or_b64 exec, exec, s[14:15]
	s_and_saveexec_b64 s[14:15], s[0:1]
	s_cbranch_execnz .LBB30_176
	s_branch .LBB30_177
.LBB30_193:
	s_mov_b64 s[0:1], -1
                                        ; implicit-def: $vgpr2
	s_branch .LBB30_198
.LBB30_194:
	s_mov_b64 s[0:1], -1
                                        ; implicit-def: $vgpr2
.LBB30_195:
	s_and_b64 vcc, exec, s[0:1]
	s_cbranch_vccz .LBB30_197
; %bb.196:
	global_load_ubyte v2, v[0:1], off
	s_mov_b32 s0, 0x7f800000
	s_waitcnt vmcnt(0)
	v_lshlrev_b32_e32 v2, 24, v2
	v_and_b32_e32 v3, 0x7f000000, v2
	v_ffbh_u32_e32 v4, v3
	v_min_u32_e32 v4, 32, v4
	v_sub_u32_e64 v4, v4, 4 clamp
	v_lshlrev_b32_e32 v6, v4, v3
	v_lshlrev_b32_e32 v4, 23, v4
	v_lshrrev_b32_e32 v6, 4, v6
	v_add_u32_e32 v5, 0x1000000, v3
	v_sub_u32_e32 v4, v6, v4
	v_ashrrev_i32_e32 v5, 8, v5
	v_add_u32_e32 v4, 0x3c000000, v4
	v_and_or_b32 v4, v5, s0, v4
	v_cmp_ne_u32_e32 vcc, 0, v3
	v_cndmask_b32_e32 v3, 0, v4, vcc
	s_brev_b32 s0, 1
	v_and_or_b32 v2, v2, s0, v3
.LBB30_197:
	s_mov_b64 s[0:1], 0
.LBB30_198:
	s_andn2_b64 vcc, exec, s[0:1]
	s_cbranch_vccnz .LBB30_200
; %bb.199:
	global_load_ubyte v2, v[0:1], off
	s_movk_i32 s0, 0x7f00
	s_brev_b32 s1, 16
	s_waitcnt vmcnt(0)
	v_lshlrev_b16_e32 v3, 8, v2
	v_lshlrev_b32_e32 v2, 25, v2
	v_lshrrev_b32_e32 v4, 4, v2
	v_and_or_b32 v5, v3, s0, 0.5
	v_or_b32_e32 v4, 0x70000000, v4
	v_add_f32_e32 v5, -0.5, v5
	v_mul_f32_e32 v4, 0x7800000, v4
	v_cmp_gt_u32_e32 vcc, s1, v2
	v_bfe_i32 v3, v3, 0, 16
	v_cndmask_b32_e32 v2, v4, v5, vcc
	s_brev_b32 s0, 1
	v_and_or_b32 v2, v3, s0, v2
.LBB30_200:
	s_mov_b64 s[14:15], 0
	s_mov_b64 s[0:1], -1
.LBB30_201:
	s_andn2_b64 vcc, exec, s[14:15]
	s_cbranch_vccnz .LBB30_214
; %bb.202:
	v_cmp_lt_i16_e32 vcc, 14, v8
	s_cbranch_vccz .LBB30_205
; %bb.203:
	v_cmp_eq_u16_e32 vcc, 15, v8
	s_cbranch_vccz .LBB30_208
; %bb.204:
	global_load_ushort v2, v[0:1], off
	s_mov_b64 s[0:1], -1
	s_mov_b64 s[16:17], 0
	s_waitcnt vmcnt(0)
	v_lshlrev_b32_e32 v2, 16, v2
	s_branch .LBB30_209
.LBB30_205:
	s_mov_b64 s[14:15], -1
                                        ; implicit-def: $vgpr2
	s_branch .LBB30_210
.LBB30_206:
	s_or_saveexec_b64 s[14:15], s[14:15]
	v_mov_b32_e32 v2, s24
	s_xor_b64 exec, exec, s[14:15]
	s_cbranch_execz .LBB30_187
.LBB30_207:
	v_cmp_ne_u16_e32 vcc, 0, v3
	s_andn2_b64 s[0:1], s[0:1], exec
	s_and_b64 s[20:21], vcc, exec
	v_mov_b32_e32 v2, 0
	s_or_b64 s[0:1], s[0:1], s[20:21]
	s_or_b64 exec, exec, s[14:15]
	s_and_saveexec_b64 s[14:15], s[0:1]
	s_cbranch_execnz .LBB30_188
	s_branch .LBB30_189
.LBB30_208:
	s_mov_b64 s[16:17], -1
                                        ; implicit-def: $vgpr2
.LBB30_209:
	s_mov_b64 s[14:15], 0
.LBB30_210:
	s_and_b64 vcc, exec, s[14:15]
	s_cbranch_vccz .LBB30_214
; %bb.211:
	v_cmp_eq_u16_e32 vcc, 11, v8
	s_cbranch_vccz .LBB30_213
; %bb.212:
	global_load_ubyte v2, v[0:1], off
	s_mov_b64 s[0:1], -1
	s_mov_b64 s[16:17], 0
	s_waitcnt vmcnt(0)
	v_cmp_ne_u16_e32 vcc, 0, v2
	v_cndmask_b32_e64 v2, 0, 1.0, vcc
	s_branch .LBB30_214
.LBB30_213:
	s_mov_b64 s[16:17], -1
                                        ; implicit-def: $vgpr2
.LBB30_214:
	s_branch .LBB30_10
.LBB30_215:
	v_cmp_gt_i16_e32 vcc, 5, v8
	s_cbranch_vccnz .LBB30_220
; %bb.216:
	v_cmp_gt_i16_e32 vcc, 8, v8
	s_cbranch_vccnz .LBB30_221
; %bb.217:
	v_cmp_gt_i16_e32 vcc, 9, v8
	s_cbranch_vccnz .LBB30_222
; %bb.218:
	v_cmp_lt_i16_e32 vcc, 9, v8
	s_cbranch_vccz .LBB30_223
; %bb.219:
	global_load_dwordx2 v[2:3], v[0:1], off
	s_mov_b64 s[0:1], 0
	s_waitcnt vmcnt(0)
	v_cvt_f32_f64_e32 v2, v[2:3]
	s_branch .LBB30_224
.LBB30_220:
                                        ; implicit-def: $vgpr2
	s_branch .LBB30_242
.LBB30_221:
	s_mov_b64 s[0:1], -1
                                        ; implicit-def: $vgpr2
	s_branch .LBB30_230
.LBB30_222:
	s_mov_b64 s[0:1], -1
                                        ; implicit-def: $vgpr2
	s_branch .LBB30_227
.LBB30_223:
	s_mov_b64 s[0:1], -1
                                        ; implicit-def: $vgpr2
.LBB30_224:
	s_andn2_b64 vcc, exec, s[0:1]
	s_cbranch_vccnz .LBB30_226
; %bb.225:
	global_load_dword v2, v[0:1], off
.LBB30_226:
	s_mov_b64 s[0:1], 0
.LBB30_227:
	s_andn2_b64 vcc, exec, s[0:1]
	s_cbranch_vccnz .LBB30_229
; %bb.228:
	global_load_dword v2, v[0:1], off
	s_waitcnt vmcnt(0)
	v_cvt_f32_f16_e32 v2, v2
.LBB30_229:
	s_mov_b64 s[0:1], 0
.LBB30_230:
	s_andn2_b64 vcc, exec, s[0:1]
	s_cbranch_vccnz .LBB30_241
; %bb.231:
	v_cmp_gt_i16_e32 vcc, 6, v8
	s_cbranch_vccnz .LBB30_234
; %bb.232:
	v_cmp_lt_i16_e32 vcc, 6, v8
	s_cbranch_vccz .LBB30_235
; %bb.233:
	global_load_dwordx2 v[2:3], v[0:1], off
	s_mov_b64 s[0:1], 0
	s_waitcnt vmcnt(0)
	v_cvt_f32_f64_e32 v2, v[2:3]
	s_branch .LBB30_236
.LBB30_234:
	s_mov_b64 s[0:1], -1
                                        ; implicit-def: $vgpr2
	s_branch .LBB30_239
.LBB30_235:
	s_mov_b64 s[0:1], -1
                                        ; implicit-def: $vgpr2
.LBB30_236:
	s_andn2_b64 vcc, exec, s[0:1]
	s_cbranch_vccnz .LBB30_238
; %bb.237:
	global_load_dword v2, v[0:1], off
.LBB30_238:
	s_mov_b64 s[0:1], 0
.LBB30_239:
	s_andn2_b64 vcc, exec, s[0:1]
	s_cbranch_vccnz .LBB30_241
; %bb.240:
	global_load_ushort v2, v[0:1], off
	s_waitcnt vmcnt(0)
	v_cvt_f32_f16_e32 v2, v2
.LBB30_241:
	s_cbranch_execnz .LBB30_261
.LBB30_242:
	v_cmp_gt_i16_e32 vcc, 2, v8
	s_cbranch_vccnz .LBB30_246
; %bb.243:
	v_cmp_gt_i16_e32 vcc, 3, v8
	s_cbranch_vccnz .LBB30_247
; %bb.244:
	v_cmp_lt_i16_e32 vcc, 3, v8
	s_cbranch_vccz .LBB30_248
; %bb.245:
	global_load_dwordx2 v[2:3], v[0:1], off
	s_mov_b64 s[0:1], 0
	s_waitcnt vmcnt(0)
	v_xor_b32_e32 v5, v2, v3
	v_ffbh_i32_e32 v4, v3
	v_ashrrev_i32_e32 v5, 31, v5
	v_add_u32_e32 v4, -1, v4
	v_add_u32_e32 v5, 32, v5
	v_min_u32_e32 v4, v4, v5
	v_lshlrev_b64 v[2:3], v4, v[2:3]
	v_min_u32_e32 v2, 1, v2
	v_or_b32_e32 v2, v3, v2
	v_cvt_f32_i32_e32 v2, v2
	v_sub_u32_e32 v3, 32, v4
	v_ldexp_f32 v2, v2, v3
	s_branch .LBB30_249
.LBB30_246:
	s_mov_b64 s[0:1], -1
                                        ; implicit-def: $vgpr2
	s_branch .LBB30_255
.LBB30_247:
	s_mov_b64 s[0:1], -1
                                        ; implicit-def: $vgpr2
	s_branch .LBB30_252
.LBB30_248:
	s_mov_b64 s[0:1], -1
                                        ; implicit-def: $vgpr2
.LBB30_249:
	s_andn2_b64 vcc, exec, s[0:1]
	s_cbranch_vccnz .LBB30_251
; %bb.250:
	global_load_dword v2, v[0:1], off
	s_waitcnt vmcnt(0)
	v_cvt_f32_i32_e32 v2, v2
.LBB30_251:
	s_mov_b64 s[0:1], 0
.LBB30_252:
	s_andn2_b64 vcc, exec, s[0:1]
	s_cbranch_vccnz .LBB30_254
; %bb.253:
	global_load_sshort v2, v[0:1], off
	s_waitcnt vmcnt(0)
	v_cvt_f32_i32_e32 v2, v2
.LBB30_254:
	s_mov_b64 s[0:1], 0
.LBB30_255:
	s_andn2_b64 vcc, exec, s[0:1]
	s_cbranch_vccnz .LBB30_261
; %bb.256:
	v_cmp_lt_i16_e32 vcc, 0, v8
	s_cbranch_vccz .LBB30_258
; %bb.257:
	global_load_sbyte v2, v[0:1], off
	s_mov_b64 s[0:1], 0
	s_waitcnt vmcnt(0)
	v_cvt_f32_i32_e32 v2, v2
	s_branch .LBB30_259
.LBB30_258:
	s_mov_b64 s[0:1], -1
                                        ; implicit-def: $vgpr2
.LBB30_259:
	s_andn2_b64 vcc, exec, s[0:1]
	s_cbranch_vccnz .LBB30_261
; %bb.260:
	global_load_ubyte v0, v[0:1], off
	s_waitcnt vmcnt(0)
	v_cvt_f32_ubyte0_e32 v2, v0
.LBB30_261:
	s_branch .LBB30_11
.LBB30_262:
	s_mov_b64 s[0:1], 0
                                        ; implicit-def: $vgpr7
	s_mov_b64 s[20:21], 0
.LBB30_263:
	s_and_b64 s[14:15], s[0:1], exec
	s_and_b64 s[16:17], s[16:17], exec
	s_orn2_b64 s[20:21], s[20:21], exec
.LBB30_264:
	s_or_b64 exec, exec, s[18:19]
	s_mov_b64 s[24:25], 0
	s_mov_b64 s[0:1], 0
                                        ; implicit-def: $vgpr0_vgpr1
                                        ; implicit-def: $vgpr5
	s_and_saveexec_b64 s[18:19], s[20:21]
	s_cbranch_execz .LBB30_273
; %bb.265:
	v_cmp_gt_i32_e32 vcc, s33, v7
	s_mov_b64 s[0:1], -1
	s_mov_b64 s[20:21], s[16:17]
	s_mov_b64 s[22:23], s[14:15]
	s_and_saveexec_b64 s[24:25], vcc
	s_cbranch_execz .LBB30_537
; %bb.266:
	v_mul_lo_u32 v0, v7, s13
	v_ashrrev_i32_e32 v1, 31, v0
	s_waitcnt vmcnt(0)
	v_mov_b32_e32 v2, s11
	v_add_co_u32_e32 v0, vcc, s10, v0
	v_addc_co_u32_e32 v1, vcc, v2, v1, vcc
	v_cmp_gt_i16_e32 vcc, 11, v8
	s_cbranch_vccnz .LBB30_276
; %bb.267:
	v_cmp_lt_i16_e32 vcc, 25, v8
	s_cbranch_vccz .LBB30_297
; %bb.268:
	v_cmp_lt_i16_e32 vcc, 28, v8
	s_cbranch_vccz .LBB30_299
	;; [unrolled: 3-line block ×4, first 2 shown]
; %bb.271:
	v_cmp_eq_u16_e32 vcc, 46, v8
	s_mov_b64 s[22:23], 0
	s_cbranch_vccz .LBB30_309
; %bb.272:
	global_load_dword v2, v[0:1], off
	s_mov_b64 s[20:21], 0
	s_waitcnt vmcnt(0)
	v_lshlrev_b32_e32 v2, 16, v2
	s_branch .LBB30_310
.LBB30_273:
	s_or_b64 exec, exec, s[18:19]
	s_mov_b64 s[18:19], 0
	s_and_saveexec_b64 s[20:21], s[16:17]
	s_cbranch_execnz .LBB30_895
.LBB30_274:
	s_or_b64 exec, exec, s[20:21]
	s_and_saveexec_b64 s[16:17], s[22:23]
	s_xor_b64 s[16:17], exec, s[16:17]
	s_cbranch_execz .LBB30_896
.LBB30_275:
	global_load_ubyte v2, v[0:1], off
	s_or_b64 s[0:1], s[0:1], exec
	s_waitcnt vmcnt(0)
	v_cmp_ne_u16_e32 vcc, 0, v2
	v_cndmask_b32_e64 v5, 0, 1.0, vcc
	s_or_b64 exec, exec, s[16:17]
	s_and_saveexec_b64 s[16:17], s[24:25]
	s_cbranch_execz .LBB30_942
	s_branch .LBB30_897
.LBB30_276:
	s_mov_b64 s[0:1], 0
                                        ; implicit-def: $vgpr2
	s_mov_b64 s[20:21], s[16:17]
	s_cbranch_execnz .LBB30_487
.LBB30_277:
	s_andn2_b64 vcc, exec, s[0:1]
	s_cbranch_vccnz .LBB30_535
.LBB30_278:
	s_waitcnt vmcnt(0)
	v_trunc_f32_e32 v0, v2
	s_mov_b32 s0, 0x2f800000
	v_mul_f32_e64 v1, |v0|, s0
	v_floor_f32_e32 v1, v1
	s_mov_b32 s0, 0xcf800000
	v_cvt_u32_f32_e32 v2, v1
	v_fma_f32 v1, v1, s0, |v0|
	v_cvt_u32_f32_e32 v1, v1
	v_ashrrev_i32_e32 v0, 31, v0
	v_xor_b32_e32 v3, v2, v0
	v_xor_b32_e32 v1, v1, v0
	v_sub_co_u32_e32 v2, vcc, v1, v0
	v_subb_co_u32_e32 v3, vcc, v3, v0, vcc
	v_cmp_lt_i64_e32 vcc, -1, v[2:3]
	v_mov_b32_e32 v0, 0
	s_and_saveexec_b64 s[0:1], vcc
	s_cbranch_execz .LBB30_290
; %bb.279:
	v_cmp_lt_i64_e32 vcc, 0, v[2:3]
	v_mov_b32_e32 v0, 1.0
	s_and_saveexec_b64 s[22:23], vcc
	s_cbranch_execz .LBB30_289
; %bb.280:
	v_cmp_ne_u64_e32 vcc, 1, v[2:3]
                                        ; implicit-def: $vgpr0
	s_and_saveexec_b64 s[26:27], vcc
	s_xor_b64 s[26:27], exec, s[26:27]
	s_cbranch_execz .LBB30_286
; %bb.281:
	s_mov_b64 s[28:29], 0x81
	v_cmp_gt_u64_e32 vcc, s[28:29], v[2:3]
	v_mov_b32_e32 v0, 0x7fc00000
	s_and_saveexec_b64 s[28:29], vcc
	s_cbranch_execz .LBB30_285
; %bb.282:
	s_mov_b64 s[34:35], 1
	s_mov_b64 s[30:31], 0
	v_mov_b32_e32 v0, s2
	v_mov_b32_e32 v1, 1.0
.LBB30_283:                             ; =>This Inner Loop Header: Depth=1
	s_flbit_i32_b32 s36, s35
	s_min_u32 s38, s36, 32
	s_lshl_b64 s[36:37], s[34:35], s38
	s_min_u32 s36, s36, 1
	s_or_b32 s36, s37, s36
	v_cvt_f32_u32_e32 v4, s36
	s_sub_i32 s38, 32, s38
	s_add_u32 s34, s34, 1
	s_addc_u32 s35, s35, 0
	v_ldexp_f32 v4, v4, s38
	v_cmp_eq_u64_e32 vcc, s[34:35], v[2:3]
	v_mul_f32_e32 v4, v1, v4
	s_or_b64 s[30:31], vcc, s[30:31]
	v_mov_b32_e32 v1, v0
	v_fma_f32 v0, s2, v0, -v4
	s_andn2_b64 exec, exec, s[30:31]
	s_cbranch_execnz .LBB30_283
; %bb.284:
	s_or_b64 exec, exec, s[30:31]
.LBB30_285:
	s_or_b64 exec, exec, s[28:29]
.LBB30_286:
	s_andn2_saveexec_b64 s[26:27], s[26:27]
; %bb.287:
	v_mov_b32_e32 v0, s2
; %bb.288:
	s_or_b64 exec, exec, s[26:27]
.LBB30_289:
	s_or_b64 exec, exec, s[22:23]
.LBB30_290:
	s_or_b64 exec, exec, s[0:1]
	v_mul_lo_u32 v1, v7, s12
	v_ashrrev_i32_e32 v3, 31, v1
	v_mov_b32_e32 v4, s9
	v_add_co_u32_e32 v2, vcc, s8, v1
	v_mov_b32_e32 v1, 11
	v_addc_co_u32_e32 v3, vcc, v4, v3, vcc
	v_cmp_lt_i16_sdwa s[0:1], s3, v1 src0_sel:BYTE_0 src1_sel:DWORD
	s_and_b64 vcc, exec, s[0:1]
	s_cbranch_vccnz .LBB30_298
; %bb.291:
	v_mov_b32_e32 v1, 25
	v_cmp_gt_i16_sdwa s[0:1], s3, v1 src0_sel:BYTE_0 src1_sel:DWORD
	s_and_b64 vcc, exec, s[0:1]
	s_cbranch_vccz .LBB30_300
; %bb.292:
	v_mov_b32_e32 v1, 28
	v_cmp_gt_i16_sdwa s[0:1], s3, v1 src0_sel:BYTE_0 src1_sel:DWORD
	s_and_b64 vcc, exec, s[0:1]
	s_cbranch_vccz .LBB30_302
	;; [unrolled: 5-line block ×4, first 2 shown]
; %bb.295:
	v_mov_b32_e32 v1, 46
	v_cmp_eq_u16_sdwa s[22:23], s3, v1 src0_sel:BYTE_0 src1_sel:DWORD
	s_mov_b64 s[26:27], 0
	s_mov_b64 s[0:1], -1
	s_and_b64 vcc, exec, s[22:23]
	s_mov_b64 s[22:23], 0
	s_cbranch_vccz .LBB30_314
; %bb.296:
	v_bfe_u32 v1, v0, 16, 1
	s_movk_i32 s0, 0x7fff
	v_add3_u32 v1, v0, v1, s0
	v_lshrrev_b32_e32 v1, 16, v1
	v_mov_b32_e32 v4, 0x7fc0
	v_cmp_o_f32_e32 vcc, v0, v0
	v_cndmask_b32_e32 v1, v4, v1, vcc
	global_store_dword v[2:3], v1, off
	s_mov_b64 s[22:23], -1
	s_mov_b64 s[0:1], 0
	s_branch .LBB30_314
.LBB30_297:
	s_mov_b64 s[22:23], -1
	s_mov_b64 s[0:1], 0
	s_mov_b64 s[20:21], s[16:17]
                                        ; implicit-def: $vgpr2
	s_branch .LBB30_451
.LBB30_298:
	s_mov_b64 s[26:27], -1
	s_mov_b64 s[22:23], 0
	s_mov_b64 s[0:1], s[14:15]
	s_branch .LBB30_383
.LBB30_299:
	s_mov_b64 s[22:23], -1
	s_mov_b64 s[0:1], 0
	s_mov_b64 s[20:21], s[16:17]
                                        ; implicit-def: $vgpr2
	s_branch .LBB30_432
.LBB30_300:
	s_mov_b64 s[26:27], -1
	s_mov_b64 s[22:23], 0
	s_mov_b64 s[0:1], s[14:15]
	s_branch .LBB30_341
.LBB30_301:
	s_mov_b64 s[22:23], -1
	s_mov_b64 s[0:1], 0
	s_mov_b64 s[20:21], s[16:17]
                                        ; implicit-def: $vgpr2
	s_branch .LBB30_427
.LBB30_302:
	s_mov_b64 s[26:27], -1
	s_mov_b64 s[22:23], 0
	s_mov_b64 s[0:1], s[14:15]
	s_branch .LBB30_324
.LBB30_303:
	s_or_saveexec_b64 s[24:25], s[24:25]
                                        ; implicit-def: $sgpr26
	s_xor_b64 exec, exec, s[24:25]
	s_cbranch_execz .LBB30_67
.LBB30_304:
	s_mov_b32 s26, 0x46000000
	v_add_f32_e64 v1, |v0|, s26
	v_and_b32_e32 v1, 0xff, v1
	v_cmp_ne_u32_e32 vcc, 0, v1
	s_andn2_b64 s[20:21], s[20:21], exec
	s_and_b64 s[28:29], vcc, exec
	s_mov_b32 s26, 0
	s_or_b64 s[20:21], s[20:21], s[28:29]
	s_or_b64 exec, exec, s[24:25]
	v_mov_b32_e32 v4, s26
	s_and_saveexec_b64 s[24:25], s[20:21]
	s_cbranch_execnz .LBB30_68
	s_branch .LBB30_69
.LBB30_305:
	s_mov_b64 s[22:23], -1
	s_mov_b64 s[0:1], 0
	s_mov_b64 s[20:21], s[16:17]
                                        ; implicit-def: $vgpr2
	s_branch .LBB30_310
.LBB30_306:
	s_mov_b64 s[26:27], -1
	s_mov_b64 s[22:23], 0
	s_mov_b64 s[0:1], s[14:15]
	s_branch .LBB30_320
.LBB30_307:
	s_or_saveexec_b64 s[24:25], s[24:25]
                                        ; implicit-def: $sgpr26
	s_xor_b64 exec, exec, s[24:25]
	s_cbranch_execz .LBB30_80
.LBB30_308:
	s_mov_b32 s26, 0x42800000
	v_add_f32_e64 v1, |v0|, s26
	v_and_b32_e32 v1, 0xff, v1
	v_cmp_ne_u32_e32 vcc, 0, v1
	s_andn2_b64 s[20:21], s[20:21], exec
	s_and_b64 s[28:29], vcc, exec
	s_mov_b32 s26, 0
	s_or_b64 s[20:21], s[20:21], s[28:29]
	s_or_b64 exec, exec, s[24:25]
	v_mov_b32_e32 v4, s26
	s_and_saveexec_b64 s[24:25], s[20:21]
	s_cbranch_execnz .LBB30_81
	s_branch .LBB30_82
.LBB30_309:
	s_mov_b64 s[20:21], -1
                                        ; implicit-def: $vgpr2
	s_mov_b64 s[0:1], 0
.LBB30_310:
	s_and_b64 vcc, exec, s[22:23]
	s_cbranch_vccz .LBB30_426
; %bb.311:
	v_cmp_eq_u16_e32 vcc, 44, v8
	s_cbranch_vccz .LBB30_425
; %bb.312:
	global_load_ubyte v2, v[0:1], off
	s_movk_i32 s20, 0xff
	v_mov_b32_e32 v3, 0x7f800001
	v_mov_b32_e32 v4, 0x400000
	s_mov_b64 s[0:1], -1
	s_waitcnt vmcnt(0)
	v_lshlrev_b32_e32 v5, 23, v2
	v_cmp_ne_u32_e32 vcc, s20, v2
	v_cndmask_b32_e32 v3, v3, v5, vcc
	v_cmp_ne_u32_e32 vcc, 0, v2
	v_cndmask_b32_e32 v2, v4, v3, vcc
	s_mov_b64 s[20:21], 0
	s_branch .LBB30_426
.LBB30_313:
	s_mov_b64 s[26:27], -1
	s_mov_b64 s[22:23], 0
	s_mov_b64 s[0:1], s[14:15]
.LBB30_314:
	s_and_b64 vcc, exec, s[26:27]
	s_cbranch_vccz .LBB30_319
; %bb.315:
	v_mov_b32_e32 v1, 44
	v_cmp_eq_u16_sdwa s[26:27], s3, v1 src0_sel:BYTE_0 src1_sel:DWORD
	s_mov_b64 s[0:1], -1
	s_and_b64 vcc, exec, s[26:27]
	s_cbranch_vccz .LBB30_319
; %bb.316:
	v_bfe_u32 v1, v0, 23, 8
	s_movk_i32 s0, 0xff
	v_cmp_ne_u32_e32 vcc, s0, v1
	v_mov_b32_e32 v4, 0xff
	s_and_saveexec_b64 s[22:23], vcc
; %bb.317:
	s_mov_b32 s0, 0x3fffff
	v_and_b32_e32 v5, 0x400000, v0
	v_and_or_b32 v1, v0, s0, v1
	v_cmp_ne_u32_e32 vcc, 0, v5
	v_cmp_ne_u32_e64 s[0:1], 0, v1
	s_and_b64 s[0:1], vcc, s[0:1]
	v_lshrrev_b32_e32 v4, 23, v0
	v_cndmask_b32_e64 v1, 0, 1, s[0:1]
	v_add_u32_e32 v4, v4, v1
; %bb.318:
	s_or_b64 exec, exec, s[22:23]
	s_mov_b64 s[22:23], -1
	s_mov_b64 s[0:1], 0
	global_store_byte v[2:3], v4, off
.LBB30_319:
	s_mov_b64 s[26:27], 0
.LBB30_320:
	s_and_b64 vcc, exec, s[26:27]
	s_cbranch_vccz .LBB30_323
; %bb.321:
	v_mov_b32_e32 v1, 29
	v_cmp_eq_u16_sdwa s[26:27], s3, v1 src0_sel:BYTE_0 src1_sel:DWORD
	s_mov_b64 s[0:1], -1
	s_and_b64 vcc, exec, s[26:27]
	s_cbranch_vccz .LBB30_323
; %bb.322:
	v_trunc_f32_e32 v1, v0
	v_mul_f32_e32 v4, 0x2f800000, v1
	v_floor_f32_e32 v4, v4
	v_fmac_f32_e32 v1, 0xcf800000, v4
	v_cvt_u32_f32_e32 v5, v4
	v_cvt_u32_f32_e32 v4, v1
	s_mov_b64 s[22:23], -1
	s_mov_b64 s[0:1], 0
	s_mov_b64 s[26:27], 0
	global_store_dwordx2 v[2:3], v[4:5], off
	s_branch .LBB30_324
.LBB30_323:
	s_mov_b64 s[26:27], 0
.LBB30_324:
	s_and_b64 vcc, exec, s[26:27]
	s_cbranch_vccz .LBB30_340
; %bb.325:
	v_mov_b32_e32 v1, 27
	v_cmp_lt_i16_sdwa s[26:27], s3, v1 src0_sel:BYTE_0 src1_sel:DWORD
	s_mov_b64 s[22:23], -1
	s_and_b64 vcc, exec, s[26:27]
	s_cbranch_vccnz .LBB30_331
; %bb.326:
	v_cmp_gt_i16_sdwa s[26:27], s3, v1 src0_sel:BYTE_0 src1_sel:DWORD
	v_cvt_u32_f32_e32 v1, v0
	s_and_b64 vcc, exec, s[26:27]
	s_cbranch_vccz .LBB30_328
; %bb.327:
	s_mov_b64 s[22:23], 0
	global_store_dword v[2:3], v1, off
.LBB30_328:
	s_andn2_b64 vcc, exec, s[22:23]
	s_cbranch_vccnz .LBB30_330
; %bb.329:
	global_store_short v[2:3], v1, off
.LBB30_330:
	s_mov_b64 s[22:23], 0
.LBB30_331:
	s_andn2_b64 vcc, exec, s[22:23]
	s_cbranch_vccnz .LBB30_339
; %bb.332:
	v_and_b32_e32 v1, 0x7fffffff, v0
	s_mov_b32 s22, 0x43800000
	v_cmp_gt_u32_e32 vcc, s22, v1
	v_mov_b32_e32 v4, 0x80
	s_and_saveexec_b64 s[22:23], vcc
	s_cbranch_execz .LBB30_338
; %bb.333:
	s_mov_b32 s26, 0x3bffffff
	v_cmp_lt_u32_e32 vcc, s26, v1
	s_mov_b64 s[26:27], 0
                                        ; implicit-def: $vgpr1
	s_and_saveexec_b64 s[28:29], vcc
	s_xor_b64 s[28:29], exec, s[28:29]
	s_cbranch_execz .LBB30_550
; %bb.334:
	v_bfe_u32 v1, v0, 20, 1
	s_mov_b32 s30, 0x487ffff
	v_add3_u32 v1, v0, v1, s30
	s_mov_b64 s[26:27], exec
	v_lshrrev_b32_e32 v1, 20, v1
	s_or_saveexec_b64 s[28:29], s[28:29]
                                        ; implicit-def: $sgpr30
	s_xor_b64 exec, exec, s[28:29]
	s_cbranch_execnz .LBB30_551
.LBB30_335:
	s_or_b64 exec, exec, s[28:29]
	v_mov_b32_e32 v4, s30
	s_and_saveexec_b64 s[28:29], s[26:27]
.LBB30_336:
	v_lshrrev_b32_e32 v4, 24, v0
	s_movk_i32 s26, 0x80
	v_and_or_b32 v4, v4, s26, v1
.LBB30_337:
	s_or_b64 exec, exec, s[28:29]
.LBB30_338:
	s_or_b64 exec, exec, s[22:23]
	global_store_byte v[2:3], v4, off
.LBB30_339:
	s_mov_b64 s[22:23], -1
.LBB30_340:
	s_mov_b64 s[26:27], 0
.LBB30_341:
	s_and_b64 vcc, exec, s[26:27]
	s_cbranch_vccz .LBB30_382
; %bb.342:
	v_mov_b32_e32 v1, 22
	v_cmp_gt_i16_sdwa s[28:29], s3, v1 src0_sel:BYTE_0 src1_sel:DWORD
	s_mov_b64 s[26:27], -1
	s_and_b64 vcc, exec, s[28:29]
	s_cbranch_vccz .LBB30_374
; %bb.343:
	v_mov_b32_e32 v1, 24
	v_cmp_lt_i16_sdwa s[26:27], s3, v1 src0_sel:BYTE_0 src1_sel:DWORD
	s_mov_b64 s[22:23], -1
	s_and_b64 vcc, exec, s[26:27]
	s_cbranch_vccnz .LBB30_363
; %bb.344:
	v_cmp_gt_i16_sdwa s[26:27], s3, v1 src0_sel:BYTE_0 src1_sel:DWORD
	s_and_b64 vcc, exec, s[26:27]
	s_cbranch_vccz .LBB30_352
; %bb.345:
	v_and_b32_e32 v1, 0x7fffffff, v0
	s_mov_b32 s22, 0x47800000
	v_cmp_gt_u32_e32 vcc, s22, v1
	v_mov_b32_e32 v4, 0x80
	s_and_saveexec_b64 s[22:23], vcc
	s_cbranch_execz .LBB30_351
; %bb.346:
	s_mov_b32 s26, 0x37ffffff
	v_cmp_lt_u32_e32 vcc, s26, v1
	s_mov_b64 s[26:27], 0
                                        ; implicit-def: $vgpr1
	s_and_saveexec_b64 s[28:29], vcc
	s_xor_b64 s[28:29], exec, s[28:29]
	s_cbranch_execz .LBB30_553
; %bb.347:
	v_bfe_u32 v1, v0, 21, 1
	s_mov_b32 s30, 0x88fffff
	v_add3_u32 v1, v0, v1, s30
	s_mov_b64 s[26:27], exec
	v_lshrrev_b32_e32 v1, 21, v1
	s_or_saveexec_b64 s[28:29], s[28:29]
                                        ; implicit-def: $sgpr30
	s_xor_b64 exec, exec, s[28:29]
	s_cbranch_execnz .LBB30_554
.LBB30_348:
	s_or_b64 exec, exec, s[28:29]
	v_mov_b32_e32 v4, s30
	s_and_saveexec_b64 s[28:29], s[26:27]
.LBB30_349:
	v_lshrrev_b32_e32 v4, 24, v0
	s_movk_i32 s26, 0x80
	v_and_or_b32 v4, v4, s26, v1
.LBB30_350:
	s_or_b64 exec, exec, s[28:29]
.LBB30_351:
	s_or_b64 exec, exec, s[22:23]
	s_mov_b64 s[22:23], 0
	global_store_byte v[2:3], v4, off
.LBB30_352:
	s_and_b64 vcc, exec, s[22:23]
	s_cbranch_vccz .LBB30_362
; %bb.353:
	v_and_b32_e32 v4, 0x7fffffff, v0
	s_mov_b32 s22, 0x43f00000
	v_cmp_gt_u32_e32 vcc, s22, v4
                                        ; implicit-def: $vgpr1
	s_and_saveexec_b64 s[22:23], vcc
	s_xor_b64 s[22:23], exec, s[22:23]
	s_cbranch_execz .LBB30_359
; %bb.354:
	s_mov_b32 s26, 0x3c7fffff
	v_cmp_lt_u32_e32 vcc, s26, v4
                                        ; implicit-def: $vgpr1
	s_and_saveexec_b64 s[26:27], vcc
	s_xor_b64 s[26:27], exec, s[26:27]
; %bb.355:
	v_bfe_u32 v1, v0, 20, 1
	s_mov_b32 s28, 0x407ffff
	v_add3_u32 v1, v0, v1, s28
	v_lshrrev_b32_e32 v4, 20, v1
	v_and_b32_e32 v1, 0xff00000, v1
	s_mov_b32 s28, 0x7f00000
	v_mov_b32_e32 v5, 0x7e
	v_cmp_ne_u32_e32 vcc, s28, v1
	v_cndmask_b32_e32 v1, v5, v4, vcc
; %bb.356:
	s_andn2_saveexec_b64 s[26:27], s[26:27]
; %bb.357:
	s_mov_b32 s28, 0x46800000
	v_add_f32_e64 v1, |v0|, s28
; %bb.358:
	s_or_b64 exec, exec, s[26:27]
                                        ; implicit-def: $vgpr4
.LBB30_359:
	s_andn2_saveexec_b64 s[22:23], s[22:23]
; %bb.360:
	s_mov_b32 s26, 0x7f800000
	v_mov_b32_e32 v1, 0x7e
	v_mov_b32_e32 v5, 0x7f
	v_cmp_lt_u32_e32 vcc, s26, v4
	v_cndmask_b32_e32 v1, v1, v5, vcc
; %bb.361:
	s_or_b64 exec, exec, s[22:23]
	v_lshrrev_b32_e32 v4, 24, v0
	s_movk_i32 s22, 0x80
	v_and_or_b32 v1, v4, s22, v1
	global_store_byte v[2:3], v1, off
.LBB30_362:
	s_mov_b64 s[22:23], 0
.LBB30_363:
	s_andn2_b64 vcc, exec, s[22:23]
	s_cbranch_vccnz .LBB30_373
; %bb.364:
	v_and_b32_e32 v4, 0x7fffffff, v0
	s_mov_b32 s22, 0x47800000
	v_cmp_gt_u32_e32 vcc, s22, v4
                                        ; implicit-def: $vgpr1
	s_and_saveexec_b64 s[22:23], vcc
	s_xor_b64 s[22:23], exec, s[22:23]
	s_cbranch_execz .LBB30_370
; %bb.365:
	s_mov_b32 s26, 0x387fffff
	v_cmp_lt_u32_e32 vcc, s26, v4
                                        ; implicit-def: $vgpr1
	s_and_saveexec_b64 s[26:27], vcc
	s_xor_b64 s[26:27], exec, s[26:27]
; %bb.366:
	v_bfe_u32 v1, v0, 21, 1
	s_mov_b32 s28, 0x80fffff
	v_add3_u32 v1, v0, v1, s28
	v_lshrrev_b32_e32 v1, 21, v1
; %bb.367:
	s_andn2_saveexec_b64 s[26:27], s[26:27]
; %bb.368:
	s_mov_b32 s28, 0x43000000
	v_add_f32_e64 v1, |v0|, s28
; %bb.369:
	s_or_b64 exec, exec, s[26:27]
                                        ; implicit-def: $vgpr4
.LBB30_370:
	s_andn2_saveexec_b64 s[22:23], s[22:23]
; %bb.371:
	s_mov_b32 s26, 0x7f800000
	v_mov_b32_e32 v1, 0x7c
	v_mov_b32_e32 v5, 0x7f
	v_cmp_lt_u32_e32 vcc, s26, v4
	v_cndmask_b32_e32 v1, v1, v5, vcc
; %bb.372:
	s_or_b64 exec, exec, s[22:23]
	v_lshrrev_b32_e32 v4, 24, v0
	s_movk_i32 s22, 0x80
	v_and_or_b32 v1, v4, s22, v1
	global_store_byte v[2:3], v1, off
.LBB30_373:
	s_mov_b64 s[26:27], 0
	s_mov_b64 s[22:23], -1
.LBB30_374:
	s_andn2_b64 vcc, exec, s[26:27]
	s_cbranch_vccnz .LBB30_382
; %bb.375:
	v_mov_b32_e32 v1, 14
	v_cmp_gt_i16_sdwa s[28:29], s3, v1 src0_sel:BYTE_0 src1_sel:DWORD
	s_mov_b64 s[26:27], -1
	s_and_b64 vcc, exec, s[28:29]
	s_cbranch_vccz .LBB30_379
; %bb.376:
	v_mov_b32_e32 v1, 15
	v_cmp_eq_u16_sdwa s[26:27], s3, v1 src0_sel:BYTE_0 src1_sel:DWORD
	s_mov_b64 s[0:1], -1
	s_and_b64 vcc, exec, s[26:27]
	s_cbranch_vccz .LBB30_378
; %bb.377:
	v_bfe_u32 v1, v0, 16, 1
	s_movk_i32 s0, 0x7fff
	v_add3_u32 v1, v0, v1, s0
	v_lshrrev_b32_e32 v1, 16, v1
	v_mov_b32_e32 v4, 0x7fc0
	v_cmp_o_f32_e32 vcc, v0, v0
	v_cndmask_b32_e32 v1, v4, v1, vcc
	global_store_short v[2:3], v1, off
	s_mov_b64 s[22:23], -1
	s_mov_b64 s[0:1], 0
.LBB30_378:
	s_mov_b64 s[26:27], 0
.LBB30_379:
	s_and_b64 vcc, exec, s[26:27]
	s_cbranch_vccz .LBB30_382
; %bb.380:
	v_mov_b32_e32 v1, 11
	v_cmp_eq_u16_sdwa s[26:27], s3, v1 src0_sel:BYTE_0 src1_sel:DWORD
	s_mov_b64 s[0:1], -1
	s_and_b64 vcc, exec, s[26:27]
	s_cbranch_vccz .LBB30_382
; %bb.381:
	v_cmp_neq_f32_e32 vcc, 0, v0
	v_cndmask_b32_e64 v1, 0, 1, vcc
	s_mov_b64 s[22:23], -1
	s_mov_b64 s[0:1], 0
	global_store_byte v[2:3], v1, off
.LBB30_382:
	s_mov_b64 s[26:27], 0
.LBB30_383:
	s_and_b64 vcc, exec, s[26:27]
	s_cbranch_vccz .LBB30_422
; %bb.384:
	v_mov_b32_e32 v1, 5
	v_cmp_lt_i16_sdwa s[26:27], s3, v1 src0_sel:BYTE_0 src1_sel:DWORD
	s_mov_b64 s[22:23], -1
	s_and_b64 vcc, exec, s[26:27]
	s_cbranch_vccnz .LBB30_405
; %bb.385:
	v_mov_b32_e32 v1, 8
	v_cmp_lt_i16_sdwa s[26:27], s3, v1 src0_sel:BYTE_0 src1_sel:DWORD
	s_and_b64 vcc, exec, s[26:27]
	s_cbranch_vccnz .LBB30_395
; %bb.386:
	v_mov_b32_e32 v1, 9
	v_cmp_lt_i16_sdwa s[26:27], s3, v1 src0_sel:BYTE_0 src1_sel:DWORD
	s_and_b64 vcc, exec, s[26:27]
	s_cbranch_vccnz .LBB30_392
; %bb.387:
	v_cmp_gt_i16_sdwa s[26:27], s3, v1 src0_sel:BYTE_0 src1_sel:DWORD
	s_and_b64 vcc, exec, s[26:27]
	s_cbranch_vccz .LBB30_389
; %bb.388:
	v_mov_b32_e32 v12, 0
	v_cvt_f64_f32_e32 v[10:11], v0
	v_mov_b32_e32 v13, v12
	s_mov_b64 s[22:23], 0
	global_store_dwordx4 v[2:3], v[10:13], off
.LBB30_389:
	s_andn2_b64 vcc, exec, s[22:23]
	s_cbranch_vccnz .LBB30_391
; %bb.390:
	v_mov_b32_e32 v1, 0
	global_store_dwordx2 v[2:3], v[0:1], off
.LBB30_391:
	s_mov_b64 s[22:23], 0
.LBB30_392:
	s_andn2_b64 vcc, exec, s[22:23]
	s_cbranch_vccnz .LBB30_394
; %bb.393:
	v_cvt_f16_f32_e32 v1, v0
	global_store_dword v[2:3], v1, off
.LBB30_394:
	s_mov_b64 s[22:23], 0
.LBB30_395:
	s_andn2_b64 vcc, exec, s[22:23]
	s_cbranch_vccnz .LBB30_404
; %bb.396:
	v_mov_b32_e32 v1, 6
	v_cmp_lt_i16_sdwa s[26:27], s3, v1 src0_sel:BYTE_0 src1_sel:DWORD
	s_mov_b64 s[22:23], -1
	s_and_b64 vcc, exec, s[26:27]
	s_cbranch_vccnz .LBB30_402
; %bb.397:
	v_cmp_gt_i16_sdwa s[26:27], s3, v1 src0_sel:BYTE_0 src1_sel:DWORD
	s_and_b64 vcc, exec, s[26:27]
	s_cbranch_vccz .LBB30_399
; %bb.398:
	v_cvt_f64_f32_e32 v[4:5], v0
	s_mov_b64 s[22:23], 0
	global_store_dwordx2 v[2:3], v[4:5], off
.LBB30_399:
	s_andn2_b64 vcc, exec, s[22:23]
	s_cbranch_vccnz .LBB30_401
; %bb.400:
	global_store_dword v[2:3], v0, off
.LBB30_401:
	s_mov_b64 s[22:23], 0
.LBB30_402:
	s_andn2_b64 vcc, exec, s[22:23]
	s_cbranch_vccnz .LBB30_404
; %bb.403:
	v_cvt_f16_f32_e32 v1, v0
	global_store_short v[2:3], v1, off
.LBB30_404:
	s_mov_b64 s[22:23], 0
.LBB30_405:
	s_andn2_b64 vcc, exec, s[22:23]
	s_cbranch_vccnz .LBB30_421
; %bb.406:
	v_mov_b32_e32 v1, 2
	v_cmp_lt_i16_sdwa s[26:27], s3, v1 src0_sel:BYTE_0 src1_sel:DWORD
	s_mov_b64 s[22:23], -1
	s_and_b64 vcc, exec, s[26:27]
	s_cbranch_vccnz .LBB30_416
; %bb.407:
	v_mov_b32_e32 v1, 3
	v_cmp_lt_i16_sdwa s[26:27], s3, v1 src0_sel:BYTE_0 src1_sel:DWORD
	s_and_b64 vcc, exec, s[26:27]
	s_cbranch_vccnz .LBB30_413
; %bb.408:
	v_cmp_gt_i16_sdwa s[26:27], s3, v1 src0_sel:BYTE_0 src1_sel:DWORD
	s_and_b64 vcc, exec, s[26:27]
	s_cbranch_vccz .LBB30_410
; %bb.409:
	v_trunc_f32_e32 v1, v0
	s_mov_b32 s22, 0x2f800000
	v_mul_f32_e64 v4, |v1|, s22
	v_floor_f32_e32 v4, v4
	s_mov_b32 s22, 0xcf800000
	v_cvt_u32_f32_e32 v5, v4
	v_fma_f32 v4, v4, s22, |v1|
	v_cvt_u32_f32_e32 v4, v4
	v_ashrrev_i32_e32 v1, 31, v1
	v_xor_b32_e32 v5, v5, v1
	s_mov_b64 s[22:23], 0
	v_xor_b32_e32 v4, v4, v1
	v_sub_co_u32_e32 v4, vcc, v4, v1
	v_subb_co_u32_e32 v5, vcc, v5, v1, vcc
	global_store_dwordx2 v[2:3], v[4:5], off
.LBB30_410:
	s_andn2_b64 vcc, exec, s[22:23]
	s_cbranch_vccnz .LBB30_412
; %bb.411:
	v_cvt_i32_f32_e32 v1, v0
	global_store_dword v[2:3], v1, off
.LBB30_412:
	s_mov_b64 s[22:23], 0
.LBB30_413:
	s_andn2_b64 vcc, exec, s[22:23]
	s_cbranch_vccnz .LBB30_415
; %bb.414:
	v_cvt_i32_f32_e32 v1, v0
	global_store_short v[2:3], v1, off
.LBB30_415:
	s_mov_b64 s[22:23], 0
.LBB30_416:
	s_andn2_b64 vcc, exec, s[22:23]
	s_cbranch_vccnz .LBB30_421
; %bb.417:
	v_mov_b32_e32 v1, 0
	v_cmp_gt_i16_sdwa s[26:27], s3, v1 src0_sel:BYTE_0 src1_sel:DWORD
	s_mov_b64 s[22:23], -1
	s_and_b64 vcc, exec, s[26:27]
	s_cbranch_vccz .LBB30_419
; %bb.418:
	v_cvt_i32_f32_e32 v1, v0
	s_mov_b64 s[22:23], 0
	global_store_byte v[2:3], v1, off
.LBB30_419:
	s_andn2_b64 vcc, exec, s[22:23]
	s_cbranch_vccnz .LBB30_421
; %bb.420:
	v_trunc_f32_e32 v0, v0
	s_mov_b32 s22, 0x2f800000
	v_mul_f32_e64 v1, |v0|, s22
	v_floor_f32_e32 v1, v1
	s_mov_b32 s22, 0xcf800000
	v_fma_f32 v1, v1, s22, |v0|
	v_cvt_u32_f32_e32 v1, v1
	v_ashrrev_i32_e32 v0, 31, v0
	v_xor_b32_e32 v1, v1, v0
	v_sub_u32_e32 v0, v1, v0
	global_store_byte v[2:3], v0, off
.LBB30_421:
	s_mov_b64 s[22:23], -1
.LBB30_422:
	s_andn2_b64 vcc, exec, s[22:23]
	s_cbranch_vccnz .LBB30_424
; %bb.423:
	v_add_u32_e32 v7, 0x80, v7
	s_mov_b64 s[26:27], -1
	s_branch .LBB30_536
.LBB30_424:
	s_mov_b64 s[26:27], 0
                                        ; implicit-def: $vgpr7
	s_branch .LBB30_536
.LBB30_425:
	s_mov_b64 s[20:21], -1
                                        ; implicit-def: $vgpr2
.LBB30_426:
	s_mov_b64 s[22:23], 0
.LBB30_427:
	s_and_b64 vcc, exec, s[22:23]
	s_cbranch_vccz .LBB30_431
; %bb.428:
	v_cmp_eq_u16_e32 vcc, 29, v8
	s_cbranch_vccz .LBB30_430
; %bb.429:
	global_load_dwordx2 v[2:3], v[0:1], off
	s_mov_b64 s[0:1], -1
	s_mov_b64 s[20:21], 0
	s_mov_b64 s[22:23], 0
	s_waitcnt vmcnt(0)
	v_ffbh_u32_e32 v4, v3
	v_min_u32_e32 v4, 32, v4
	v_lshlrev_b64 v[2:3], v4, v[2:3]
	v_min_u32_e32 v2, 1, v2
	v_or_b32_e32 v2, v3, v2
	v_cvt_f32_u32_e32 v2, v2
	v_sub_u32_e32 v3, 32, v4
	v_ldexp_f32 v2, v2, v3
	s_branch .LBB30_432
.LBB30_430:
	s_mov_b64 s[20:21], -1
                                        ; implicit-def: $vgpr2
.LBB30_431:
	s_mov_b64 s[22:23], 0
.LBB30_432:
	s_and_b64 vcc, exec, s[22:23]
	s_cbranch_vccz .LBB30_450
; %bb.433:
	v_cmp_gt_i16_e32 vcc, 27, v8
	s_cbranch_vccnz .LBB30_436
; %bb.434:
	v_cmp_lt_i16_e32 vcc, 27, v8
	s_cbranch_vccz .LBB30_437
; %bb.435:
	global_load_dword v2, v[0:1], off
	s_mov_b64 s[0:1], 0
	s_waitcnt vmcnt(0)
	v_cvt_f32_u32_e32 v2, v2
	s_branch .LBB30_438
.LBB30_436:
	s_mov_b64 s[0:1], -1
                                        ; implicit-def: $vgpr2
	s_branch .LBB30_441
.LBB30_437:
	s_mov_b64 s[0:1], -1
                                        ; implicit-def: $vgpr2
.LBB30_438:
	s_andn2_b64 vcc, exec, s[0:1]
	s_cbranch_vccnz .LBB30_440
; %bb.439:
	global_load_ushort v2, v[0:1], off
	s_waitcnt vmcnt(0)
	v_cvt_f32_u32_e32 v2, v2
.LBB30_440:
	s_mov_b64 s[0:1], 0
.LBB30_441:
	s_andn2_b64 vcc, exec, s[0:1]
	s_cbranch_vccnz .LBB30_449
; %bb.442:
	global_load_ubyte v3, v[0:1], off
	s_movk_i32 s0, 0x7f
                                        ; implicit-def: $sgpr28
	s_waitcnt vmcnt(0)
	v_cmp_lt_i16_e32 vcc, s0, v3
	s_mov_b64 s[0:1], 0
	s_and_saveexec_b64 s[22:23], vcc
	s_xor_b64 s[22:23], exec, s[22:23]
	s_cbranch_execz .LBB30_463
; %bb.443:
	s_movk_i32 s0, 0x80
	v_cmp_eq_u16_e32 vcc, s0, v3
	s_mov_b64 s[0:1], -1
                                        ; implicit-def: $sgpr28
	s_and_saveexec_b64 s[26:27], vcc
; %bb.444:
	s_mov_b32 s28, 0x7f800001
	s_xor_b64 s[0:1], exec, -1
; %bb.445:
	s_or_b64 exec, exec, s[26:27]
	s_and_b64 s[0:1], s[0:1], exec
	s_or_saveexec_b64 s[22:23], s[22:23]
	v_mov_b32_e32 v2, s28
	s_xor_b64 exec, exec, s[22:23]
	s_cbranch_execnz .LBB30_464
.LBB30_446:
	s_or_b64 exec, exec, s[22:23]
	s_and_saveexec_b64 s[22:23], s[0:1]
	s_cbranch_execz .LBB30_448
.LBB30_447:
	v_lshlrev_b32_e32 v2, 24, v3
	v_and_b32_e32 v3, 0xffff, v3
	v_and_b32_e32 v4, 7, v3
	v_ffbh_u32_e32 v6, v4
	v_min_u32_e32 v6, 32, v6
	v_subrev_u32_e32 v9, 28, v6
	v_bfe_u32 v5, v3, 3, 4
	v_lshlrev_b32_e32 v3, v9, v3
	v_sub_u32_e32 v6, 29, v6
	v_and_b32_e32 v3, 7, v3
	v_cmp_eq_u32_e32 vcc, 0, v5
	v_cndmask_b32_e32 v5, v5, v6, vcc
	v_cndmask_b32_e32 v3, v4, v3, vcc
	v_mov_b32_e32 v4, 0x3b800000
	v_lshlrev_b32_e32 v3, 20, v3
	v_and_b32_e32 v2, 0x80000000, v2
	v_lshl_add_u32 v4, v5, 23, v4
	v_or3_b32 v2, v2, v4, v3
.LBB30_448:
	s_or_b64 exec, exec, s[22:23]
.LBB30_449:
	s_mov_b64 s[0:1], -1
.LBB30_450:
	s_mov_b64 s[22:23], 0
.LBB30_451:
	s_and_b64 vcc, exec, s[22:23]
	s_cbranch_vccz .LBB30_486
; %bb.452:
	v_cmp_lt_i16_e32 vcc, 22, v8
	s_cbranch_vccz .LBB30_462
; %bb.453:
	v_cmp_gt_i16_e32 vcc, 24, v8
	s_cbranch_vccnz .LBB30_465
; %bb.454:
	v_cmp_lt_i16_e32 vcc, 24, v8
	s_cbranch_vccz .LBB30_466
; %bb.455:
	global_load_ubyte v3, v[0:1], off
	s_movk_i32 s0, 0x7f
                                        ; implicit-def: $sgpr28
	s_waitcnt vmcnt(0)
	v_cmp_lt_i16_e32 vcc, s0, v3
	s_mov_b64 s[0:1], 0
	s_and_saveexec_b64 s[22:23], vcc
	s_xor_b64 s[22:23], exec, s[22:23]
	s_cbranch_execz .LBB30_478
; %bb.456:
	s_movk_i32 s0, 0x80
	v_cmp_eq_u16_e32 vcc, s0, v3
	s_mov_b64 s[0:1], -1
                                        ; implicit-def: $sgpr28
	s_and_saveexec_b64 s[26:27], vcc
; %bb.457:
	s_mov_b32 s28, 0x7f800001
	s_xor_b64 s[0:1], exec, -1
; %bb.458:
	s_or_b64 exec, exec, s[26:27]
	s_and_b64 s[0:1], s[0:1], exec
	s_or_saveexec_b64 s[22:23], s[22:23]
	v_mov_b32_e32 v2, s28
	s_xor_b64 exec, exec, s[22:23]
	s_cbranch_execnz .LBB30_479
.LBB30_459:
	s_or_b64 exec, exec, s[22:23]
	s_and_saveexec_b64 s[22:23], s[0:1]
	s_cbranch_execz .LBB30_461
.LBB30_460:
	v_lshlrev_b32_e32 v2, 24, v3
	v_and_b32_e32 v3, 0xffff, v3
	v_and_b32_e32 v4, 3, v3
	v_ffbh_u32_e32 v6, v4
	v_min_u32_e32 v6, 32, v6
	v_subrev_u32_e32 v9, 29, v6
	v_bfe_u32 v5, v3, 2, 5
	v_lshlrev_b32_e32 v3, v9, v3
	v_sub_u32_e32 v6, 30, v6
	v_and_b32_e32 v3, 3, v3
	v_cmp_eq_u32_e32 vcc, 0, v5
	v_cndmask_b32_e32 v5, v5, v6, vcc
	v_cndmask_b32_e32 v3, v4, v3, vcc
	v_mov_b32_e32 v4, 0x37800000
	v_lshlrev_b32_e32 v3, 21, v3
	v_and_b32_e32 v2, 0x80000000, v2
	v_lshl_add_u32 v4, v5, 23, v4
	v_or3_b32 v2, v2, v4, v3
.LBB30_461:
	s_or_b64 exec, exec, s[22:23]
	s_mov_b64 s[0:1], 0
	s_branch .LBB30_467
.LBB30_462:
	s_mov_b64 s[22:23], -1
                                        ; implicit-def: $vgpr2
	s_branch .LBB30_473
.LBB30_463:
	s_or_saveexec_b64 s[22:23], s[22:23]
	v_mov_b32_e32 v2, s28
	s_xor_b64 exec, exec, s[22:23]
	s_cbranch_execz .LBB30_446
.LBB30_464:
	v_cmp_ne_u16_e32 vcc, 0, v3
	s_andn2_b64 s[0:1], s[0:1], exec
	s_and_b64 s[26:27], vcc, exec
	v_mov_b32_e32 v2, 0
	s_or_b64 s[0:1], s[0:1], s[26:27]
	s_or_b64 exec, exec, s[22:23]
	s_and_saveexec_b64 s[22:23], s[0:1]
	s_cbranch_execnz .LBB30_447
	s_branch .LBB30_448
.LBB30_465:
	s_mov_b64 s[0:1], -1
                                        ; implicit-def: $vgpr2
	s_branch .LBB30_470
.LBB30_466:
	s_mov_b64 s[0:1], -1
                                        ; implicit-def: $vgpr2
.LBB30_467:
	s_and_b64 vcc, exec, s[0:1]
	s_cbranch_vccz .LBB30_469
; %bb.468:
	global_load_ubyte v2, v[0:1], off
	s_mov_b32 s0, 0x7f800000
	s_waitcnt vmcnt(0)
	v_lshlrev_b32_e32 v2, 24, v2
	v_and_b32_e32 v3, 0x7f000000, v2
	v_ffbh_u32_e32 v4, v3
	v_min_u32_e32 v4, 32, v4
	v_sub_u32_e64 v4, v4, 4 clamp
	v_lshlrev_b32_e32 v6, v4, v3
	v_lshlrev_b32_e32 v4, 23, v4
	v_lshrrev_b32_e32 v6, 4, v6
	v_add_u32_e32 v5, 0x1000000, v3
	v_sub_u32_e32 v4, v6, v4
	v_ashrrev_i32_e32 v5, 8, v5
	v_add_u32_e32 v4, 0x3c000000, v4
	v_and_or_b32 v4, v5, s0, v4
	v_cmp_ne_u32_e32 vcc, 0, v3
	v_cndmask_b32_e32 v3, 0, v4, vcc
	s_brev_b32 s0, 1
	v_and_or_b32 v2, v2, s0, v3
.LBB30_469:
	s_mov_b64 s[0:1], 0
.LBB30_470:
	s_andn2_b64 vcc, exec, s[0:1]
	s_cbranch_vccnz .LBB30_472
; %bb.471:
	global_load_ubyte v2, v[0:1], off
	s_movk_i32 s0, 0x7f00
	s_brev_b32 s1, 16
	s_waitcnt vmcnt(0)
	v_lshlrev_b16_e32 v3, 8, v2
	v_lshlrev_b32_e32 v2, 25, v2
	v_lshrrev_b32_e32 v4, 4, v2
	v_and_or_b32 v5, v3, s0, 0.5
	v_or_b32_e32 v4, 0x70000000, v4
	v_add_f32_e32 v5, -0.5, v5
	v_mul_f32_e32 v4, 0x7800000, v4
	v_cmp_gt_u32_e32 vcc, s1, v2
	v_bfe_i32 v3, v3, 0, 16
	v_cndmask_b32_e32 v2, v4, v5, vcc
	s_brev_b32 s0, 1
	v_and_or_b32 v2, v3, s0, v2
.LBB30_472:
	s_mov_b64 s[22:23], 0
	s_mov_b64 s[0:1], -1
.LBB30_473:
	s_andn2_b64 vcc, exec, s[22:23]
	s_cbranch_vccnz .LBB30_486
; %bb.474:
	v_cmp_lt_i16_e32 vcc, 14, v8
	s_cbranch_vccz .LBB30_477
; %bb.475:
	v_cmp_eq_u16_e32 vcc, 15, v8
	s_cbranch_vccz .LBB30_480
; %bb.476:
	global_load_ushort v2, v[0:1], off
	s_mov_b64 s[0:1], -1
	s_mov_b64 s[20:21], 0
	s_waitcnt vmcnt(0)
	v_lshlrev_b32_e32 v2, 16, v2
	s_branch .LBB30_481
.LBB30_477:
	s_mov_b64 s[22:23], -1
                                        ; implicit-def: $vgpr2
	s_branch .LBB30_482
.LBB30_478:
	s_or_saveexec_b64 s[22:23], s[22:23]
	v_mov_b32_e32 v2, s28
	s_xor_b64 exec, exec, s[22:23]
	s_cbranch_execz .LBB30_459
.LBB30_479:
	v_cmp_ne_u16_e32 vcc, 0, v3
	s_andn2_b64 s[0:1], s[0:1], exec
	s_and_b64 s[26:27], vcc, exec
	v_mov_b32_e32 v2, 0
	s_or_b64 s[0:1], s[0:1], s[26:27]
	s_or_b64 exec, exec, s[22:23]
	s_and_saveexec_b64 s[22:23], s[0:1]
	s_cbranch_execnz .LBB30_460
	s_branch .LBB30_461
.LBB30_480:
	s_mov_b64 s[20:21], -1
                                        ; implicit-def: $vgpr2
.LBB30_481:
	s_mov_b64 s[22:23], 0
.LBB30_482:
	s_and_b64 vcc, exec, s[22:23]
	s_cbranch_vccz .LBB30_486
; %bb.483:
	v_cmp_eq_u16_e32 vcc, 11, v8
	s_cbranch_vccz .LBB30_485
; %bb.484:
	global_load_ubyte v2, v[0:1], off
	s_mov_b64 s[0:1], -1
	s_mov_b64 s[20:21], 0
	s_waitcnt vmcnt(0)
	v_cmp_ne_u16_e32 vcc, 0, v2
	v_cndmask_b32_e64 v2, 0, 1.0, vcc
	s_branch .LBB30_486
.LBB30_485:
	s_mov_b64 s[20:21], -1
                                        ; implicit-def: $vgpr2
.LBB30_486:
	s_branch .LBB30_277
.LBB30_487:
	v_cmp_gt_i16_e32 vcc, 5, v8
	s_cbranch_vccnz .LBB30_492
; %bb.488:
	v_cmp_gt_i16_e32 vcc, 8, v8
	s_cbranch_vccnz .LBB30_493
; %bb.489:
	;; [unrolled: 3-line block ×3, first 2 shown]
	v_cmp_lt_i16_e32 vcc, 9, v8
	s_cbranch_vccz .LBB30_495
; %bb.491:
	global_load_dwordx2 v[2:3], v[0:1], off
	s_mov_b64 s[0:1], 0
	s_waitcnt vmcnt(0)
	v_cvt_f32_f64_e32 v2, v[2:3]
	s_branch .LBB30_496
.LBB30_492:
	s_mov_b64 s[0:1], -1
                                        ; implicit-def: $vgpr2
	s_branch .LBB30_514
.LBB30_493:
	s_mov_b64 s[0:1], -1
                                        ; implicit-def: $vgpr2
	s_branch .LBB30_502
.LBB30_494:
	s_mov_b64 s[0:1], -1
                                        ; implicit-def: $vgpr2
	s_branch .LBB30_499
.LBB30_495:
	s_mov_b64 s[0:1], -1
                                        ; implicit-def: $vgpr2
.LBB30_496:
	s_andn2_b64 vcc, exec, s[0:1]
	s_cbranch_vccnz .LBB30_498
; %bb.497:
	global_load_dword v2, v[0:1], off
.LBB30_498:
	s_mov_b64 s[0:1], 0
.LBB30_499:
	s_andn2_b64 vcc, exec, s[0:1]
	s_cbranch_vccnz .LBB30_501
; %bb.500:
	global_load_dword v2, v[0:1], off
	s_waitcnt vmcnt(0)
	v_cvt_f32_f16_e32 v2, v2
.LBB30_501:
	s_mov_b64 s[0:1], 0
.LBB30_502:
	s_andn2_b64 vcc, exec, s[0:1]
	s_cbranch_vccnz .LBB30_513
; %bb.503:
	v_cmp_gt_i16_e32 vcc, 6, v8
	s_cbranch_vccnz .LBB30_506
; %bb.504:
	v_cmp_lt_i16_e32 vcc, 6, v8
	s_cbranch_vccz .LBB30_507
; %bb.505:
	global_load_dwordx2 v[2:3], v[0:1], off
	s_mov_b64 s[0:1], 0
	s_waitcnt vmcnt(0)
	v_cvt_f32_f64_e32 v2, v[2:3]
	s_branch .LBB30_508
.LBB30_506:
	s_mov_b64 s[0:1], -1
                                        ; implicit-def: $vgpr2
	s_branch .LBB30_511
.LBB30_507:
	s_mov_b64 s[0:1], -1
                                        ; implicit-def: $vgpr2
.LBB30_508:
	s_andn2_b64 vcc, exec, s[0:1]
	s_cbranch_vccnz .LBB30_510
; %bb.509:
	global_load_dword v2, v[0:1], off
.LBB30_510:
	s_mov_b64 s[0:1], 0
.LBB30_511:
	s_andn2_b64 vcc, exec, s[0:1]
	s_cbranch_vccnz .LBB30_513
; %bb.512:
	global_load_ushort v2, v[0:1], off
	s_waitcnt vmcnt(0)
	v_cvt_f32_f16_e32 v2, v2
.LBB30_513:
	s_mov_b64 s[0:1], 0
.LBB30_514:
	s_andn2_b64 vcc, exec, s[0:1]
	s_cbranch_vccnz .LBB30_534
; %bb.515:
	v_cmp_gt_i16_e32 vcc, 2, v8
	s_cbranch_vccnz .LBB30_519
; %bb.516:
	v_cmp_gt_i16_e32 vcc, 3, v8
	s_cbranch_vccnz .LBB30_520
; %bb.517:
	v_cmp_lt_i16_e32 vcc, 3, v8
	s_cbranch_vccz .LBB30_521
; %bb.518:
	global_load_dwordx2 v[2:3], v[0:1], off
	s_mov_b64 s[0:1], 0
	s_waitcnt vmcnt(0)
	v_xor_b32_e32 v5, v2, v3
	v_ffbh_i32_e32 v4, v3
	v_ashrrev_i32_e32 v5, 31, v5
	v_add_u32_e32 v4, -1, v4
	v_add_u32_e32 v5, 32, v5
	v_min_u32_e32 v4, v4, v5
	v_lshlrev_b64 v[2:3], v4, v[2:3]
	v_min_u32_e32 v2, 1, v2
	v_or_b32_e32 v2, v3, v2
	v_cvt_f32_i32_e32 v2, v2
	v_sub_u32_e32 v3, 32, v4
	v_ldexp_f32 v2, v2, v3
	s_branch .LBB30_522
.LBB30_519:
	s_mov_b64 s[0:1], -1
                                        ; implicit-def: $vgpr2
	s_branch .LBB30_528
.LBB30_520:
	s_mov_b64 s[0:1], -1
                                        ; implicit-def: $vgpr2
	s_branch .LBB30_525
.LBB30_521:
	s_mov_b64 s[0:1], -1
                                        ; implicit-def: $vgpr2
.LBB30_522:
	s_andn2_b64 vcc, exec, s[0:1]
	s_cbranch_vccnz .LBB30_524
; %bb.523:
	global_load_dword v2, v[0:1], off
	s_waitcnt vmcnt(0)
	v_cvt_f32_i32_e32 v2, v2
.LBB30_524:
	s_mov_b64 s[0:1], 0
.LBB30_525:
	s_andn2_b64 vcc, exec, s[0:1]
	s_cbranch_vccnz .LBB30_527
; %bb.526:
	global_load_sshort v2, v[0:1], off
	s_waitcnt vmcnt(0)
	v_cvt_f32_i32_e32 v2, v2
.LBB30_527:
	s_mov_b64 s[0:1], 0
.LBB30_528:
	s_andn2_b64 vcc, exec, s[0:1]
	s_cbranch_vccnz .LBB30_534
; %bb.529:
	v_cmp_lt_i16_e32 vcc, 0, v8
	s_cbranch_vccz .LBB30_531
; %bb.530:
	global_load_sbyte v2, v[0:1], off
	s_mov_b64 s[0:1], 0
	s_waitcnt vmcnt(0)
	v_cvt_f32_i32_e32 v2, v2
	s_branch .LBB30_532
.LBB30_531:
	s_mov_b64 s[0:1], -1
                                        ; implicit-def: $vgpr2
.LBB30_532:
	s_andn2_b64 vcc, exec, s[0:1]
	s_cbranch_vccnz .LBB30_534
; %bb.533:
	global_load_ubyte v0, v[0:1], off
	s_waitcnt vmcnt(0)
	v_cvt_f32_ubyte0_e32 v2, v0
.LBB30_534:
	s_branch .LBB30_278
.LBB30_535:
	s_mov_b64 s[26:27], 0
                                        ; implicit-def: $vgpr7
	s_mov_b64 s[0:1], s[14:15]
.LBB30_536:
	s_andn2_b64 s[22:23], s[14:15], exec
	s_and_b64 s[0:1], s[0:1], exec
	s_or_b64 s[22:23], s[22:23], s[0:1]
	s_andn2_b64 s[0:1], s[16:17], exec
	s_and_b64 s[20:21], s[20:21], exec
	s_or_b64 s[20:21], s[0:1], s[20:21]
	s_orn2_b64 s[0:1], s[26:27], exec
.LBB30_537:
	s_or_b64 exec, exec, s[24:25]
	s_mov_b64 s[26:27], 0
	s_mov_b64 s[28:29], 0
	;; [unrolled: 1-line block ×3, first 2 shown]
                                        ; implicit-def: $vgpr0_vgpr1
                                        ; implicit-def: $vgpr5
	s_and_saveexec_b64 s[24:25], s[0:1]
	s_cbranch_execz .LBB30_894
; %bb.538:
	v_cmp_gt_i32_e32 vcc, s33, v7
	s_mov_b64 s[36:37], -1
	s_mov_b64 s[0:1], s[20:21]
	s_mov_b64 s[30:31], s[22:23]
	s_and_saveexec_b64 s[26:27], vcc
	s_cbranch_execz .LBB30_808
; %bb.539:
	v_mul_lo_u32 v0, v7, s13
	v_ashrrev_i32_e32 v1, 31, v0
	s_waitcnt vmcnt(0)
	v_mov_b32_e32 v2, s11
	v_add_co_u32_e32 v0, vcc, s10, v0
	v_addc_co_u32_e32 v1, vcc, v2, v1, vcc
	v_cmp_gt_i16_e32 vcc, 11, v8
	s_cbranch_vccnz .LBB30_546
; %bb.540:
	v_cmp_lt_i16_e32 vcc, 25, v8
	s_cbranch_vccz .LBB30_547
; %bb.541:
	v_cmp_lt_i16_e32 vcc, 28, v8
	s_cbranch_vccz .LBB30_548
	;; [unrolled: 3-line block ×4, first 2 shown]
; %bb.544:
	v_cmp_eq_u16_e32 vcc, 46, v8
	s_mov_b64 s[30:31], 0
	s_cbranch_vccz .LBB30_555
; %bb.545:
	global_load_dword v2, v[0:1], off
	s_mov_b64 s[0:1], -1
	s_waitcnt vmcnt(0)
	v_lshlrev_b32_e32 v2, 16, v2
	s_branch .LBB30_556
.LBB30_546:
	s_mov_b64 s[30:31], -1
	s_mov_b64 s[0:1], 0
                                        ; implicit-def: $vgpr2
	s_mov_b64 s[28:29], s[20:21]
	s_branch .LBB30_621
.LBB30_547:
	s_mov_b64 s[30:31], -1
	s_mov_b64 s[0:1], 0
	s_mov_b64 s[28:29], s[20:21]
                                        ; implicit-def: $vgpr2
	s_branch .LBB30_585
.LBB30_548:
	s_mov_b64 s[30:31], -1
	s_mov_b64 s[0:1], 0
	s_mov_b64 s[28:29], s[20:21]
                                        ; implicit-def: $vgpr2
	s_branch .LBB30_566
.LBB30_549:
	s_mov_b64 s[30:31], -1
	s_mov_b64 s[0:1], 0
	s_mov_b64 s[28:29], s[20:21]
                                        ; implicit-def: $vgpr2
	s_branch .LBB30_561
.LBB30_550:
	s_or_saveexec_b64 s[28:29], s[28:29]
                                        ; implicit-def: $sgpr30
	s_xor_b64 exec, exec, s[28:29]
	s_cbranch_execz .LBB30_335
.LBB30_551:
	s_mov_b32 s30, 0x46000000
	v_add_f32_e64 v1, |v0|, s30
	v_and_b32_e32 v1, 0xff, v1
	v_cmp_ne_u32_e32 vcc, 0, v1
	s_andn2_b64 s[26:27], s[26:27], exec
	s_and_b64 s[34:35], vcc, exec
	s_mov_b32 s30, 0
	s_or_b64 s[26:27], s[26:27], s[34:35]
	s_or_b64 exec, exec, s[28:29]
	v_mov_b32_e32 v4, s30
	s_and_saveexec_b64 s[28:29], s[26:27]
	s_cbranch_execnz .LBB30_336
	s_branch .LBB30_337
.LBB30_552:
	s_mov_b64 s[30:31], -1
	s_mov_b64 s[0:1], 0
	s_mov_b64 s[28:29], s[20:21]
                                        ; implicit-def: $vgpr2
	s_branch .LBB30_556
.LBB30_553:
	s_or_saveexec_b64 s[28:29], s[28:29]
                                        ; implicit-def: $sgpr30
	s_xor_b64 exec, exec, s[28:29]
	s_cbranch_execz .LBB30_348
.LBB30_554:
	s_mov_b32 s30, 0x42800000
	v_add_f32_e64 v1, |v0|, s30
	v_and_b32_e32 v1, 0xff, v1
	v_cmp_ne_u32_e32 vcc, 0, v1
	s_andn2_b64 s[26:27], s[26:27], exec
	s_and_b64 s[34:35], vcc, exec
	s_mov_b32 s30, 0
	s_or_b64 s[26:27], s[26:27], s[34:35]
	s_or_b64 exec, exec, s[28:29]
	v_mov_b32_e32 v4, s30
	s_and_saveexec_b64 s[28:29], s[26:27]
	s_cbranch_execnz .LBB30_349
	s_branch .LBB30_350
.LBB30_555:
	s_mov_b64 s[28:29], -1
                                        ; implicit-def: $vgpr2
	s_mov_b64 s[0:1], 0
.LBB30_556:
	s_and_b64 vcc, exec, s[30:31]
	s_cbranch_vccz .LBB30_560
; %bb.557:
	v_cmp_eq_u16_e32 vcc, 44, v8
	s_cbranch_vccz .LBB30_559
; %bb.558:
	global_load_ubyte v2, v[0:1], off
	s_movk_i32 s28, 0xff
	v_mov_b32_e32 v3, 0x7f800001
	v_mov_b32_e32 v4, 0x400000
	s_mov_b64 s[0:1], -1
	s_waitcnt vmcnt(0)
	v_lshlrev_b32_e32 v5, 23, v2
	v_cmp_ne_u32_e32 vcc, s28, v2
	v_cndmask_b32_e32 v3, v3, v5, vcc
	v_cmp_ne_u32_e32 vcc, 0, v2
	v_cndmask_b32_e32 v2, v4, v3, vcc
	s_mov_b64 s[28:29], 0
	s_branch .LBB30_560
.LBB30_559:
	s_mov_b64 s[28:29], -1
                                        ; implicit-def: $vgpr2
.LBB30_560:
	s_mov_b64 s[30:31], 0
.LBB30_561:
	s_and_b64 vcc, exec, s[30:31]
	s_cbranch_vccz .LBB30_565
; %bb.562:
	v_cmp_eq_u16_e32 vcc, 29, v8
	s_cbranch_vccz .LBB30_564
; %bb.563:
	global_load_dwordx2 v[2:3], v[0:1], off
	s_mov_b64 s[0:1], -1
	s_mov_b64 s[28:29], 0
	s_mov_b64 s[30:31], 0
	s_waitcnt vmcnt(0)
	v_ffbh_u32_e32 v4, v3
	v_min_u32_e32 v4, 32, v4
	v_lshlrev_b64 v[2:3], v4, v[2:3]
	v_min_u32_e32 v2, 1, v2
	v_or_b32_e32 v2, v3, v2
	v_cvt_f32_u32_e32 v2, v2
	v_sub_u32_e32 v3, 32, v4
	v_ldexp_f32 v2, v2, v3
	s_branch .LBB30_566
.LBB30_564:
	s_mov_b64 s[28:29], -1
                                        ; implicit-def: $vgpr2
.LBB30_565:
	s_mov_b64 s[30:31], 0
.LBB30_566:
	s_and_b64 vcc, exec, s[30:31]
	s_cbranch_vccz .LBB30_584
; %bb.567:
	v_cmp_gt_i16_e32 vcc, 27, v8
	s_cbranch_vccnz .LBB30_570
; %bb.568:
	v_cmp_lt_i16_e32 vcc, 27, v8
	s_cbranch_vccz .LBB30_571
; %bb.569:
	global_load_dword v2, v[0:1], off
	s_mov_b64 s[0:1], 0
	s_waitcnt vmcnt(0)
	v_cvt_f32_u32_e32 v2, v2
	s_branch .LBB30_572
.LBB30_570:
	s_mov_b64 s[0:1], -1
                                        ; implicit-def: $vgpr2
	s_branch .LBB30_575
.LBB30_571:
	s_mov_b64 s[0:1], -1
                                        ; implicit-def: $vgpr2
.LBB30_572:
	s_andn2_b64 vcc, exec, s[0:1]
	s_cbranch_vccnz .LBB30_574
; %bb.573:
	global_load_ushort v2, v[0:1], off
	s_waitcnt vmcnt(0)
	v_cvt_f32_u32_e32 v2, v2
.LBB30_574:
	s_mov_b64 s[0:1], 0
.LBB30_575:
	s_andn2_b64 vcc, exec, s[0:1]
	s_cbranch_vccnz .LBB30_583
; %bb.576:
	global_load_ubyte v3, v[0:1], off
	s_movk_i32 s0, 0x7f
                                        ; implicit-def: $sgpr36
	s_waitcnt vmcnt(0)
	v_cmp_lt_i16_e32 vcc, s0, v3
	s_mov_b64 s[0:1], 0
	s_and_saveexec_b64 s[30:31], vcc
	s_xor_b64 s[30:31], exec, s[30:31]
	s_cbranch_execz .LBB30_597
; %bb.577:
	s_movk_i32 s0, 0x80
	v_cmp_eq_u16_e32 vcc, s0, v3
	s_mov_b64 s[0:1], -1
                                        ; implicit-def: $sgpr36
	s_and_saveexec_b64 s[34:35], vcc
; %bb.578:
	s_mov_b32 s36, 0x7f800001
	s_xor_b64 s[0:1], exec, -1
; %bb.579:
	s_or_b64 exec, exec, s[34:35]
	s_and_b64 s[0:1], s[0:1], exec
	s_or_saveexec_b64 s[30:31], s[30:31]
	v_mov_b32_e32 v2, s36
	s_xor_b64 exec, exec, s[30:31]
	s_cbranch_execnz .LBB30_598
.LBB30_580:
	s_or_b64 exec, exec, s[30:31]
	s_and_saveexec_b64 s[30:31], s[0:1]
	s_cbranch_execz .LBB30_582
.LBB30_581:
	v_lshlrev_b32_e32 v2, 24, v3
	v_and_b32_e32 v3, 0xffff, v3
	v_and_b32_e32 v4, 7, v3
	v_ffbh_u32_e32 v6, v4
	v_min_u32_e32 v6, 32, v6
	v_subrev_u32_e32 v9, 28, v6
	v_bfe_u32 v5, v3, 3, 4
	v_lshlrev_b32_e32 v3, v9, v3
	v_sub_u32_e32 v6, 29, v6
	v_and_b32_e32 v3, 7, v3
	v_cmp_eq_u32_e32 vcc, 0, v5
	v_cndmask_b32_e32 v5, v5, v6, vcc
	v_cndmask_b32_e32 v3, v4, v3, vcc
	v_mov_b32_e32 v4, 0x3b800000
	v_lshlrev_b32_e32 v3, 20, v3
	v_and_b32_e32 v2, 0x80000000, v2
	v_lshl_add_u32 v4, v5, 23, v4
	v_or3_b32 v2, v2, v4, v3
.LBB30_582:
	s_or_b64 exec, exec, s[30:31]
.LBB30_583:
	s_mov_b64 s[0:1], -1
.LBB30_584:
	s_mov_b64 s[30:31], 0
.LBB30_585:
	s_and_b64 vcc, exec, s[30:31]
	s_cbranch_vccz .LBB30_620
; %bb.586:
	v_cmp_lt_i16_e32 vcc, 22, v8
	s_cbranch_vccz .LBB30_596
; %bb.587:
	v_cmp_gt_i16_e32 vcc, 24, v8
	s_cbranch_vccnz .LBB30_599
; %bb.588:
	v_cmp_lt_i16_e32 vcc, 24, v8
	s_cbranch_vccz .LBB30_600
; %bb.589:
	global_load_ubyte v3, v[0:1], off
	s_movk_i32 s0, 0x7f
                                        ; implicit-def: $sgpr36
	s_waitcnt vmcnt(0)
	v_cmp_lt_i16_e32 vcc, s0, v3
	s_mov_b64 s[0:1], 0
	s_and_saveexec_b64 s[30:31], vcc
	s_xor_b64 s[30:31], exec, s[30:31]
	s_cbranch_execz .LBB30_612
; %bb.590:
	s_movk_i32 s0, 0x80
	v_cmp_eq_u16_e32 vcc, s0, v3
	s_mov_b64 s[0:1], -1
                                        ; implicit-def: $sgpr36
	s_and_saveexec_b64 s[34:35], vcc
; %bb.591:
	s_mov_b32 s36, 0x7f800001
	s_xor_b64 s[0:1], exec, -1
; %bb.592:
	s_or_b64 exec, exec, s[34:35]
	s_and_b64 s[0:1], s[0:1], exec
	s_or_saveexec_b64 s[30:31], s[30:31]
	v_mov_b32_e32 v2, s36
	s_xor_b64 exec, exec, s[30:31]
	s_cbranch_execnz .LBB30_613
.LBB30_593:
	s_or_b64 exec, exec, s[30:31]
	s_and_saveexec_b64 s[30:31], s[0:1]
	s_cbranch_execz .LBB30_595
.LBB30_594:
	v_lshlrev_b32_e32 v2, 24, v3
	v_and_b32_e32 v3, 0xffff, v3
	v_and_b32_e32 v4, 3, v3
	v_ffbh_u32_e32 v6, v4
	v_min_u32_e32 v6, 32, v6
	v_subrev_u32_e32 v9, 29, v6
	v_bfe_u32 v5, v3, 2, 5
	v_lshlrev_b32_e32 v3, v9, v3
	v_sub_u32_e32 v6, 30, v6
	v_and_b32_e32 v3, 3, v3
	v_cmp_eq_u32_e32 vcc, 0, v5
	v_cndmask_b32_e32 v5, v5, v6, vcc
	v_cndmask_b32_e32 v3, v4, v3, vcc
	v_mov_b32_e32 v4, 0x37800000
	v_lshlrev_b32_e32 v3, 21, v3
	v_and_b32_e32 v2, 0x80000000, v2
	v_lshl_add_u32 v4, v5, 23, v4
	v_or3_b32 v2, v2, v4, v3
.LBB30_595:
	s_or_b64 exec, exec, s[30:31]
	s_mov_b64 s[0:1], 0
	s_branch .LBB30_601
.LBB30_596:
	s_mov_b64 s[30:31], -1
                                        ; implicit-def: $vgpr2
	s_branch .LBB30_607
.LBB30_597:
	s_or_saveexec_b64 s[30:31], s[30:31]
	v_mov_b32_e32 v2, s36
	s_xor_b64 exec, exec, s[30:31]
	s_cbranch_execz .LBB30_580
.LBB30_598:
	v_cmp_ne_u16_e32 vcc, 0, v3
	s_andn2_b64 s[0:1], s[0:1], exec
	s_and_b64 s[34:35], vcc, exec
	v_mov_b32_e32 v2, 0
	s_or_b64 s[0:1], s[0:1], s[34:35]
	s_or_b64 exec, exec, s[30:31]
	s_and_saveexec_b64 s[30:31], s[0:1]
	s_cbranch_execnz .LBB30_581
	s_branch .LBB30_582
.LBB30_599:
	s_mov_b64 s[0:1], -1
                                        ; implicit-def: $vgpr2
	s_branch .LBB30_604
.LBB30_600:
	s_mov_b64 s[0:1], -1
                                        ; implicit-def: $vgpr2
.LBB30_601:
	s_and_b64 vcc, exec, s[0:1]
	s_cbranch_vccz .LBB30_603
; %bb.602:
	global_load_ubyte v2, v[0:1], off
	s_mov_b32 s0, 0x7f800000
	s_waitcnt vmcnt(0)
	v_lshlrev_b32_e32 v2, 24, v2
	v_and_b32_e32 v3, 0x7f000000, v2
	v_ffbh_u32_e32 v4, v3
	v_min_u32_e32 v4, 32, v4
	v_sub_u32_e64 v4, v4, 4 clamp
	v_lshlrev_b32_e32 v6, v4, v3
	v_lshlrev_b32_e32 v4, 23, v4
	v_lshrrev_b32_e32 v6, 4, v6
	v_add_u32_e32 v5, 0x1000000, v3
	v_sub_u32_e32 v4, v6, v4
	v_ashrrev_i32_e32 v5, 8, v5
	v_add_u32_e32 v4, 0x3c000000, v4
	v_and_or_b32 v4, v5, s0, v4
	v_cmp_ne_u32_e32 vcc, 0, v3
	v_cndmask_b32_e32 v3, 0, v4, vcc
	s_brev_b32 s0, 1
	v_and_or_b32 v2, v2, s0, v3
.LBB30_603:
	s_mov_b64 s[0:1], 0
.LBB30_604:
	s_andn2_b64 vcc, exec, s[0:1]
	s_cbranch_vccnz .LBB30_606
; %bb.605:
	global_load_ubyte v2, v[0:1], off
	s_movk_i32 s0, 0x7f00
	s_brev_b32 s1, 16
	s_waitcnt vmcnt(0)
	v_lshlrev_b16_e32 v3, 8, v2
	v_lshlrev_b32_e32 v2, 25, v2
	v_lshrrev_b32_e32 v4, 4, v2
	v_and_or_b32 v5, v3, s0, 0.5
	v_or_b32_e32 v4, 0x70000000, v4
	v_add_f32_e32 v5, -0.5, v5
	v_mul_f32_e32 v4, 0x7800000, v4
	v_cmp_gt_u32_e32 vcc, s1, v2
	v_bfe_i32 v3, v3, 0, 16
	v_cndmask_b32_e32 v2, v4, v5, vcc
	s_brev_b32 s0, 1
	v_and_or_b32 v2, v3, s0, v2
.LBB30_606:
	s_mov_b64 s[30:31], 0
	s_mov_b64 s[0:1], -1
.LBB30_607:
	s_andn2_b64 vcc, exec, s[30:31]
	s_cbranch_vccnz .LBB30_620
; %bb.608:
	v_cmp_lt_i16_e32 vcc, 14, v8
	s_cbranch_vccz .LBB30_611
; %bb.609:
	v_cmp_eq_u16_e32 vcc, 15, v8
	s_cbranch_vccz .LBB30_614
; %bb.610:
	global_load_ushort v2, v[0:1], off
	s_mov_b64 s[0:1], -1
	s_mov_b64 s[28:29], 0
	s_waitcnt vmcnt(0)
	v_lshlrev_b32_e32 v2, 16, v2
	s_branch .LBB30_615
.LBB30_611:
	s_mov_b64 s[30:31], -1
                                        ; implicit-def: $vgpr2
	s_branch .LBB30_616
.LBB30_612:
	s_or_saveexec_b64 s[30:31], s[30:31]
	v_mov_b32_e32 v2, s36
	s_xor_b64 exec, exec, s[30:31]
	s_cbranch_execz .LBB30_593
.LBB30_613:
	v_cmp_ne_u16_e32 vcc, 0, v3
	s_andn2_b64 s[0:1], s[0:1], exec
	s_and_b64 s[34:35], vcc, exec
	v_mov_b32_e32 v2, 0
	s_or_b64 s[0:1], s[0:1], s[34:35]
	s_or_b64 exec, exec, s[30:31]
	s_and_saveexec_b64 s[30:31], s[0:1]
	s_cbranch_execnz .LBB30_594
	s_branch .LBB30_595
.LBB30_614:
	s_mov_b64 s[28:29], -1
                                        ; implicit-def: $vgpr2
.LBB30_615:
	s_mov_b64 s[30:31], 0
.LBB30_616:
	s_and_b64 vcc, exec, s[30:31]
	s_cbranch_vccz .LBB30_620
; %bb.617:
	v_cmp_eq_u16_e32 vcc, 11, v8
	s_cbranch_vccz .LBB30_619
; %bb.618:
	global_load_ubyte v2, v[0:1], off
	s_mov_b64 s[0:1], -1
	s_mov_b64 s[28:29], 0
	s_waitcnt vmcnt(0)
	v_cmp_ne_u16_e32 vcc, 0, v2
	v_cndmask_b32_e64 v2, 0, 1.0, vcc
	s_branch .LBB30_620
.LBB30_619:
	s_mov_b64 s[28:29], -1
                                        ; implicit-def: $vgpr2
.LBB30_620:
	s_mov_b64 s[30:31], 0
.LBB30_621:
	s_and_b64 vcc, exec, s[30:31]
	s_cbranch_vccz .LBB30_670
; %bb.622:
	v_cmp_gt_i16_e32 vcc, 5, v8
	s_cbranch_vccnz .LBB30_627
; %bb.623:
	v_cmp_gt_i16_e32 vcc, 8, v8
	s_cbranch_vccnz .LBB30_628
	;; [unrolled: 3-line block ×3, first 2 shown]
; %bb.625:
	v_cmp_lt_i16_e32 vcc, 9, v8
	s_cbranch_vccz .LBB30_630
; %bb.626:
	global_load_dwordx2 v[2:3], v[0:1], off
	s_mov_b64 s[0:1], 0
	s_waitcnt vmcnt(0)
	v_cvt_f32_f64_e32 v2, v[2:3]
	s_branch .LBB30_631
.LBB30_627:
	s_mov_b64 s[0:1], -1
                                        ; implicit-def: $vgpr2
	s_branch .LBB30_649
.LBB30_628:
	s_mov_b64 s[0:1], -1
                                        ; implicit-def: $vgpr2
	s_branch .LBB30_637
.LBB30_629:
	s_mov_b64 s[0:1], -1
                                        ; implicit-def: $vgpr2
	s_branch .LBB30_634
.LBB30_630:
	s_mov_b64 s[0:1], -1
                                        ; implicit-def: $vgpr2
.LBB30_631:
	s_andn2_b64 vcc, exec, s[0:1]
	s_cbranch_vccnz .LBB30_633
; %bb.632:
	global_load_dword v2, v[0:1], off
.LBB30_633:
	s_mov_b64 s[0:1], 0
.LBB30_634:
	s_andn2_b64 vcc, exec, s[0:1]
	s_cbranch_vccnz .LBB30_636
; %bb.635:
	global_load_dword v2, v[0:1], off
	s_waitcnt vmcnt(0)
	v_cvt_f32_f16_e32 v2, v2
.LBB30_636:
	s_mov_b64 s[0:1], 0
.LBB30_637:
	s_andn2_b64 vcc, exec, s[0:1]
	s_cbranch_vccnz .LBB30_648
; %bb.638:
	v_cmp_gt_i16_e32 vcc, 6, v8
	s_cbranch_vccnz .LBB30_641
; %bb.639:
	v_cmp_lt_i16_e32 vcc, 6, v8
	s_cbranch_vccz .LBB30_642
; %bb.640:
	global_load_dwordx2 v[2:3], v[0:1], off
	s_mov_b64 s[0:1], 0
	s_waitcnt vmcnt(0)
	v_cvt_f32_f64_e32 v2, v[2:3]
	s_branch .LBB30_643
.LBB30_641:
	s_mov_b64 s[0:1], -1
                                        ; implicit-def: $vgpr2
	s_branch .LBB30_646
.LBB30_642:
	s_mov_b64 s[0:1], -1
                                        ; implicit-def: $vgpr2
.LBB30_643:
	s_andn2_b64 vcc, exec, s[0:1]
	s_cbranch_vccnz .LBB30_645
; %bb.644:
	global_load_dword v2, v[0:1], off
.LBB30_645:
	s_mov_b64 s[0:1], 0
.LBB30_646:
	s_andn2_b64 vcc, exec, s[0:1]
	s_cbranch_vccnz .LBB30_648
; %bb.647:
	global_load_ushort v2, v[0:1], off
	s_waitcnt vmcnt(0)
	v_cvt_f32_f16_e32 v2, v2
.LBB30_648:
	s_mov_b64 s[0:1], 0
.LBB30_649:
	s_andn2_b64 vcc, exec, s[0:1]
	s_cbranch_vccnz .LBB30_669
; %bb.650:
	v_cmp_gt_i16_e32 vcc, 2, v8
	s_cbranch_vccnz .LBB30_654
; %bb.651:
	v_cmp_gt_i16_e32 vcc, 3, v8
	s_cbranch_vccnz .LBB30_655
; %bb.652:
	v_cmp_lt_i16_e32 vcc, 3, v8
	s_cbranch_vccz .LBB30_656
; %bb.653:
	global_load_dwordx2 v[2:3], v[0:1], off
	s_mov_b64 s[0:1], 0
	s_waitcnt vmcnt(0)
	v_xor_b32_e32 v5, v2, v3
	v_ffbh_i32_e32 v4, v3
	v_ashrrev_i32_e32 v5, 31, v5
	v_add_u32_e32 v4, -1, v4
	v_add_u32_e32 v5, 32, v5
	v_min_u32_e32 v4, v4, v5
	v_lshlrev_b64 v[2:3], v4, v[2:3]
	v_min_u32_e32 v2, 1, v2
	v_or_b32_e32 v2, v3, v2
	v_cvt_f32_i32_e32 v2, v2
	v_sub_u32_e32 v3, 32, v4
	v_ldexp_f32 v2, v2, v3
	s_branch .LBB30_657
.LBB30_654:
	s_mov_b64 s[0:1], -1
                                        ; implicit-def: $vgpr2
	s_branch .LBB30_663
.LBB30_655:
	s_mov_b64 s[0:1], -1
                                        ; implicit-def: $vgpr2
	s_branch .LBB30_660
.LBB30_656:
	s_mov_b64 s[0:1], -1
                                        ; implicit-def: $vgpr2
.LBB30_657:
	s_andn2_b64 vcc, exec, s[0:1]
	s_cbranch_vccnz .LBB30_659
; %bb.658:
	global_load_dword v2, v[0:1], off
	s_waitcnt vmcnt(0)
	v_cvt_f32_i32_e32 v2, v2
.LBB30_659:
	s_mov_b64 s[0:1], 0
.LBB30_660:
	s_andn2_b64 vcc, exec, s[0:1]
	s_cbranch_vccnz .LBB30_662
; %bb.661:
	global_load_sshort v2, v[0:1], off
	s_waitcnt vmcnt(0)
	v_cvt_f32_i32_e32 v2, v2
.LBB30_662:
	s_mov_b64 s[0:1], 0
.LBB30_663:
	s_andn2_b64 vcc, exec, s[0:1]
	s_cbranch_vccnz .LBB30_669
; %bb.664:
	v_cmp_lt_i16_e32 vcc, 0, v8
	s_cbranch_vccz .LBB30_666
; %bb.665:
	global_load_sbyte v2, v[0:1], off
	s_mov_b64 s[0:1], 0
	s_waitcnt vmcnt(0)
	v_cvt_f32_i32_e32 v2, v2
	s_branch .LBB30_667
.LBB30_666:
	s_mov_b64 s[0:1], -1
                                        ; implicit-def: $vgpr2
.LBB30_667:
	s_andn2_b64 vcc, exec, s[0:1]
	s_cbranch_vccnz .LBB30_669
; %bb.668:
	global_load_ubyte v0, v[0:1], off
	s_waitcnt vmcnt(0)
	v_cvt_f32_ubyte0_e32 v2, v0
.LBB30_669:
	s_mov_b64 s[0:1], -1
.LBB30_670:
	s_andn2_b64 vcc, exec, s[0:1]
	s_cbranch_vccnz .LBB30_690
; %bb.671:
	s_waitcnt vmcnt(0)
	v_trunc_f32_e32 v0, v2
	s_mov_b32 s0, 0x2f800000
	v_mul_f32_e64 v1, |v0|, s0
	v_floor_f32_e32 v1, v1
	s_mov_b32 s0, 0xcf800000
	v_cvt_u32_f32_e32 v2, v1
	v_fma_f32 v1, v1, s0, |v0|
	v_cvt_u32_f32_e32 v1, v1
	v_ashrrev_i32_e32 v0, 31, v0
	v_xor_b32_e32 v3, v2, v0
	v_xor_b32_e32 v1, v1, v0
	v_sub_co_u32_e32 v2, vcc, v1, v0
	v_subb_co_u32_e32 v3, vcc, v3, v0, vcc
	v_cmp_lt_i64_e32 vcc, -1, v[2:3]
	v_mov_b32_e32 v0, 0
	s_and_saveexec_b64 s[0:1], vcc
	s_cbranch_execz .LBB30_683
; %bb.672:
	v_cmp_lt_i64_e32 vcc, 0, v[2:3]
	v_mov_b32_e32 v0, 1.0
	s_and_saveexec_b64 s[30:31], vcc
	s_cbranch_execz .LBB30_682
; %bb.673:
	v_cmp_ne_u64_e32 vcc, 1, v[2:3]
                                        ; implicit-def: $vgpr0
	s_and_saveexec_b64 s[34:35], vcc
	s_xor_b64 s[34:35], exec, s[34:35]
	s_cbranch_execz .LBB30_679
; %bb.674:
	s_mov_b64 s[36:37], 0x81
	v_cmp_gt_u64_e32 vcc, s[36:37], v[2:3]
	v_mov_b32_e32 v0, 0x7fc00000
	s_and_saveexec_b64 s[36:37], vcc
	s_cbranch_execz .LBB30_678
; %bb.675:
	s_mov_b64 s[40:41], 1
	s_mov_b64 s[38:39], 0
	v_mov_b32_e32 v0, s2
	v_mov_b32_e32 v1, 1.0
.LBB30_676:                             ; =>This Inner Loop Header: Depth=1
	s_flbit_i32_b32 s42, s41
	s_min_u32 s44, s42, 32
	s_lshl_b64 s[42:43], s[40:41], s44
	s_min_u32 s42, s42, 1
	s_or_b32 s42, s43, s42
	v_cvt_f32_u32_e32 v4, s42
	s_sub_i32 s44, 32, s44
	s_add_u32 s40, s40, 1
	s_addc_u32 s41, s41, 0
	v_ldexp_f32 v4, v4, s44
	v_cmp_eq_u64_e32 vcc, s[40:41], v[2:3]
	v_mul_f32_e32 v4, v1, v4
	s_or_b64 s[38:39], vcc, s[38:39]
	v_mov_b32_e32 v1, v0
	v_fma_f32 v0, s2, v0, -v4
	s_andn2_b64 exec, exec, s[38:39]
	s_cbranch_execnz .LBB30_676
; %bb.677:
	s_or_b64 exec, exec, s[38:39]
.LBB30_678:
	s_or_b64 exec, exec, s[36:37]
.LBB30_679:
	s_andn2_saveexec_b64 s[34:35], s[34:35]
; %bb.680:
	v_mov_b32_e32 v0, s2
; %bb.681:
	s_or_b64 exec, exec, s[34:35]
.LBB30_682:
	s_or_b64 exec, exec, s[30:31]
.LBB30_683:
	s_or_b64 exec, exec, s[0:1]
	v_mul_lo_u32 v1, v7, s12
	v_ashrrev_i32_e32 v3, 31, v1
	v_mov_b32_e32 v4, s9
	v_add_co_u32_e32 v2, vcc, s8, v1
	v_mov_b32_e32 v1, 11
	v_addc_co_u32_e32 v3, vcc, v4, v3, vcc
	v_cmp_lt_i16_sdwa s[0:1], s3, v1 src0_sel:BYTE_0 src1_sel:DWORD
	s_and_b64 vcc, exec, s[0:1]
	s_cbranch_vccnz .LBB30_691
; %bb.684:
	v_mov_b32_e32 v1, 25
	v_cmp_gt_i16_sdwa s[0:1], s3, v1 src0_sel:BYTE_0 src1_sel:DWORD
	s_and_b64 vcc, exec, s[0:1]
	s_cbranch_vccz .LBB30_692
; %bb.685:
	v_mov_b32_e32 v1, 28
	v_cmp_gt_i16_sdwa s[0:1], s3, v1 src0_sel:BYTE_0 src1_sel:DWORD
	s_and_b64 vcc, exec, s[0:1]
	s_cbranch_vccz .LBB30_693
; %bb.686:
	v_mov_b32_e32 v1, 43
	v_cmp_gt_i16_sdwa s[0:1], s3, v1 src0_sel:BYTE_0 src1_sel:DWORD
	s_and_b64 vcc, exec, s[0:1]
	s_cbranch_vccz .LBB30_694
; %bb.687:
	v_mov_b32_e32 v1, 45
	v_cmp_gt_i16_sdwa s[0:1], s3, v1 src0_sel:BYTE_0 src1_sel:DWORD
	s_and_b64 vcc, exec, s[0:1]
	s_cbranch_vccz .LBB30_695
; %bb.688:
	v_mov_b32_e32 v1, 46
	v_cmp_eq_u16_sdwa s[30:31], s3, v1 src0_sel:BYTE_0 src1_sel:DWORD
	s_mov_b64 s[34:35], 0
	s_mov_b64 s[0:1], -1
	s_and_b64 vcc, exec, s[30:31]
	s_mov_b64 s[30:31], 0
	s_cbranch_vccz .LBB30_696
; %bb.689:
	v_bfe_u32 v1, v0, 16, 1
	s_movk_i32 s0, 0x7fff
	v_add3_u32 v1, v0, v1, s0
	v_lshrrev_b32_e32 v1, 16, v1
	v_mov_b32_e32 v4, 0x7fc0
	v_cmp_o_f32_e32 vcc, v0, v0
	v_cndmask_b32_e32 v1, v4, v1, vcc
	global_store_dword v[2:3], v1, off
	s_mov_b64 s[30:31], -1
	s_mov_b64 s[0:1], 0
	s_branch .LBB30_696
.LBB30_690:
	s_mov_b64 s[34:35], 0
                                        ; implicit-def: $vgpr7
	s_mov_b64 s[0:1], s[22:23]
	s_branch .LBB30_807
.LBB30_691:
	s_mov_b64 s[34:35], -1
	s_mov_b64 s[30:31], 0
	s_mov_b64 s[0:1], s[22:23]
	s_branch .LBB30_765
.LBB30_692:
	s_mov_b64 s[34:35], -1
	s_mov_b64 s[30:31], 0
	s_mov_b64 s[0:1], s[22:23]
	s_branch .LBB30_723
.LBB30_693:
	s_mov_b64 s[34:35], -1
	s_mov_b64 s[30:31], 0
	s_mov_b64 s[0:1], s[22:23]
	s_branch .LBB30_706
.LBB30_694:
	s_mov_b64 s[34:35], -1
	s_mov_b64 s[30:31], 0
	s_mov_b64 s[0:1], s[22:23]
	s_branch .LBB30_702
.LBB30_695:
	s_mov_b64 s[34:35], -1
	s_mov_b64 s[30:31], 0
	s_mov_b64 s[0:1], s[22:23]
.LBB30_696:
	s_and_b64 vcc, exec, s[34:35]
	s_cbranch_vccz .LBB30_701
; %bb.697:
	v_mov_b32_e32 v1, 44
	v_cmp_eq_u16_sdwa s[34:35], s3, v1 src0_sel:BYTE_0 src1_sel:DWORD
	s_mov_b64 s[0:1], -1
	s_and_b64 vcc, exec, s[34:35]
	s_cbranch_vccz .LBB30_701
; %bb.698:
	v_bfe_u32 v1, v0, 23, 8
	s_movk_i32 s0, 0xff
	v_cmp_ne_u32_e32 vcc, s0, v1
	v_mov_b32_e32 v4, 0xff
	s_and_saveexec_b64 s[30:31], vcc
; %bb.699:
	s_mov_b32 s0, 0x3fffff
	v_and_b32_e32 v5, 0x400000, v0
	v_and_or_b32 v1, v0, s0, v1
	v_cmp_ne_u32_e32 vcc, 0, v5
	v_cmp_ne_u32_e64 s[0:1], 0, v1
	s_and_b64 s[0:1], vcc, s[0:1]
	v_lshrrev_b32_e32 v4, 23, v0
	v_cndmask_b32_e64 v1, 0, 1, s[0:1]
	v_add_u32_e32 v4, v4, v1
; %bb.700:
	s_or_b64 exec, exec, s[30:31]
	s_mov_b64 s[30:31], -1
	s_mov_b64 s[0:1], 0
	global_store_byte v[2:3], v4, off
.LBB30_701:
	s_mov_b64 s[34:35], 0
.LBB30_702:
	s_and_b64 vcc, exec, s[34:35]
	s_cbranch_vccz .LBB30_705
; %bb.703:
	v_mov_b32_e32 v1, 29
	v_cmp_eq_u16_sdwa s[34:35], s3, v1 src0_sel:BYTE_0 src1_sel:DWORD
	s_mov_b64 s[0:1], -1
	s_and_b64 vcc, exec, s[34:35]
	s_cbranch_vccz .LBB30_705
; %bb.704:
	v_trunc_f32_e32 v1, v0
	v_mul_f32_e32 v4, 0x2f800000, v1
	v_floor_f32_e32 v4, v4
	v_fmac_f32_e32 v1, 0xcf800000, v4
	v_cvt_u32_f32_e32 v5, v4
	v_cvt_u32_f32_e32 v4, v1
	s_mov_b64 s[30:31], -1
	s_mov_b64 s[0:1], 0
	s_mov_b64 s[34:35], 0
	global_store_dwordx2 v[2:3], v[4:5], off
	s_branch .LBB30_706
.LBB30_705:
	s_mov_b64 s[34:35], 0
.LBB30_706:
	s_and_b64 vcc, exec, s[34:35]
	s_cbranch_vccz .LBB30_722
; %bb.707:
	v_mov_b32_e32 v1, 27
	v_cmp_lt_i16_sdwa s[34:35], s3, v1 src0_sel:BYTE_0 src1_sel:DWORD
	s_mov_b64 s[30:31], -1
	s_and_b64 vcc, exec, s[34:35]
	s_cbranch_vccnz .LBB30_713
; %bb.708:
	v_cmp_gt_i16_sdwa s[34:35], s3, v1 src0_sel:BYTE_0 src1_sel:DWORD
	v_cvt_u32_f32_e32 v1, v0
	s_and_b64 vcc, exec, s[34:35]
	s_cbranch_vccz .LBB30_710
; %bb.709:
	s_mov_b64 s[30:31], 0
	global_store_dword v[2:3], v1, off
.LBB30_710:
	s_andn2_b64 vcc, exec, s[30:31]
	s_cbranch_vccnz .LBB30_712
; %bb.711:
	global_store_short v[2:3], v1, off
.LBB30_712:
	s_mov_b64 s[30:31], 0
.LBB30_713:
	s_andn2_b64 vcc, exec, s[30:31]
	s_cbranch_vccnz .LBB30_721
; %bb.714:
	v_and_b32_e32 v1, 0x7fffffff, v0
	s_mov_b32 s30, 0x43800000
	v_cmp_gt_u32_e32 vcc, s30, v1
	v_mov_b32_e32 v4, 0x80
	s_and_saveexec_b64 s[30:31], vcc
	s_cbranch_execz .LBB30_720
; %bb.715:
	s_mov_b32 s34, 0x3bffffff
	v_cmp_lt_u32_e32 vcc, s34, v1
	s_mov_b64 s[34:35], 0
                                        ; implicit-def: $vgpr1
	s_and_saveexec_b64 s[36:37], vcc
	s_xor_b64 s[36:37], exec, s[36:37]
	s_cbranch_execz .LBB30_821
; %bb.716:
	v_bfe_u32 v1, v0, 20, 1
	s_mov_b32 s38, 0x487ffff
	v_add3_u32 v1, v0, v1, s38
	s_mov_b64 s[34:35], exec
	v_lshrrev_b32_e32 v1, 20, v1
	s_or_saveexec_b64 s[36:37], s[36:37]
                                        ; implicit-def: $sgpr38
	s_xor_b64 exec, exec, s[36:37]
	s_cbranch_execnz .LBB30_822
.LBB30_717:
	s_or_b64 exec, exec, s[36:37]
	v_mov_b32_e32 v4, s38
	s_and_saveexec_b64 s[36:37], s[34:35]
.LBB30_718:
	v_lshrrev_b32_e32 v4, 24, v0
	s_movk_i32 s34, 0x80
	v_and_or_b32 v4, v4, s34, v1
.LBB30_719:
	s_or_b64 exec, exec, s[36:37]
.LBB30_720:
	s_or_b64 exec, exec, s[30:31]
	global_store_byte v[2:3], v4, off
.LBB30_721:
	s_mov_b64 s[30:31], -1
.LBB30_722:
	s_mov_b64 s[34:35], 0
.LBB30_723:
	s_and_b64 vcc, exec, s[34:35]
	s_cbranch_vccz .LBB30_764
; %bb.724:
	v_mov_b32_e32 v1, 22
	v_cmp_gt_i16_sdwa s[36:37], s3, v1 src0_sel:BYTE_0 src1_sel:DWORD
	s_mov_b64 s[34:35], -1
	s_and_b64 vcc, exec, s[36:37]
	s_cbranch_vccz .LBB30_756
; %bb.725:
	v_mov_b32_e32 v1, 24
	v_cmp_lt_i16_sdwa s[34:35], s3, v1 src0_sel:BYTE_0 src1_sel:DWORD
	s_mov_b64 s[30:31], -1
	s_and_b64 vcc, exec, s[34:35]
	s_cbranch_vccnz .LBB30_745
; %bb.726:
	v_cmp_gt_i16_sdwa s[34:35], s3, v1 src0_sel:BYTE_0 src1_sel:DWORD
	s_and_b64 vcc, exec, s[34:35]
	s_cbranch_vccz .LBB30_734
; %bb.727:
	v_and_b32_e32 v1, 0x7fffffff, v0
	s_mov_b32 s30, 0x47800000
	v_cmp_gt_u32_e32 vcc, s30, v1
	v_mov_b32_e32 v4, 0x80
	s_and_saveexec_b64 s[30:31], vcc
	s_cbranch_execz .LBB30_733
; %bb.728:
	s_mov_b32 s34, 0x37ffffff
	v_cmp_lt_u32_e32 vcc, s34, v1
	s_mov_b64 s[34:35], 0
                                        ; implicit-def: $vgpr1
	s_and_saveexec_b64 s[36:37], vcc
	s_xor_b64 s[36:37], exec, s[36:37]
	s_cbranch_execz .LBB30_824
; %bb.729:
	v_bfe_u32 v1, v0, 21, 1
	s_mov_b32 s38, 0x88fffff
	v_add3_u32 v1, v0, v1, s38
	s_mov_b64 s[34:35], exec
	v_lshrrev_b32_e32 v1, 21, v1
	s_or_saveexec_b64 s[36:37], s[36:37]
                                        ; implicit-def: $sgpr38
	s_xor_b64 exec, exec, s[36:37]
	s_cbranch_execnz .LBB30_825
.LBB30_730:
	s_or_b64 exec, exec, s[36:37]
	v_mov_b32_e32 v4, s38
	s_and_saveexec_b64 s[36:37], s[34:35]
.LBB30_731:
	v_lshrrev_b32_e32 v4, 24, v0
	s_movk_i32 s34, 0x80
	v_and_or_b32 v4, v4, s34, v1
.LBB30_732:
	s_or_b64 exec, exec, s[36:37]
.LBB30_733:
	s_or_b64 exec, exec, s[30:31]
	s_mov_b64 s[30:31], 0
	global_store_byte v[2:3], v4, off
.LBB30_734:
	s_and_b64 vcc, exec, s[30:31]
	s_cbranch_vccz .LBB30_744
; %bb.735:
	v_and_b32_e32 v4, 0x7fffffff, v0
	s_mov_b32 s30, 0x43f00000
	v_cmp_gt_u32_e32 vcc, s30, v4
                                        ; implicit-def: $vgpr1
	s_and_saveexec_b64 s[30:31], vcc
	s_xor_b64 s[30:31], exec, s[30:31]
	s_cbranch_execz .LBB30_741
; %bb.736:
	s_mov_b32 s34, 0x3c7fffff
	v_cmp_lt_u32_e32 vcc, s34, v4
                                        ; implicit-def: $vgpr1
	s_and_saveexec_b64 s[34:35], vcc
	s_xor_b64 s[34:35], exec, s[34:35]
; %bb.737:
	v_bfe_u32 v1, v0, 20, 1
	s_mov_b32 s36, 0x407ffff
	v_add3_u32 v1, v0, v1, s36
	v_lshrrev_b32_e32 v4, 20, v1
	v_and_b32_e32 v1, 0xff00000, v1
	s_mov_b32 s36, 0x7f00000
	v_mov_b32_e32 v5, 0x7e
	v_cmp_ne_u32_e32 vcc, s36, v1
	v_cndmask_b32_e32 v1, v5, v4, vcc
; %bb.738:
	s_andn2_saveexec_b64 s[34:35], s[34:35]
; %bb.739:
	s_mov_b32 s36, 0x46800000
	v_add_f32_e64 v1, |v0|, s36
; %bb.740:
	s_or_b64 exec, exec, s[34:35]
                                        ; implicit-def: $vgpr4
.LBB30_741:
	s_andn2_saveexec_b64 s[30:31], s[30:31]
; %bb.742:
	s_mov_b32 s34, 0x7f800000
	v_mov_b32_e32 v1, 0x7e
	v_mov_b32_e32 v5, 0x7f
	v_cmp_lt_u32_e32 vcc, s34, v4
	v_cndmask_b32_e32 v1, v1, v5, vcc
; %bb.743:
	s_or_b64 exec, exec, s[30:31]
	v_lshrrev_b32_e32 v4, 24, v0
	s_movk_i32 s30, 0x80
	v_and_or_b32 v1, v4, s30, v1
	global_store_byte v[2:3], v1, off
.LBB30_744:
	s_mov_b64 s[30:31], 0
.LBB30_745:
	s_andn2_b64 vcc, exec, s[30:31]
	s_cbranch_vccnz .LBB30_755
; %bb.746:
	v_and_b32_e32 v4, 0x7fffffff, v0
	s_mov_b32 s30, 0x47800000
	v_cmp_gt_u32_e32 vcc, s30, v4
                                        ; implicit-def: $vgpr1
	s_and_saveexec_b64 s[30:31], vcc
	s_xor_b64 s[30:31], exec, s[30:31]
	s_cbranch_execz .LBB30_752
; %bb.747:
	s_mov_b32 s34, 0x387fffff
	v_cmp_lt_u32_e32 vcc, s34, v4
                                        ; implicit-def: $vgpr1
	s_and_saveexec_b64 s[34:35], vcc
	s_xor_b64 s[34:35], exec, s[34:35]
; %bb.748:
	v_bfe_u32 v1, v0, 21, 1
	s_mov_b32 s36, 0x80fffff
	v_add3_u32 v1, v0, v1, s36
	v_lshrrev_b32_e32 v1, 21, v1
; %bb.749:
	s_andn2_saveexec_b64 s[34:35], s[34:35]
; %bb.750:
	s_mov_b32 s36, 0x43000000
	v_add_f32_e64 v1, |v0|, s36
; %bb.751:
	s_or_b64 exec, exec, s[34:35]
                                        ; implicit-def: $vgpr4
.LBB30_752:
	s_andn2_saveexec_b64 s[30:31], s[30:31]
; %bb.753:
	s_mov_b32 s34, 0x7f800000
	v_mov_b32_e32 v1, 0x7c
	v_mov_b32_e32 v5, 0x7f
	v_cmp_lt_u32_e32 vcc, s34, v4
	v_cndmask_b32_e32 v1, v1, v5, vcc
; %bb.754:
	s_or_b64 exec, exec, s[30:31]
	v_lshrrev_b32_e32 v4, 24, v0
	s_movk_i32 s30, 0x80
	v_and_or_b32 v1, v4, s30, v1
	global_store_byte v[2:3], v1, off
.LBB30_755:
	s_mov_b64 s[34:35], 0
	s_mov_b64 s[30:31], -1
.LBB30_756:
	s_andn2_b64 vcc, exec, s[34:35]
	s_cbranch_vccnz .LBB30_764
; %bb.757:
	v_mov_b32_e32 v1, 14
	v_cmp_gt_i16_sdwa s[36:37], s3, v1 src0_sel:BYTE_0 src1_sel:DWORD
	s_mov_b64 s[34:35], -1
	s_and_b64 vcc, exec, s[36:37]
	s_cbranch_vccz .LBB30_761
; %bb.758:
	v_mov_b32_e32 v1, 15
	v_cmp_eq_u16_sdwa s[34:35], s3, v1 src0_sel:BYTE_0 src1_sel:DWORD
	s_mov_b64 s[0:1], -1
	s_and_b64 vcc, exec, s[34:35]
	s_cbranch_vccz .LBB30_760
; %bb.759:
	v_bfe_u32 v1, v0, 16, 1
	s_movk_i32 s0, 0x7fff
	v_add3_u32 v1, v0, v1, s0
	v_lshrrev_b32_e32 v1, 16, v1
	v_mov_b32_e32 v4, 0x7fc0
	v_cmp_o_f32_e32 vcc, v0, v0
	v_cndmask_b32_e32 v1, v4, v1, vcc
	global_store_short v[2:3], v1, off
	s_mov_b64 s[30:31], -1
	s_mov_b64 s[0:1], 0
.LBB30_760:
	s_mov_b64 s[34:35], 0
.LBB30_761:
	s_and_b64 vcc, exec, s[34:35]
	s_cbranch_vccz .LBB30_764
; %bb.762:
	v_mov_b32_e32 v1, 11
	v_cmp_eq_u16_sdwa s[34:35], s3, v1 src0_sel:BYTE_0 src1_sel:DWORD
	s_mov_b64 s[0:1], -1
	s_and_b64 vcc, exec, s[34:35]
	s_cbranch_vccz .LBB30_764
; %bb.763:
	v_cmp_neq_f32_e32 vcc, 0, v0
	v_cndmask_b32_e64 v1, 0, 1, vcc
	s_mov_b64 s[30:31], -1
	s_mov_b64 s[0:1], 0
	global_store_byte v[2:3], v1, off
.LBB30_764:
	s_mov_b64 s[34:35], 0
.LBB30_765:
	s_and_b64 vcc, exec, s[34:35]
	s_cbranch_vccz .LBB30_804
; %bb.766:
	v_mov_b32_e32 v1, 5
	v_cmp_lt_i16_sdwa s[34:35], s3, v1 src0_sel:BYTE_0 src1_sel:DWORD
	s_mov_b64 s[30:31], -1
	s_and_b64 vcc, exec, s[34:35]
	s_cbranch_vccnz .LBB30_787
; %bb.767:
	v_mov_b32_e32 v1, 8
	v_cmp_lt_i16_sdwa s[34:35], s3, v1 src0_sel:BYTE_0 src1_sel:DWORD
	s_and_b64 vcc, exec, s[34:35]
	s_cbranch_vccnz .LBB30_777
; %bb.768:
	v_mov_b32_e32 v1, 9
	v_cmp_lt_i16_sdwa s[34:35], s3, v1 src0_sel:BYTE_0 src1_sel:DWORD
	s_and_b64 vcc, exec, s[34:35]
	s_cbranch_vccnz .LBB30_774
; %bb.769:
	v_cmp_gt_i16_sdwa s[34:35], s3, v1 src0_sel:BYTE_0 src1_sel:DWORD
	s_and_b64 vcc, exec, s[34:35]
	s_cbranch_vccz .LBB30_771
; %bb.770:
	v_mov_b32_e32 v12, 0
	v_cvt_f64_f32_e32 v[10:11], v0
	v_mov_b32_e32 v13, v12
	s_mov_b64 s[30:31], 0
	global_store_dwordx4 v[2:3], v[10:13], off
.LBB30_771:
	s_andn2_b64 vcc, exec, s[30:31]
	s_cbranch_vccnz .LBB30_773
; %bb.772:
	v_mov_b32_e32 v1, 0
	global_store_dwordx2 v[2:3], v[0:1], off
.LBB30_773:
	s_mov_b64 s[30:31], 0
.LBB30_774:
	s_andn2_b64 vcc, exec, s[30:31]
	s_cbranch_vccnz .LBB30_776
; %bb.775:
	v_cvt_f16_f32_e32 v1, v0
	global_store_dword v[2:3], v1, off
.LBB30_776:
	s_mov_b64 s[30:31], 0
.LBB30_777:
	s_andn2_b64 vcc, exec, s[30:31]
	s_cbranch_vccnz .LBB30_786
; %bb.778:
	v_mov_b32_e32 v1, 6
	v_cmp_lt_i16_sdwa s[34:35], s3, v1 src0_sel:BYTE_0 src1_sel:DWORD
	s_mov_b64 s[30:31], -1
	s_and_b64 vcc, exec, s[34:35]
	s_cbranch_vccnz .LBB30_784
; %bb.779:
	v_cmp_gt_i16_sdwa s[34:35], s3, v1 src0_sel:BYTE_0 src1_sel:DWORD
	s_and_b64 vcc, exec, s[34:35]
	s_cbranch_vccz .LBB30_781
; %bb.780:
	v_cvt_f64_f32_e32 v[4:5], v0
	s_mov_b64 s[30:31], 0
	global_store_dwordx2 v[2:3], v[4:5], off
.LBB30_781:
	s_andn2_b64 vcc, exec, s[30:31]
	s_cbranch_vccnz .LBB30_783
; %bb.782:
	global_store_dword v[2:3], v0, off
.LBB30_783:
	s_mov_b64 s[30:31], 0
.LBB30_784:
	s_andn2_b64 vcc, exec, s[30:31]
	s_cbranch_vccnz .LBB30_786
; %bb.785:
	v_cvt_f16_f32_e32 v1, v0
	global_store_short v[2:3], v1, off
.LBB30_786:
	s_mov_b64 s[30:31], 0
.LBB30_787:
	s_andn2_b64 vcc, exec, s[30:31]
	s_cbranch_vccnz .LBB30_803
; %bb.788:
	v_mov_b32_e32 v1, 2
	v_cmp_lt_i16_sdwa s[34:35], s3, v1 src0_sel:BYTE_0 src1_sel:DWORD
	s_mov_b64 s[30:31], -1
	s_and_b64 vcc, exec, s[34:35]
	s_cbranch_vccnz .LBB30_798
; %bb.789:
	v_mov_b32_e32 v1, 3
	v_cmp_lt_i16_sdwa s[34:35], s3, v1 src0_sel:BYTE_0 src1_sel:DWORD
	s_and_b64 vcc, exec, s[34:35]
	s_cbranch_vccnz .LBB30_795
; %bb.790:
	v_cmp_gt_i16_sdwa s[34:35], s3, v1 src0_sel:BYTE_0 src1_sel:DWORD
	s_and_b64 vcc, exec, s[34:35]
	s_cbranch_vccz .LBB30_792
; %bb.791:
	v_trunc_f32_e32 v1, v0
	s_mov_b32 s30, 0x2f800000
	v_mul_f32_e64 v4, |v1|, s30
	v_floor_f32_e32 v4, v4
	s_mov_b32 s30, 0xcf800000
	v_cvt_u32_f32_e32 v5, v4
	v_fma_f32 v4, v4, s30, |v1|
	v_cvt_u32_f32_e32 v4, v4
	v_ashrrev_i32_e32 v1, 31, v1
	v_xor_b32_e32 v5, v5, v1
	s_mov_b64 s[30:31], 0
	v_xor_b32_e32 v4, v4, v1
	v_sub_co_u32_e32 v4, vcc, v4, v1
	v_subb_co_u32_e32 v5, vcc, v5, v1, vcc
	global_store_dwordx2 v[2:3], v[4:5], off
.LBB30_792:
	s_andn2_b64 vcc, exec, s[30:31]
	s_cbranch_vccnz .LBB30_794
; %bb.793:
	v_cvt_i32_f32_e32 v1, v0
	global_store_dword v[2:3], v1, off
.LBB30_794:
	s_mov_b64 s[30:31], 0
.LBB30_795:
	s_andn2_b64 vcc, exec, s[30:31]
	s_cbranch_vccnz .LBB30_797
; %bb.796:
	v_cvt_i32_f32_e32 v1, v0
	global_store_short v[2:3], v1, off
.LBB30_797:
	s_mov_b64 s[30:31], 0
.LBB30_798:
	s_andn2_b64 vcc, exec, s[30:31]
	s_cbranch_vccnz .LBB30_803
; %bb.799:
	v_mov_b32_e32 v1, 0
	v_cmp_gt_i16_sdwa s[34:35], s3, v1 src0_sel:BYTE_0 src1_sel:DWORD
	s_mov_b64 s[30:31], -1
	s_and_b64 vcc, exec, s[34:35]
	s_cbranch_vccz .LBB30_801
; %bb.800:
	v_cvt_i32_f32_e32 v1, v0
	s_mov_b64 s[30:31], 0
	global_store_byte v[2:3], v1, off
.LBB30_801:
	s_andn2_b64 vcc, exec, s[30:31]
	s_cbranch_vccnz .LBB30_803
; %bb.802:
	v_trunc_f32_e32 v0, v0
	s_mov_b32 s30, 0x2f800000
	v_mul_f32_e64 v1, |v0|, s30
	v_floor_f32_e32 v1, v1
	s_mov_b32 s30, 0xcf800000
	v_fma_f32 v1, v1, s30, |v0|
	v_cvt_u32_f32_e32 v1, v1
	v_ashrrev_i32_e32 v0, 31, v0
	v_xor_b32_e32 v1, v1, v0
	v_sub_u32_e32 v0, v1, v0
	global_store_byte v[2:3], v0, off
.LBB30_803:
	s_mov_b64 s[30:31], -1
.LBB30_804:
	s_andn2_b64 vcc, exec, s[30:31]
	s_cbranch_vccnz .LBB30_806
; %bb.805:
	v_add_u32_e32 v7, 0x80, v7
	s_mov_b64 s[34:35], -1
	s_branch .LBB30_807
.LBB30_806:
	s_mov_b64 s[34:35], 0
                                        ; implicit-def: $vgpr7
.LBB30_807:
	s_andn2_b64 s[30:31], s[22:23], exec
	s_and_b64 s[0:1], s[0:1], exec
	s_or_b64 s[30:31], s[30:31], s[0:1]
	s_andn2_b64 s[0:1], s[20:21], exec
	s_and_b64 s[28:29], s[28:29], exec
	s_or_b64 s[0:1], s[0:1], s[28:29]
	s_orn2_b64 s[36:37], s[34:35], exec
.LBB30_808:
	s_or_b64 exec, exec, s[26:27]
	s_mov_b64 s[34:35], 0
	s_mov_b64 s[28:29], 0
	;; [unrolled: 1-line block ×3, first 2 shown]
                                        ; implicit-def: $vgpr0_vgpr1
                                        ; implicit-def: $vgpr5
	s_and_saveexec_b64 s[26:27], s[36:37]
	s_cbranch_execz .LBB30_893
; %bb.809:
	v_cmp_gt_i32_e32 vcc, s33, v7
	s_mov_b64 s[36:37], 0
	s_mov_b64 s[40:41], s[0:1]
	;; [unrolled: 1-line block ×3, first 2 shown]
                                        ; implicit-def: $vgpr0_vgpr1
                                        ; implicit-def: $vgpr5
	s_and_saveexec_b64 s[28:29], vcc
	s_cbranch_execz .LBB30_892
; %bb.810:
	v_mul_lo_u32 v0, v7, s13
	v_ashrrev_i32_e32 v1, 31, v0
	s_waitcnt vmcnt(0)
	v_mov_b32_e32 v2, s11
	v_add_co_u32_e32 v0, vcc, s10, v0
	v_addc_co_u32_e32 v1, vcc, v2, v1, vcc
	v_cmp_gt_i16_e32 vcc, 11, v8
	s_cbranch_vccnz .LBB30_817
; %bb.811:
	v_cmp_lt_i16_e32 vcc, 25, v8
	s_cbranch_vccz .LBB30_818
; %bb.812:
	v_cmp_lt_i16_e32 vcc, 28, v8
	s_cbranch_vccz .LBB30_819
	;; [unrolled: 3-line block ×4, first 2 shown]
; %bb.815:
	v_cmp_eq_u16_e32 vcc, 46, v8
	s_mov_b64 s[40:41], 0
	s_cbranch_vccz .LBB30_826
; %bb.816:
	global_load_dword v2, v[0:1], off
	s_mov_b64 s[38:39], -1
	s_waitcnt vmcnt(0)
	v_lshlrev_b32_e32 v5, 16, v2
	s_branch .LBB30_828
.LBB30_817:
	s_mov_b64 s[40:41], -1
                                        ; implicit-def: $vgpr5
	s_mov_b64 s[34:35], s[0:1]
	s_branch .LBB30_891
.LBB30_818:
	s_mov_b64 s[40:41], -1
	s_mov_b64 s[34:35], s[0:1]
                                        ; implicit-def: $vgpr5
	s_branch .LBB30_857
.LBB30_819:
	s_mov_b64 s[40:41], -1
	s_mov_b64 s[34:35], s[0:1]
                                        ; implicit-def: $vgpr5
	s_branch .LBB30_838
.LBB30_820:
	s_mov_b64 s[40:41], -1
	s_mov_b64 s[34:35], s[0:1]
                                        ; implicit-def: $vgpr5
	s_branch .LBB30_833
.LBB30_821:
	s_or_saveexec_b64 s[36:37], s[36:37]
                                        ; implicit-def: $sgpr38
	s_xor_b64 exec, exec, s[36:37]
	s_cbranch_execz .LBB30_717
.LBB30_822:
	s_mov_b32 s38, 0x46000000
	v_add_f32_e64 v1, |v0|, s38
	v_and_b32_e32 v1, 0xff, v1
	v_cmp_ne_u32_e32 vcc, 0, v1
	s_andn2_b64 s[34:35], s[34:35], exec
	s_and_b64 s[40:41], vcc, exec
	s_mov_b32 s38, 0
	s_or_b64 s[34:35], s[34:35], s[40:41]
	s_or_b64 exec, exec, s[36:37]
	v_mov_b32_e32 v4, s38
	s_and_saveexec_b64 s[36:37], s[34:35]
	s_cbranch_execnz .LBB30_718
	s_branch .LBB30_719
.LBB30_823:
	s_mov_b64 s[40:41], -1
	s_mov_b64 s[34:35], s[0:1]
	s_branch .LBB30_827
.LBB30_824:
	s_or_saveexec_b64 s[36:37], s[36:37]
                                        ; implicit-def: $sgpr38
	s_xor_b64 exec, exec, s[36:37]
	s_cbranch_execz .LBB30_730
.LBB30_825:
	s_mov_b32 s38, 0x42800000
	v_add_f32_e64 v1, |v0|, s38
	v_and_b32_e32 v1, 0xff, v1
	v_cmp_ne_u32_e32 vcc, 0, v1
	s_andn2_b64 s[34:35], s[34:35], exec
	s_and_b64 s[40:41], vcc, exec
	s_mov_b32 s38, 0
	s_or_b64 s[34:35], s[34:35], s[40:41]
	s_or_b64 exec, exec, s[36:37]
	v_mov_b32_e32 v4, s38
	s_and_saveexec_b64 s[36:37], s[34:35]
	s_cbranch_execnz .LBB30_731
	s_branch .LBB30_732
.LBB30_826:
	s_mov_b64 s[34:35], -1
.LBB30_827:
                                        ; implicit-def: $vgpr5
.LBB30_828:
	s_and_b64 vcc, exec, s[40:41]
	s_cbranch_vccz .LBB30_832
; %bb.829:
	v_cmp_eq_u16_e32 vcc, 44, v8
	s_cbranch_vccz .LBB30_831
; %bb.830:
	global_load_ubyte v2, v[0:1], off
	s_movk_i32 s33, 0xff
	v_mov_b32_e32 v3, 0x7f800001
	v_mov_b32_e32 v4, 0x400000
	s_mov_b64 s[34:35], 0
	s_mov_b64 s[38:39], -1
	s_waitcnt vmcnt(0)
	v_lshlrev_b32_e32 v5, 23, v2
	v_cmp_ne_u32_e32 vcc, s33, v2
	v_cndmask_b32_e32 v3, v3, v5, vcc
	v_cmp_ne_u32_e32 vcc, 0, v2
	v_cndmask_b32_e32 v5, v4, v3, vcc
	s_branch .LBB30_832
.LBB30_831:
	s_mov_b64 s[34:35], -1
                                        ; implicit-def: $vgpr5
.LBB30_832:
	s_mov_b64 s[40:41], 0
.LBB30_833:
	s_and_b64 vcc, exec, s[40:41]
	s_cbranch_vccz .LBB30_837
; %bb.834:
	v_cmp_eq_u16_e32 vcc, 29, v8
	s_cbranch_vccz .LBB30_836
; %bb.835:
	global_load_dwordx2 v[2:3], v[0:1], off
	s_mov_b64 s[34:35], 0
	s_mov_b64 s[38:39], -1
	s_mov_b64 s[40:41], 0
	s_waitcnt vmcnt(0)
	v_ffbh_u32_e32 v4, v3
	v_min_u32_e32 v4, 32, v4
	v_lshlrev_b64 v[2:3], v4, v[2:3]
	v_min_u32_e32 v2, 1, v2
	v_or_b32_e32 v2, v3, v2
	v_cvt_f32_u32_e32 v2, v2
	v_sub_u32_e32 v3, 32, v4
	v_ldexp_f32 v5, v2, v3
	s_branch .LBB30_838
.LBB30_836:
	s_mov_b64 s[34:35], -1
                                        ; implicit-def: $vgpr5
.LBB30_837:
	s_mov_b64 s[40:41], 0
.LBB30_838:
	s_and_b64 vcc, exec, s[40:41]
	s_cbranch_vccz .LBB30_856
; %bb.839:
	v_cmp_gt_i16_e32 vcc, 27, v8
	s_cbranch_vccnz .LBB30_842
; %bb.840:
	v_cmp_lt_i16_e32 vcc, 27, v8
	s_cbranch_vccz .LBB30_843
; %bb.841:
	global_load_dword v2, v[0:1], off
	s_mov_b64 s[38:39], 0
	s_waitcnt vmcnt(0)
	v_cvt_f32_u32_e32 v5, v2
	s_branch .LBB30_844
.LBB30_842:
	s_mov_b64 s[38:39], -1
                                        ; implicit-def: $vgpr5
	s_branch .LBB30_847
.LBB30_843:
	s_mov_b64 s[38:39], -1
                                        ; implicit-def: $vgpr5
.LBB30_844:
	s_andn2_b64 vcc, exec, s[38:39]
	s_cbranch_vccnz .LBB30_846
; %bb.845:
	global_load_ushort v2, v[0:1], off
	s_waitcnt vmcnt(0)
	v_cvt_f32_u32_e32 v5, v2
.LBB30_846:
	s_mov_b64 s[38:39], 0
.LBB30_847:
	s_andn2_b64 vcc, exec, s[38:39]
	s_cbranch_vccnz .LBB30_855
; %bb.848:
	global_load_ubyte v2, v[0:1], off
	s_movk_i32 s33, 0x7f
	s_mov_b64 s[38:39], 0
	s_waitcnt vmcnt(0)
	v_cmp_lt_i16_e32 vcc, s33, v2
                                        ; implicit-def: $sgpr33
	s_and_saveexec_b64 s[40:41], vcc
	s_xor_b64 s[40:41], exec, s[40:41]
	s_cbranch_execz .LBB30_869
; %bb.849:
	s_movk_i32 s33, 0x80
	v_cmp_eq_u16_e32 vcc, s33, v2
	s_mov_b64 s[38:39], -1
                                        ; implicit-def: $sgpr33
	s_and_saveexec_b64 s[42:43], vcc
; %bb.850:
	s_mov_b32 s33, 0x7f800001
	s_xor_b64 s[38:39], exec, -1
; %bb.851:
	s_or_b64 exec, exec, s[42:43]
	s_and_b64 s[38:39], s[38:39], exec
	s_or_saveexec_b64 s[40:41], s[40:41]
	v_mov_b32_e32 v5, s33
	s_xor_b64 exec, exec, s[40:41]
	s_cbranch_execnz .LBB30_870
.LBB30_852:
	s_or_b64 exec, exec, s[40:41]
	s_and_saveexec_b64 s[40:41], s[38:39]
	s_cbranch_execz .LBB30_854
.LBB30_853:
	v_lshlrev_b32_e32 v3, 24, v2
	v_and_b32_e32 v2, 0xffff, v2
	v_and_b32_e32 v4, 7, v2
	v_ffbh_u32_e32 v6, v4
	v_min_u32_e32 v6, 32, v6
	v_subrev_u32_e32 v9, 28, v6
	v_bfe_u32 v5, v2, 3, 4
	v_lshlrev_b32_e32 v2, v9, v2
	v_sub_u32_e32 v6, 29, v6
	v_and_b32_e32 v2, 7, v2
	v_cmp_eq_u32_e32 vcc, 0, v5
	v_cndmask_b32_e32 v5, v5, v6, vcc
	v_cndmask_b32_e32 v2, v4, v2, vcc
	v_mov_b32_e32 v4, 0x3b800000
	v_lshlrev_b32_e32 v2, 20, v2
	v_and_b32_e32 v3, 0x80000000, v3
	v_lshl_add_u32 v4, v5, 23, v4
	v_or3_b32 v5, v3, v4, v2
.LBB30_854:
	s_or_b64 exec, exec, s[40:41]
.LBB30_855:
	s_mov_b64 s[38:39], -1
.LBB30_856:
	s_mov_b64 s[40:41], 0
.LBB30_857:
	s_and_b64 vcc, exec, s[40:41]
	s_cbranch_vccz .LBB30_890
; %bb.858:
	v_cmp_lt_i16_e32 vcc, 22, v8
	s_cbranch_vccz .LBB30_868
; %bb.859:
	v_cmp_gt_i16_e32 vcc, 24, v8
	s_cbranch_vccnz .LBB30_871
; %bb.860:
	v_cmp_lt_i16_e32 vcc, 24, v8
	s_cbranch_vccz .LBB30_872
; %bb.861:
	global_load_ubyte v2, v[0:1], off
	s_movk_i32 s33, 0x7f
	s_waitcnt vmcnt(0)
	v_cmp_lt_i16_e32 vcc, s33, v2
                                        ; implicit-def: $sgpr33
	s_and_saveexec_b64 s[38:39], vcc
	s_xor_b64 s[38:39], exec, s[38:39]
	s_cbranch_execz .LBB30_884
; %bb.862:
	s_movk_i32 s33, 0x80
	v_cmp_eq_u16_e32 vcc, s33, v2
	s_mov_b64 s[36:37], -1
                                        ; implicit-def: $sgpr33
	s_and_saveexec_b64 s[40:41], vcc
; %bb.863:
	s_mov_b32 s33, 0x7f800001
	s_xor_b64 s[36:37], exec, -1
; %bb.864:
	s_or_b64 exec, exec, s[40:41]
	s_and_b64 s[36:37], s[36:37], exec
	s_or_saveexec_b64 s[38:39], s[38:39]
	v_mov_b32_e32 v5, s33
	s_xor_b64 exec, exec, s[38:39]
	s_cbranch_execnz .LBB30_885
.LBB30_865:
	s_or_b64 exec, exec, s[38:39]
	s_and_saveexec_b64 s[38:39], s[36:37]
	s_cbranch_execz .LBB30_867
.LBB30_866:
	v_lshlrev_b32_e32 v3, 24, v2
	v_and_b32_e32 v2, 0xffff, v2
	v_and_b32_e32 v4, 3, v2
	v_ffbh_u32_e32 v6, v4
	v_min_u32_e32 v6, 32, v6
	v_subrev_u32_e32 v9, 29, v6
	v_bfe_u32 v5, v2, 2, 5
	v_lshlrev_b32_e32 v2, v9, v2
	v_sub_u32_e32 v6, 30, v6
	v_and_b32_e32 v2, 3, v2
	v_cmp_eq_u32_e32 vcc, 0, v5
	v_cndmask_b32_e32 v5, v5, v6, vcc
	v_cndmask_b32_e32 v2, v4, v2, vcc
	v_mov_b32_e32 v4, 0x37800000
	v_lshlrev_b32_e32 v2, 21, v2
	v_and_b32_e32 v3, 0x80000000, v3
	v_lshl_add_u32 v4, v5, 23, v4
	v_or3_b32 v5, v3, v4, v2
.LBB30_867:
	s_or_b64 exec, exec, s[38:39]
	s_mov_b64 s[36:37], 0
	s_branch .LBB30_873
.LBB30_868:
	s_mov_b64 s[36:37], -1
                                        ; implicit-def: $vgpr5
	s_branch .LBB30_879
.LBB30_869:
	s_or_saveexec_b64 s[40:41], s[40:41]
	v_mov_b32_e32 v5, s33
	s_xor_b64 exec, exec, s[40:41]
	s_cbranch_execz .LBB30_852
.LBB30_870:
	v_cmp_ne_u16_e32 vcc, 0, v2
	s_andn2_b64 s[38:39], s[38:39], exec
	s_and_b64 s[42:43], vcc, exec
	v_mov_b32_e32 v5, 0
	s_or_b64 s[38:39], s[38:39], s[42:43]
	s_or_b64 exec, exec, s[40:41]
	s_and_saveexec_b64 s[40:41], s[38:39]
	s_cbranch_execnz .LBB30_853
	s_branch .LBB30_854
.LBB30_871:
	s_mov_b64 s[36:37], -1
                                        ; implicit-def: $vgpr5
	s_branch .LBB30_876
.LBB30_872:
	s_mov_b64 s[36:37], -1
                                        ; implicit-def: $vgpr5
.LBB30_873:
	s_and_b64 vcc, exec, s[36:37]
	s_cbranch_vccz .LBB30_875
; %bb.874:
	global_load_ubyte v2, v[0:1], off
	s_mov_b32 s33, 0x7f800000
	s_waitcnt vmcnt(0)
	v_lshlrev_b32_e32 v2, 24, v2
	v_and_b32_e32 v3, 0x7f000000, v2
	v_ffbh_u32_e32 v4, v3
	v_min_u32_e32 v4, 32, v4
	v_sub_u32_e64 v4, v4, 4 clamp
	v_lshlrev_b32_e32 v6, v4, v3
	v_lshlrev_b32_e32 v4, 23, v4
	v_lshrrev_b32_e32 v6, 4, v6
	v_add_u32_e32 v5, 0x1000000, v3
	v_sub_u32_e32 v4, v6, v4
	v_ashrrev_i32_e32 v5, 8, v5
	v_add_u32_e32 v4, 0x3c000000, v4
	v_and_or_b32 v4, v5, s33, v4
	v_cmp_ne_u32_e32 vcc, 0, v3
	v_cndmask_b32_e32 v3, 0, v4, vcc
	s_brev_b32 s33, 1
	v_and_or_b32 v5, v2, s33, v3
.LBB30_875:
	s_mov_b64 s[36:37], 0
.LBB30_876:
	s_andn2_b64 vcc, exec, s[36:37]
	s_cbranch_vccnz .LBB30_878
; %bb.877:
	global_load_ubyte v2, v[0:1], off
	s_movk_i32 s33, 0x7f00
	s_brev_b32 s36, 16
	s_waitcnt vmcnt(0)
	v_lshlrev_b16_e32 v3, 8, v2
	v_lshlrev_b32_e32 v2, 25, v2
	v_lshrrev_b32_e32 v4, 4, v2
	v_and_or_b32 v5, v3, s33, 0.5
	v_or_b32_e32 v4, 0x70000000, v4
	v_add_f32_e32 v5, -0.5, v5
	v_mul_f32_e32 v4, 0x7800000, v4
	v_cmp_gt_u32_e32 vcc, s36, v2
	v_bfe_i32 v3, v3, 0, 16
	v_cndmask_b32_e32 v2, v4, v5, vcc
	s_brev_b32 s33, 1
	v_and_or_b32 v5, v3, s33, v2
.LBB30_878:
	s_mov_b64 s[36:37], 0
	s_mov_b64 s[38:39], -1
.LBB30_879:
	s_andn2_b64 vcc, exec, s[36:37]
	s_mov_b64 s[36:37], 0
	s_cbranch_vccnz .LBB30_890
; %bb.880:
	v_cmp_lt_i16_e32 vcc, 14, v8
	s_cbranch_vccz .LBB30_883
; %bb.881:
	v_cmp_eq_u16_e32 vcc, 15, v8
	s_cbranch_vccz .LBB30_886
; %bb.882:
	global_load_ushort v2, v[0:1], off
	s_mov_b64 s[34:35], 0
	s_mov_b64 s[38:39], -1
	s_waitcnt vmcnt(0)
	v_lshlrev_b32_e32 v5, 16, v2
	s_branch .LBB30_887
.LBB30_883:
	s_mov_b64 s[40:41], -1
                                        ; implicit-def: $vgpr5
	s_branch .LBB30_888
.LBB30_884:
	s_or_saveexec_b64 s[38:39], s[38:39]
	v_mov_b32_e32 v5, s33
	s_xor_b64 exec, exec, s[38:39]
	s_cbranch_execz .LBB30_865
.LBB30_885:
	v_cmp_ne_u16_e32 vcc, 0, v2
	s_andn2_b64 s[36:37], s[36:37], exec
	s_and_b64 s[40:41], vcc, exec
	v_mov_b32_e32 v5, 0
	s_or_b64 s[36:37], s[36:37], s[40:41]
	s_or_b64 exec, exec, s[38:39]
	s_and_saveexec_b64 s[38:39], s[36:37]
	s_cbranch_execnz .LBB30_866
	s_branch .LBB30_867
.LBB30_886:
	s_mov_b64 s[34:35], -1
                                        ; implicit-def: $vgpr5
.LBB30_887:
	s_mov_b64 s[40:41], 0
.LBB30_888:
	s_and_b64 vcc, exec, s[40:41]
	s_cbranch_vccz .LBB30_890
; %bb.889:
	v_cmp_ne_u16_e32 vcc, 11, v8
	s_andn2_b64 s[34:35], s[34:35], exec
	s_and_b64 s[40:41], vcc, exec
	s_mov_b64 s[36:37], -1
	s_or_b64 s[34:35], s[34:35], s[40:41]
                                        ; implicit-def: $vgpr5
.LBB30_890:
	s_mov_b64 s[40:41], 0
.LBB30_891:
	s_and_b64 s[42:43], s[40:41], exec
	s_andn2_b64 s[40:41], s[0:1], exec
	s_and_b64 s[34:35], s[34:35], exec
	s_and_b64 s[38:39], s[38:39], exec
	;; [unrolled: 1-line block ×3, first 2 shown]
	s_or_b64 s[40:41], s[40:41], s[34:35]
.LBB30_892:
	s_or_b64 exec, exec, s[28:29]
	s_and_b64 s[34:35], s[36:37], exec
	s_andn2_b64 s[0:1], s[0:1], exec
	s_and_b64 s[36:37], s[40:41], exec
	s_and_b64 s[38:39], s[38:39], exec
	;; [unrolled: 1-line block ×3, first 2 shown]
	s_or_b64 s[0:1], s[0:1], s[36:37]
.LBB30_893:
	s_or_b64 exec, exec, s[26:27]
	s_andn2_b64 s[22:23], s[22:23], exec
	s_and_b64 s[26:27], s[30:31], exec
	s_andn2_b64 s[20:21], s[20:21], exec
	s_and_b64 s[0:1], s[0:1], exec
	s_or_b64 s[22:23], s[22:23], s[26:27]
	s_and_b64 s[30:31], s[38:39], exec
	s_and_b64 s[28:29], s[28:29], exec
	;; [unrolled: 1-line block ×3, first 2 shown]
	s_or_b64 s[20:21], s[20:21], s[0:1]
.LBB30_894:
	s_or_b64 exec, exec, s[24:25]
	s_andn2_b64 s[0:1], s[14:15], exec
	s_and_b64 s[14:15], s[22:23], exec
	s_andn2_b64 s[16:17], s[16:17], exec
	s_and_b64 s[20:21], s[20:21], exec
	s_or_b64 s[14:15], s[0:1], s[14:15]
	s_and_b64 s[0:1], s[30:31], exec
	s_and_b64 s[24:25], s[28:29], exec
	s_and_b64 s[22:23], s[26:27], exec
	s_or_b64 s[16:17], s[16:17], s[20:21]
	s_or_b64 exec, exec, s[18:19]
	s_mov_b64 s[18:19], 0
	s_and_saveexec_b64 s[20:21], s[16:17]
	s_cbranch_execz .LBB30_274
.LBB30_895:
	s_mov_b64 s[18:19], exec
	s_andn2_b64 s[22:23], s[22:23], exec
	s_trap 2
                                        ; implicit-def: $vgpr5
	s_or_b64 exec, exec, s[20:21]
	s_and_saveexec_b64 s[16:17], s[22:23]
	s_xor_b64 s[16:17], exec, s[16:17]
	s_cbranch_execnz .LBB30_275
.LBB30_896:
	s_or_b64 exec, exec, s[16:17]
	s_and_saveexec_b64 s[16:17], s[24:25]
	s_cbranch_execz .LBB30_942
.LBB30_897:
	v_cmp_gt_i16_e32 vcc, 5, v8
	s_cbranch_vccnz .LBB30_902
; %bb.898:
	v_cmp_gt_i16_e32 vcc, 8, v8
	s_cbranch_vccnz .LBB30_903
; %bb.899:
	;; [unrolled: 3-line block ×3, first 2 shown]
	v_cmp_lt_i16_e32 vcc, 9, v8
	s_cbranch_vccz .LBB30_905
; %bb.901:
	global_load_dwordx2 v[2:3], v[0:1], off
	s_mov_b64 s[20:21], 0
	s_waitcnt vmcnt(0)
	v_cvt_f32_f64_e32 v5, v[2:3]
	s_branch .LBB30_906
.LBB30_902:
                                        ; implicit-def: $vgpr5
	s_branch .LBB30_923
.LBB30_903:
                                        ; implicit-def: $vgpr5
	s_branch .LBB30_912
.LBB30_904:
	s_mov_b64 s[20:21], -1
                                        ; implicit-def: $vgpr5
	s_branch .LBB30_909
.LBB30_905:
	s_mov_b64 s[20:21], -1
                                        ; implicit-def: $vgpr5
.LBB30_906:
	s_andn2_b64 vcc, exec, s[20:21]
	s_cbranch_vccnz .LBB30_908
; %bb.907:
	global_load_dword v5, v[0:1], off
.LBB30_908:
	s_mov_b64 s[20:21], 0
.LBB30_909:
	s_andn2_b64 vcc, exec, s[20:21]
	s_cbranch_vccnz .LBB30_911
; %bb.910:
	global_load_dword v2, v[0:1], off
	s_waitcnt vmcnt(0)
	v_cvt_f32_f16_e32 v5, v2
.LBB30_911:
	s_cbranch_execnz .LBB30_922
.LBB30_912:
	v_cmp_gt_i16_e32 vcc, 6, v8
	s_cbranch_vccnz .LBB30_915
; %bb.913:
	v_cmp_lt_i16_e32 vcc, 6, v8
	s_cbranch_vccz .LBB30_916
; %bb.914:
	global_load_dwordx2 v[2:3], v[0:1], off
	s_mov_b64 s[20:21], 0
	s_waitcnt vmcnt(0)
	v_cvt_f32_f64_e32 v5, v[2:3]
	s_branch .LBB30_917
.LBB30_915:
	s_mov_b64 s[20:21], -1
                                        ; implicit-def: $vgpr5
	s_branch .LBB30_920
.LBB30_916:
	s_mov_b64 s[20:21], -1
                                        ; implicit-def: $vgpr5
.LBB30_917:
	s_andn2_b64 vcc, exec, s[20:21]
	s_cbranch_vccnz .LBB30_919
; %bb.918:
	global_load_dword v5, v[0:1], off
.LBB30_919:
	s_mov_b64 s[20:21], 0
.LBB30_920:
	s_andn2_b64 vcc, exec, s[20:21]
	s_cbranch_vccnz .LBB30_922
; %bb.921:
	global_load_ushort v2, v[0:1], off
	s_waitcnt vmcnt(0)
	v_cvt_f32_f16_e32 v5, v2
.LBB30_922:
	s_cbranch_execnz .LBB30_941
.LBB30_923:
	v_cmp_gt_i16_e32 vcc, 2, v8
	s_cbranch_vccnz .LBB30_927
; %bb.924:
	v_cmp_gt_i16_e32 vcc, 3, v8
	s_cbranch_vccnz .LBB30_928
; %bb.925:
	v_cmp_lt_i16_e32 vcc, 3, v8
	s_cbranch_vccz .LBB30_929
; %bb.926:
	global_load_dwordx2 v[2:3], v[0:1], off
	s_mov_b64 s[20:21], 0
	s_waitcnt vmcnt(0)
	v_xor_b32_e32 v5, v2, v3
	v_ffbh_i32_e32 v4, v3
	v_ashrrev_i32_e32 v5, 31, v5
	v_add_u32_e32 v4, -1, v4
	v_add_u32_e32 v5, 32, v5
	v_min_u32_e32 v4, v4, v5
	v_lshlrev_b64 v[2:3], v4, v[2:3]
	v_min_u32_e32 v2, 1, v2
	v_or_b32_e32 v2, v3, v2
	v_cvt_f32_i32_e32 v2, v2
	v_sub_u32_e32 v3, 32, v4
	v_ldexp_f32 v5, v2, v3
	s_branch .LBB30_930
.LBB30_927:
                                        ; implicit-def: $vgpr5
	s_branch .LBB30_936
.LBB30_928:
	s_mov_b64 s[20:21], -1
                                        ; implicit-def: $vgpr5
	s_branch .LBB30_933
.LBB30_929:
	s_mov_b64 s[20:21], -1
                                        ; implicit-def: $vgpr5
.LBB30_930:
	s_andn2_b64 vcc, exec, s[20:21]
	s_cbranch_vccnz .LBB30_932
; %bb.931:
	global_load_dword v2, v[0:1], off
	s_waitcnt vmcnt(0)
	v_cvt_f32_i32_e32 v5, v2
.LBB30_932:
	s_mov_b64 s[20:21], 0
.LBB30_933:
	s_andn2_b64 vcc, exec, s[20:21]
	s_cbranch_vccnz .LBB30_935
; %bb.934:
	global_load_sshort v2, v[0:1], off
	s_waitcnt vmcnt(0)
	v_cvt_f32_i32_e32 v5, v2
.LBB30_935:
	s_cbranch_execnz .LBB30_941
.LBB30_936:
	v_cmp_lt_i16_e32 vcc, 0, v8
	s_cbranch_vccz .LBB30_938
; %bb.937:
	global_load_sbyte v2, v[0:1], off
	s_mov_b64 s[20:21], 0
	s_waitcnt vmcnt(0)
	v_cvt_f32_i32_e32 v5, v2
	s_branch .LBB30_939
.LBB30_938:
	s_mov_b64 s[20:21], -1
                                        ; implicit-def: $vgpr5
.LBB30_939:
	s_andn2_b64 vcc, exec, s[20:21]
	s_cbranch_vccnz .LBB30_941
; %bb.940:
	global_load_ubyte v0, v[0:1], off
	s_waitcnt vmcnt(0)
	v_cvt_f32_ubyte0_e32 v5, v0
.LBB30_941:
	s_or_b64 s[0:1], s[0:1], exec
.LBB30_942:
	s_or_b64 exec, exec, s[16:17]
	s_mov_b64 s[22:23], 0
	s_mov_b64 s[20:21], 0
                                        ; implicit-def: $vgpr4
                                        ; implicit-def: $vgpr2_vgpr3
                                        ; implicit-def: $vgpr0
	s_and_saveexec_b64 s[16:17], s[0:1]
	s_cbranch_execz .LBB30_972
; %bb.943:
	s_waitcnt vmcnt(0)
	v_trunc_f32_e32 v0, v5
	s_mov_b32 s0, 0x2f800000
	v_mul_f32_e64 v1, |v0|, s0
	v_floor_f32_e32 v1, v1
	s_mov_b32 s0, 0xcf800000
	v_cvt_u32_f32_e32 v2, v1
	v_fma_f32 v1, v1, s0, |v0|
	v_cvt_u32_f32_e32 v1, v1
	v_ashrrev_i32_e32 v0, 31, v0
	v_xor_b32_e32 v3, v2, v0
	v_xor_b32_e32 v1, v1, v0
	v_sub_co_u32_e32 v2, vcc, v1, v0
	v_subb_co_u32_e32 v3, vcc, v3, v0, vcc
	v_cmp_lt_i64_e32 vcc, -1, v[2:3]
	v_mov_b32_e32 v0, 0
	s_and_saveexec_b64 s[0:1], vcc
	s_cbranch_execz .LBB30_955
; %bb.944:
	v_cmp_lt_i64_e32 vcc, 0, v[2:3]
	v_mov_b32_e32 v0, 1.0
	s_and_saveexec_b64 s[20:21], vcc
	s_cbranch_execz .LBB30_954
; %bb.945:
	v_cmp_ne_u64_e32 vcc, 1, v[2:3]
                                        ; implicit-def: $vgpr0
	s_and_saveexec_b64 s[22:23], vcc
	s_xor_b64 s[22:23], exec, s[22:23]
	s_cbranch_execz .LBB30_951
; %bb.946:
	s_mov_b64 s[24:25], 0x81
	v_cmp_gt_u64_e32 vcc, s[24:25], v[2:3]
	v_mov_b32_e32 v0, 0x7fc00000
	s_and_saveexec_b64 s[24:25], vcc
	s_cbranch_execz .LBB30_950
; %bb.947:
	s_mov_b64 s[28:29], 1
	s_mov_b64 s[26:27], 0
	v_mov_b32_e32 v0, s2
	v_mov_b32_e32 v1, 1.0
.LBB30_948:                             ; =>This Inner Loop Header: Depth=1
	s_flbit_i32_b32 s30, s29
	s_min_u32 s33, s30, 32
	s_lshl_b64 s[30:31], s[28:29], s33
	s_min_u32 s30, s30, 1
	s_or_b32 s30, s31, s30
	v_cvt_f32_u32_e32 v4, s30
	s_sub_i32 s33, 32, s33
	s_add_u32 s28, s28, 1
	s_addc_u32 s29, s29, 0
	v_ldexp_f32 v4, v4, s33
	v_cmp_eq_u64_e32 vcc, s[28:29], v[2:3]
	v_mul_f32_e32 v4, v1, v4
	s_or_b64 s[26:27], vcc, s[26:27]
	v_mov_b32_e32 v1, v0
	v_fma_f32 v0, s2, v0, -v4
	s_andn2_b64 exec, exec, s[26:27]
	s_cbranch_execnz .LBB30_948
; %bb.949:
	s_or_b64 exec, exec, s[26:27]
.LBB30_950:
	s_or_b64 exec, exec, s[24:25]
.LBB30_951:
	s_andn2_saveexec_b64 s[22:23], s[22:23]
; %bb.952:
	v_mov_b32_e32 v0, s2
; %bb.953:
	s_or_b64 exec, exec, s[22:23]
.LBB30_954:
	s_or_b64 exec, exec, s[20:21]
.LBB30_955:
	s_or_b64 exec, exec, s[0:1]
	v_mul_lo_u32 v1, v7, s12
	v_ashrrev_i32_e32 v3, 31, v1
	v_mov_b32_e32 v4, s9
	v_add_co_u32_e32 v2, vcc, s8, v1
	v_mov_b32_e32 v1, 0xff
	v_addc_co_u32_e32 v3, vcc, v4, v3, vcc
	v_and_b32_e32 v4, s3, v1
	v_cmp_gt_i16_e32 vcc, 11, v4
	s_cbranch_vccnz .LBB30_975
; %bb.956:
	v_cmp_lt_i16_e32 vcc, 25, v4
	s_mov_b64 s[22:23], -1
	s_mov_b64 s[0:1], s[14:15]
	s_cbranch_vccz .LBB30_993
; %bb.957:
	v_cmp_lt_i16_e32 vcc, 28, v4
	s_mov_b64 s[20:21], -1
	s_mov_b64 s[0:1], s[14:15]
	s_cbranch_vccz .LBB30_977
; %bb.958:
	v_cmp_lt_i16_e32 vcc, 43, v4
	s_mov_b64 s[0:1], s[14:15]
	s_cbranch_vccz .LBB30_969
; %bb.959:
	v_cmp_lt_i16_e32 vcc, 45, v4
	s_mov_b64 s[0:1], s[14:15]
	s_cbranch_vccz .LBB30_963
; %bb.960:
	v_cmp_eq_u16_e32 vcc, 46, v4
	s_mov_b64 s[0:1], -1
	s_cbranch_vccz .LBB30_962
; %bb.961:
	v_bfe_u32 v1, v0, 16, 1
	s_movk_i32 s0, 0x7fff
	v_add3_u32 v1, v0, v1, s0
	v_lshrrev_b32_e32 v1, 16, v1
	v_mov_b32_e32 v5, 0x7fc0
	v_cmp_o_f32_e32 vcc, v0, v0
	v_cndmask_b32_e32 v1, v5, v1, vcc
	global_store_dword v[2:3], v1, off
	s_mov_b64 s[0:1], 0
.LBB30_962:
	s_mov_b64 s[20:21], 0
.LBB30_963:
	s_and_b64 vcc, exec, s[20:21]
	s_cbranch_vccz .LBB30_968
; %bb.964:
	v_cmp_eq_u16_e32 vcc, 44, v4
	s_mov_b64 s[0:1], -1
	s_cbranch_vccz .LBB30_968
; %bb.965:
	v_bfe_u32 v1, v0, 23, 8
	s_movk_i32 s0, 0xff
	v_cmp_ne_u32_e32 vcc, s0, v1
	v_mov_b32_e32 v5, 0xff
	s_and_saveexec_b64 s[20:21], vcc
; %bb.966:
	s_mov_b32 s0, 0x3fffff
	v_and_b32_e32 v6, 0x400000, v0
	v_and_or_b32 v1, v0, s0, v1
	v_cmp_ne_u32_e32 vcc, 0, v6
	v_cmp_ne_u32_e64 s[0:1], 0, v1
	s_and_b64 s[0:1], vcc, s[0:1]
	v_lshrrev_b32_e32 v5, 23, v0
	v_cndmask_b32_e64 v1, 0, 1, s[0:1]
	v_add_u32_e32 v5, v5, v1
; %bb.967:
	s_or_b64 exec, exec, s[20:21]
	s_mov_b64 s[0:1], 0
	global_store_byte v[2:3], v5, off
.LBB30_968:
	s_mov_b64 s[20:21], 0
.LBB30_969:
	s_and_b64 vcc, exec, s[20:21]
	s_cbranch_vccz .LBB30_976
; %bb.970:
	v_cmp_eq_u16_e32 vcc, 29, v4
	s_mov_b64 s[0:1], -1
	s_cbranch_vccz .LBB30_976
; %bb.971:
	v_trunc_f32_e32 v1, v0
	v_mul_f32_e32 v5, 0x2f800000, v1
	v_floor_f32_e32 v5, v5
	v_fmac_f32_e32 v1, 0xcf800000, v5
	v_cvt_u32_f32_e32 v7, v5
	v_cvt_u32_f32_e32 v6, v1
	s_mov_b64 s[0:1], 0
	s_mov_b64 s[20:21], 0
	global_store_dwordx2 v[2:3], v[6:7], off
	s_branch .LBB30_977
.LBB30_972:
	s_or_b64 exec, exec, s[16:17]
	s_and_saveexec_b64 s[0:1], s[14:15]
	s_cbranch_execnz .LBB30_1035
.LBB30_973:
	s_or_b64 exec, exec, s[0:1]
	s_and_saveexec_b64 s[0:1], s[22:23]
	s_xor_b64 s[0:1], exec, s[0:1]
	s_cbranch_execz .LBB30_1036
.LBB30_974:
	v_cmp_neq_f32_e32 vcc, 0, v0
	v_cndmask_b32_e64 v1, 0, 1, vcc
	s_waitcnt vmcnt(0)
	global_store_byte v[2:3], v1, off
	s_or_b64 exec, exec, s[0:1]
	s_and_saveexec_b64 s[0:1], s[20:21]
	s_xor_b64 s[0:1], exec, s[0:1]
	s_cbranch_execz .LBB30_1074
	s_branch .LBB30_1037
.LBB30_975:
	s_mov_b64 s[22:23], 0
	s_mov_b64 s[20:21], -1
	s_mov_b64 s[0:1], s[14:15]
	s_branch .LBB30_1034
.LBB30_976:
	s_mov_b64 s[20:21], 0
.LBB30_977:
	s_and_b64 vcc, exec, s[20:21]
	s_cbranch_vccz .LBB30_992
; %bb.978:
	v_cmp_gt_i16_e32 vcc, 27, v4
	s_mov_b64 s[20:21], -1
	s_cbranch_vccnz .LBB30_984
; %bb.979:
	v_cvt_u32_f32_e32 v1, v0
	v_cmp_lt_i16_e32 vcc, 27, v4
	s_cbranch_vccz .LBB30_981
; %bb.980:
	s_mov_b64 s[20:21], 0
	global_store_dword v[2:3], v1, off
.LBB30_981:
	s_andn2_b64 vcc, exec, s[20:21]
	s_cbranch_vccnz .LBB30_983
; %bb.982:
	global_store_short v[2:3], v1, off
.LBB30_983:
	s_mov_b64 s[20:21], 0
.LBB30_984:
	s_andn2_b64 vcc, exec, s[20:21]
	s_cbranch_vccnz .LBB30_992
; %bb.985:
	v_and_b32_e32 v1, 0x7fffffff, v0
	s_mov_b32 s20, 0x43800000
	v_cmp_gt_u32_e32 vcc, s20, v1
	v_mov_b32_e32 v5, 0x80
	s_and_saveexec_b64 s[20:21], vcc
	s_cbranch_execz .LBB30_991
; %bb.986:
	s_mov_b32 s22, 0x3bffffff
	v_cmp_lt_u32_e32 vcc, s22, v1
	s_mov_b64 s[22:23], 0
                                        ; implicit-def: $vgpr1
	s_and_saveexec_b64 s[24:25], vcc
	s_xor_b64 s[24:25], exec, s[24:25]
	s_cbranch_execz .LBB30_1089
; %bb.987:
	v_bfe_u32 v1, v0, 20, 1
	s_mov_b32 s26, 0x487ffff
	v_add3_u32 v1, v0, v1, s26
	s_mov_b64 s[22:23], exec
	v_lshrrev_b32_e32 v1, 20, v1
	s_or_saveexec_b64 s[24:25], s[24:25]
                                        ; implicit-def: $sgpr26
	s_xor_b64 exec, exec, s[24:25]
	s_cbranch_execnz .LBB30_1090
.LBB30_988:
	s_or_b64 exec, exec, s[24:25]
	v_mov_b32_e32 v5, s26
	s_and_saveexec_b64 s[24:25], s[22:23]
.LBB30_989:
	v_lshrrev_b32_e32 v5, 24, v0
	s_movk_i32 s22, 0x80
	v_and_or_b32 v5, v5, s22, v1
.LBB30_990:
	s_or_b64 exec, exec, s[24:25]
.LBB30_991:
	s_or_b64 exec, exec, s[20:21]
	global_store_byte v[2:3], v5, off
.LBB30_992:
	s_mov_b64 s[22:23], 0
.LBB30_993:
	s_mov_b64 s[20:21], 0
	s_and_b64 vcc, exec, s[22:23]
	s_cbranch_vccz .LBB30_1033
; %bb.994:
	v_cmp_lt_i16_e32 vcc, 22, v4
	s_mov_b64 s[22:23], -1
	s_cbranch_vccz .LBB30_1026
; %bb.995:
	v_cmp_gt_i16_e32 vcc, 24, v4
	s_cbranch_vccnz .LBB30_1015
; %bb.996:
	v_cmp_lt_i16_e32 vcc, 24, v4
	s_cbranch_vccz .LBB30_1004
; %bb.997:
	v_and_b32_e32 v1, 0x7fffffff, v0
	s_mov_b32 s22, 0x47800000
	v_cmp_gt_u32_e32 vcc, s22, v1
	v_mov_b32_e32 v5, 0x80
	s_and_saveexec_b64 s[22:23], vcc
	s_cbranch_execz .LBB30_1003
; %bb.998:
	s_mov_b32 s24, 0x37ffffff
	v_cmp_lt_u32_e32 vcc, s24, v1
	s_mov_b64 s[24:25], 0
                                        ; implicit-def: $vgpr1
	s_and_saveexec_b64 s[26:27], vcc
	s_xor_b64 s[26:27], exec, s[26:27]
	s_cbranch_execz .LBB30_1226
; %bb.999:
	v_bfe_u32 v1, v0, 21, 1
	s_mov_b32 s28, 0x88fffff
	v_add3_u32 v1, v0, v1, s28
	s_mov_b64 s[24:25], exec
	v_lshrrev_b32_e32 v1, 21, v1
	s_or_saveexec_b64 s[26:27], s[26:27]
                                        ; implicit-def: $sgpr28
	s_xor_b64 exec, exec, s[26:27]
	s_cbranch_execnz .LBB30_1227
.LBB30_1000:
	s_or_b64 exec, exec, s[26:27]
	v_mov_b32_e32 v5, s28
	s_and_saveexec_b64 s[26:27], s[24:25]
.LBB30_1001:
	v_lshrrev_b32_e32 v5, 24, v0
	s_movk_i32 s24, 0x80
	v_and_or_b32 v5, v5, s24, v1
.LBB30_1002:
	s_or_b64 exec, exec, s[26:27]
.LBB30_1003:
	s_or_b64 exec, exec, s[22:23]
	s_mov_b64 s[22:23], 0
	global_store_byte v[2:3], v5, off
.LBB30_1004:
	s_and_b64 vcc, exec, s[22:23]
	s_cbranch_vccz .LBB30_1014
; %bb.1005:
	v_and_b32_e32 v5, 0x7fffffff, v0
	s_mov_b32 s22, 0x43f00000
	v_cmp_gt_u32_e32 vcc, s22, v5
                                        ; implicit-def: $vgpr1
	s_and_saveexec_b64 s[22:23], vcc
	s_xor_b64 s[22:23], exec, s[22:23]
	s_cbranch_execz .LBB30_1011
; %bb.1006:
	s_mov_b32 s24, 0x3c7fffff
	v_cmp_lt_u32_e32 vcc, s24, v5
                                        ; implicit-def: $vgpr1
	s_and_saveexec_b64 s[24:25], vcc
	s_xor_b64 s[24:25], exec, s[24:25]
; %bb.1007:
	v_bfe_u32 v1, v0, 20, 1
	s_mov_b32 s26, 0x407ffff
	v_add3_u32 v1, v0, v1, s26
	v_lshrrev_b32_e32 v5, 20, v1
	v_and_b32_e32 v1, 0xff00000, v1
	s_mov_b32 s26, 0x7f00000
	v_mov_b32_e32 v6, 0x7e
	v_cmp_ne_u32_e32 vcc, s26, v1
	v_cndmask_b32_e32 v1, v6, v5, vcc
; %bb.1008:
	s_andn2_saveexec_b64 s[24:25], s[24:25]
; %bb.1009:
	s_mov_b32 s26, 0x46800000
	v_add_f32_e64 v1, |v0|, s26
; %bb.1010:
	s_or_b64 exec, exec, s[24:25]
                                        ; implicit-def: $vgpr5
.LBB30_1011:
	s_andn2_saveexec_b64 s[22:23], s[22:23]
; %bb.1012:
	s_mov_b32 s24, 0x7f800000
	v_mov_b32_e32 v1, 0x7e
	v_mov_b32_e32 v6, 0x7f
	v_cmp_lt_u32_e32 vcc, s24, v5
	v_cndmask_b32_e32 v1, v1, v6, vcc
; %bb.1013:
	s_or_b64 exec, exec, s[22:23]
	v_lshrrev_b32_e32 v5, 24, v0
	s_movk_i32 s22, 0x80
	v_and_or_b32 v1, v5, s22, v1
	global_store_byte v[2:3], v1, off
.LBB30_1014:
	s_mov_b64 s[22:23], 0
.LBB30_1015:
	s_andn2_b64 vcc, exec, s[22:23]
	s_cbranch_vccnz .LBB30_1025
; %bb.1016:
	v_and_b32_e32 v5, 0x7fffffff, v0
	s_mov_b32 s22, 0x47800000
	v_cmp_gt_u32_e32 vcc, s22, v5
                                        ; implicit-def: $vgpr1
	s_and_saveexec_b64 s[22:23], vcc
	s_xor_b64 s[22:23], exec, s[22:23]
	s_cbranch_execz .LBB30_1022
; %bb.1017:
	s_mov_b32 s24, 0x387fffff
	v_cmp_lt_u32_e32 vcc, s24, v5
                                        ; implicit-def: $vgpr1
	s_and_saveexec_b64 s[24:25], vcc
	s_xor_b64 s[24:25], exec, s[24:25]
; %bb.1018:
	v_bfe_u32 v1, v0, 21, 1
	s_mov_b32 s26, 0x80fffff
	v_add3_u32 v1, v0, v1, s26
	v_lshrrev_b32_e32 v1, 21, v1
; %bb.1019:
	s_andn2_saveexec_b64 s[24:25], s[24:25]
; %bb.1020:
	s_mov_b32 s26, 0x43000000
	v_add_f32_e64 v1, |v0|, s26
; %bb.1021:
	s_or_b64 exec, exec, s[24:25]
                                        ; implicit-def: $vgpr5
.LBB30_1022:
	s_andn2_saveexec_b64 s[22:23], s[22:23]
; %bb.1023:
	s_mov_b32 s24, 0x7f800000
	v_mov_b32_e32 v1, 0x7c
	v_mov_b32_e32 v6, 0x7f
	v_cmp_lt_u32_e32 vcc, s24, v5
	v_cndmask_b32_e32 v1, v1, v6, vcc
; %bb.1024:
	s_or_b64 exec, exec, s[22:23]
	v_lshrrev_b32_e32 v5, 24, v0
	s_movk_i32 s22, 0x80
	v_and_or_b32 v1, v5, s22, v1
	global_store_byte v[2:3], v1, off
.LBB30_1025:
	s_mov_b64 s[22:23], 0
.LBB30_1026:
	s_andn2_b64 vcc, exec, s[22:23]
	s_mov_b64 s[22:23], 0
	s_cbranch_vccnz .LBB30_1034
; %bb.1027:
	v_cmp_lt_i16_e32 vcc, 14, v4
	s_mov_b64 s[24:25], -1
	s_cbranch_vccz .LBB30_1031
; %bb.1028:
	v_cmp_eq_u16_e32 vcc, 15, v4
	s_mov_b64 s[0:1], -1
	s_cbranch_vccz .LBB30_1030
; %bb.1029:
	v_bfe_u32 v1, v0, 16, 1
	s_movk_i32 s0, 0x7fff
	v_add3_u32 v1, v0, v1, s0
	v_lshrrev_b32_e32 v1, 16, v1
	v_mov_b32_e32 v5, 0x7fc0
	v_cmp_o_f32_e32 vcc, v0, v0
	v_cndmask_b32_e32 v1, v5, v1, vcc
	global_store_short v[2:3], v1, off
	s_mov_b64 s[0:1], 0
.LBB30_1030:
	s_mov_b64 s[24:25], 0
.LBB30_1031:
	s_and_b64 vcc, exec, s[24:25]
	s_cbranch_vccz .LBB30_1034
; %bb.1032:
	v_cmp_ne_u16_e32 vcc, 11, v4
	s_andn2_b64 s[0:1], s[0:1], exec
	s_and_b64 s[24:25], vcc, exec
	s_mov_b64 s[22:23], -1
	s_or_b64 s[0:1], s[0:1], s[24:25]
	s_branch .LBB30_1034
.LBB30_1033:
	s_mov_b64 s[22:23], 0
.LBB30_1034:
	s_andn2_b64 s[14:15], s[14:15], exec
	s_and_b64 s[0:1], s[0:1], exec
	s_and_b64 s[20:21], s[20:21], exec
	;; [unrolled: 1-line block ×3, first 2 shown]
	s_or_b64 s[14:15], s[14:15], s[0:1]
	s_or_b64 exec, exec, s[16:17]
	s_and_saveexec_b64 s[0:1], s[14:15]
	s_cbranch_execz .LBB30_973
.LBB30_1035:
	s_or_b64 s[18:19], s[18:19], exec
	s_andn2_b64 s[22:23], s[22:23], exec
	s_trap 2
	s_or_b64 exec, exec, s[0:1]
	s_and_saveexec_b64 s[0:1], s[22:23]
	s_xor_b64 s[0:1], exec, s[0:1]
	s_cbranch_execnz .LBB30_974
.LBB30_1036:
	s_or_b64 exec, exec, s[0:1]
	s_and_saveexec_b64 s[0:1], s[20:21]
	s_xor_b64 s[0:1], exec, s[0:1]
	s_cbranch_execz .LBB30_1074
.LBB30_1037:
	v_cmp_gt_i16_e32 vcc, 5, v4
	s_mov_b64 s[14:15], -1
	s_cbranch_vccnz .LBB30_1058
; %bb.1038:
	v_cmp_gt_i16_e32 vcc, 8, v4
	s_cbranch_vccnz .LBB30_1048
; %bb.1039:
	v_cmp_gt_i16_e32 vcc, 9, v4
	s_cbranch_vccnz .LBB30_1045
; %bb.1040:
	v_cmp_lt_i16_e32 vcc, 9, v4
	s_cbranch_vccz .LBB30_1042
; %bb.1041:
	v_mov_b32_e32 v8, 0
	v_cvt_f64_f32_e32 v[6:7], v0
	v_mov_b32_e32 v9, v8
	s_mov_b64 s[14:15], 0
	s_waitcnt vmcnt(0)
	global_store_dwordx4 v[2:3], v[6:9], off
.LBB30_1042:
	s_andn2_b64 vcc, exec, s[14:15]
	s_cbranch_vccnz .LBB30_1044
; %bb.1043:
	v_mov_b32_e32 v1, 0
	s_waitcnt vmcnt(0)
	global_store_dwordx2 v[2:3], v[0:1], off
.LBB30_1044:
	s_mov_b64 s[14:15], 0
.LBB30_1045:
	s_andn2_b64 vcc, exec, s[14:15]
	s_cbranch_vccnz .LBB30_1047
; %bb.1046:
	v_cvt_f16_f32_e32 v1, v0
	s_waitcnt vmcnt(0)
	global_store_dword v[2:3], v1, off
.LBB30_1047:
	s_mov_b64 s[14:15], 0
.LBB30_1048:
	s_andn2_b64 vcc, exec, s[14:15]
	s_cbranch_vccnz .LBB30_1057
; %bb.1049:
	v_cmp_gt_i16_e32 vcc, 6, v4
	s_mov_b64 s[14:15], -1
	s_cbranch_vccnz .LBB30_1055
; %bb.1050:
	v_cmp_lt_i16_e32 vcc, 6, v4
	s_cbranch_vccz .LBB30_1052
; %bb.1051:
	v_cvt_f64_f32_e32 v[6:7], v0
	s_mov_b64 s[14:15], 0
	s_waitcnt vmcnt(0)
	global_store_dwordx2 v[2:3], v[6:7], off
.LBB30_1052:
	s_andn2_b64 vcc, exec, s[14:15]
	s_cbranch_vccnz .LBB30_1054
; %bb.1053:
	s_waitcnt vmcnt(0)
	global_store_dword v[2:3], v0, off
.LBB30_1054:
	s_mov_b64 s[14:15], 0
.LBB30_1055:
	s_andn2_b64 vcc, exec, s[14:15]
	s_cbranch_vccnz .LBB30_1057
; %bb.1056:
	v_cvt_f16_f32_e32 v1, v0
	s_waitcnt vmcnt(0)
	global_store_short v[2:3], v1, off
.LBB30_1057:
	s_mov_b64 s[14:15], 0
.LBB30_1058:
	s_andn2_b64 vcc, exec, s[14:15]
	s_cbranch_vccnz .LBB30_1074
; %bb.1059:
	v_cmp_gt_i16_e32 vcc, 2, v4
	s_mov_b64 s[14:15], -1
	s_cbranch_vccnz .LBB30_1069
; %bb.1060:
	v_cmp_gt_i16_e32 vcc, 3, v4
	s_cbranch_vccnz .LBB30_1066
; %bb.1061:
	v_cmp_lt_i16_e32 vcc, 3, v4
	s_cbranch_vccz .LBB30_1063
; %bb.1062:
	v_trunc_f32_e32 v1, v0
	s_mov_b32 s14, 0x2f800000
	s_waitcnt vmcnt(0)
	v_mul_f32_e64 v5, |v1|, s14
	v_floor_f32_e32 v5, v5
	s_mov_b32 s14, 0xcf800000
	v_cvt_u32_f32_e32 v6, v5
	v_fma_f32 v5, v5, s14, |v1|
	v_cvt_u32_f32_e32 v5, v5
	v_ashrrev_i32_e32 v1, 31, v1
	v_xor_b32_e32 v7, v6, v1
	s_mov_b64 s[14:15], 0
	v_xor_b32_e32 v5, v5, v1
	v_sub_co_u32_e32 v6, vcc, v5, v1
	v_subb_co_u32_e32 v7, vcc, v7, v1, vcc
	global_store_dwordx2 v[2:3], v[6:7], off
.LBB30_1063:
	s_andn2_b64 vcc, exec, s[14:15]
	s_cbranch_vccnz .LBB30_1065
; %bb.1064:
	v_cvt_i32_f32_e32 v1, v0
	s_waitcnt vmcnt(0)
	global_store_dword v[2:3], v1, off
.LBB30_1065:
	s_mov_b64 s[14:15], 0
.LBB30_1066:
	s_andn2_b64 vcc, exec, s[14:15]
	s_cbranch_vccnz .LBB30_1068
; %bb.1067:
	v_cvt_i32_f32_e32 v1, v0
	s_waitcnt vmcnt(0)
	global_store_short v[2:3], v1, off
.LBB30_1068:
	s_mov_b64 s[14:15], 0
.LBB30_1069:
	s_andn2_b64 vcc, exec, s[14:15]
	s_cbranch_vccnz .LBB30_1074
; %bb.1070:
	v_cmp_lt_i16_e32 vcc, 0, v4
	s_mov_b64 s[14:15], -1
	s_cbranch_vccz .LBB30_1072
; %bb.1071:
	v_cvt_i32_f32_e32 v1, v0
	s_mov_b64 s[14:15], 0
	s_waitcnt vmcnt(0)
	global_store_byte v[2:3], v1, off
.LBB30_1072:
	s_andn2_b64 vcc, exec, s[14:15]
	s_cbranch_vccnz .LBB30_1074
; %bb.1073:
	v_trunc_f32_e32 v0, v0
	s_mov_b32 s14, 0x2f800000
	v_mul_f32_e64 v1, |v0|, s14
	v_floor_f32_e32 v1, v1
	s_mov_b32 s14, 0xcf800000
	v_fma_f32 v1, v1, s14, |v0|
	v_cvt_u32_f32_e32 v1, v1
	v_ashrrev_i32_e32 v0, 31, v0
	v_xor_b32_e32 v1, v1, v0
	v_sub_u32_e32 v0, v1, v0
	s_waitcnt vmcnt(0)
	global_store_byte v[2:3], v0, off
.LBB30_1074:
	s_or_b64 exec, exec, s[0:1]
	s_and_b64 s[14:15], s[18:19], exec
                                        ; implicit-def: $vgpr7
                                        ; implicit-def: $vgpr8
.LBB30_1075:
	s_or_saveexec_b64 s[6:7], s[6:7]
	s_mov_b64 s[0:1], 0
                                        ; implicit-def: $vgpr2
                                        ; implicit-def: $vgpr0_vgpr1
                                        ; implicit-def: $vgpr4
	s_xor_b64 exec, exec, s[6:7]
	s_cbranch_execz .LBB30_1646
; %bb.1076:
	v_mul_lo_u32 v4, s13, v7
	v_ashrrev_i32_e32 v1, 31, v4
	s_waitcnt vmcnt(0)
	v_mov_b32_e32 v2, s11
	v_add_co_u32_e32 v0, vcc, s10, v4
	v_addc_co_u32_e32 v1, vcc, v2, v1, vcc
	v_cmp_gt_i16_e64 s[0:1], 11, v8
	s_and_b64 vcc, exec, s[0:1]
	s_cbranch_vccnz .LBB30_1083
; %bb.1077:
	v_cmp_lt_i16_e32 vcc, 25, v8
	s_mov_b64 s[18:19], 0
	s_cbranch_vccz .LBB30_1085
; %bb.1078:
	v_cmp_lt_i16_e32 vcc, 28, v8
	s_cbranch_vccz .LBB30_1086
; %bb.1079:
	v_cmp_lt_i16_e32 vcc, 43, v8
	;; [unrolled: 3-line block ×3, first 2 shown]
	s_cbranch_vccz .LBB30_1088
; %bb.1081:
	v_cmp_eq_u16_e32 vcc, 46, v8
	s_mov_b64 s[16:17], 0
	s_cbranch_vccz .LBB30_1091
; %bb.1082:
	global_load_dword v2, v[0:1], off
	s_mov_b64 s[4:5], 0
	s_mov_b64 s[20:21], -1
	s_waitcnt vmcnt(0)
	v_lshlrev_b32_e32 v2, 16, v2
	s_branch .LBB30_1092
.LBB30_1083:
	s_mov_b64 s[20:21], 0
                                        ; implicit-def: $vgpr2
	s_mov_b64 s[16:17], s[14:15]
	s_cbranch_execnz .LBB30_1155
.LBB30_1084:
	s_andn2_b64 vcc, exec, s[20:21]
	s_cbranch_vccz .LBB30_1200
	s_branch .LBB30_1643
.LBB30_1085:
	s_mov_b64 s[20:21], 0
	s_mov_b64 s[4:5], 0
                                        ; implicit-def: $vgpr2
	s_cbranch_execnz .LBB30_1120
	s_branch .LBB30_1151
.LBB30_1086:
	s_mov_b64 s[16:17], -1
	s_mov_b64 s[20:21], 0
	s_mov_b64 s[4:5], 0
                                        ; implicit-def: $vgpr2
	s_branch .LBB30_1101
.LBB30_1087:
	s_mov_b64 s[20:21], 0
	s_mov_b64 s[4:5], 0
                                        ; implicit-def: $vgpr2
	s_cbranch_execnz .LBB30_1097
	s_branch .LBB30_1100
.LBB30_1088:
	s_mov_b64 s[16:17], -1
	s_mov_b64 s[20:21], 0
	s_mov_b64 s[4:5], 0
                                        ; implicit-def: $vgpr2
	s_branch .LBB30_1092
.LBB30_1089:
	s_or_saveexec_b64 s[24:25], s[24:25]
                                        ; implicit-def: $sgpr26
	s_xor_b64 exec, exec, s[24:25]
	s_cbranch_execz .LBB30_988
.LBB30_1090:
	s_mov_b32 s26, 0x46000000
	v_add_f32_e64 v1, |v0|, s26
	v_and_b32_e32 v1, 0xff, v1
	v_cmp_ne_u32_e32 vcc, 0, v1
	s_andn2_b64 s[22:23], s[22:23], exec
	s_and_b64 s[28:29], vcc, exec
	s_mov_b32 s26, 0
	s_or_b64 s[22:23], s[22:23], s[28:29]
	s_or_b64 exec, exec, s[24:25]
	v_mov_b32_e32 v5, s26
	s_and_saveexec_b64 s[24:25], s[22:23]
	s_cbranch_execnz .LBB30_989
	s_branch .LBB30_990
.LBB30_1091:
	s_mov_b64 s[4:5], -1
                                        ; implicit-def: $vgpr2
	s_mov_b64 s[20:21], 0
.LBB30_1092:
	s_and_b64 vcc, exec, s[16:17]
	s_cbranch_vccz .LBB30_1095
; %bb.1093:
	v_cmp_eq_u16_e32 vcc, 44, v8
	s_cbranch_vccz .LBB30_1096
; %bb.1094:
	global_load_ubyte v2, v[0:1], off
	s_movk_i32 s16, 0xff
	v_mov_b32_e32 v3, 0x7f800001
	v_mov_b32_e32 v5, 0x400000
	s_mov_b64 s[4:5], 0
	s_mov_b64 s[20:21], -1
	s_waitcnt vmcnt(0)
	v_lshlrev_b32_e32 v6, 23, v2
	v_cmp_ne_u32_e32 vcc, s16, v2
	v_cndmask_b32_e32 v3, v3, v6, vcc
	v_cmp_ne_u32_e32 vcc, 0, v2
	v_cndmask_b32_e32 v2, v5, v3, vcc
.LBB30_1095:
	s_branch .LBB30_1100
.LBB30_1096:
	s_mov_b64 s[4:5], -1
                                        ; implicit-def: $vgpr2
	s_branch .LBB30_1100
.LBB30_1097:
	v_cmp_eq_u16_e32 vcc, 29, v8
	s_cbranch_vccz .LBB30_1099
; %bb.1098:
	global_load_dwordx2 v[2:3], v[0:1], off
	s_mov_b64 s[4:5], 0
	s_mov_b64 s[20:21], -1
	s_mov_b64 s[16:17], 0
	s_waitcnt vmcnt(0)
	v_ffbh_u32_e32 v5, v3
	v_min_u32_e32 v5, 32, v5
	v_lshlrev_b64 v[2:3], v5, v[2:3]
	v_min_u32_e32 v2, 1, v2
	v_or_b32_e32 v2, v3, v2
	v_cvt_f32_u32_e32 v2, v2
	v_sub_u32_e32 v3, 32, v5
	v_ldexp_f32 v2, v2, v3
	s_branch .LBB30_1101
.LBB30_1099:
	s_mov_b64 s[4:5], -1
                                        ; implicit-def: $vgpr2
.LBB30_1100:
	s_mov_b64 s[16:17], 0
.LBB30_1101:
	s_and_b64 vcc, exec, s[16:17]
	s_cbranch_vccz .LBB30_1119
; %bb.1102:
	v_cmp_gt_i16_e32 vcc, 27, v8
	s_cbranch_vccnz .LBB30_1105
; %bb.1103:
	v_cmp_lt_i16_e32 vcc, 27, v8
	s_cbranch_vccz .LBB30_1106
; %bb.1104:
	global_load_dword v2, v[0:1], off
	s_mov_b64 s[16:17], 0
	s_waitcnt vmcnt(0)
	v_cvt_f32_u32_e32 v2, v2
	s_branch .LBB30_1107
.LBB30_1105:
	s_mov_b64 s[16:17], -1
                                        ; implicit-def: $vgpr2
	s_branch .LBB30_1110
.LBB30_1106:
	s_mov_b64 s[16:17], -1
                                        ; implicit-def: $vgpr2
.LBB30_1107:
	s_andn2_b64 vcc, exec, s[16:17]
	s_cbranch_vccnz .LBB30_1109
; %bb.1108:
	global_load_ushort v2, v[0:1], off
	s_waitcnt vmcnt(0)
	v_cvt_f32_u32_e32 v2, v2
.LBB30_1109:
	s_mov_b64 s[16:17], 0
.LBB30_1110:
	s_andn2_b64 vcc, exec, s[16:17]
	s_cbranch_vccnz .LBB30_1118
; %bb.1111:
	global_load_ubyte v3, v[0:1], off
	s_movk_i32 s16, 0x7f
                                        ; implicit-def: $sgpr24
	s_waitcnt vmcnt(0)
	v_cmp_lt_i16_e32 vcc, s16, v3
	s_mov_b64 s[16:17], 0
	s_and_saveexec_b64 s[20:21], vcc
	s_xor_b64 s[20:21], exec, s[20:21]
	s_cbranch_execz .LBB30_1131
; %bb.1112:
	s_movk_i32 s16, 0x80
	v_cmp_eq_u16_e32 vcc, s16, v3
	s_mov_b64 s[16:17], -1
                                        ; implicit-def: $sgpr24
	s_and_saveexec_b64 s[22:23], vcc
; %bb.1113:
	s_mov_b32 s24, 0x7f800001
	s_xor_b64 s[16:17], exec, -1
; %bb.1114:
	s_or_b64 exec, exec, s[22:23]
	s_and_b64 s[16:17], s[16:17], exec
	s_or_saveexec_b64 s[20:21], s[20:21]
	v_mov_b32_e32 v2, s24
	s_xor_b64 exec, exec, s[20:21]
	s_cbranch_execnz .LBB30_1132
.LBB30_1115:
	s_or_b64 exec, exec, s[20:21]
	s_and_saveexec_b64 s[20:21], s[16:17]
	s_cbranch_execz .LBB30_1117
.LBB30_1116:
	v_lshlrev_b32_e32 v2, 24, v3
	v_and_b32_e32 v3, 0xffff, v3
	v_and_b32_e32 v5, 7, v3
	v_ffbh_u32_e32 v9, v5
	v_min_u32_e32 v9, 32, v9
	v_subrev_u32_e32 v10, 28, v9
	v_bfe_u32 v6, v3, 3, 4
	v_lshlrev_b32_e32 v3, v10, v3
	v_sub_u32_e32 v9, 29, v9
	v_and_b32_e32 v3, 7, v3
	v_cmp_eq_u32_e32 vcc, 0, v6
	v_cndmask_b32_e32 v6, v6, v9, vcc
	v_cndmask_b32_e32 v3, v5, v3, vcc
	v_mov_b32_e32 v5, 0x3b800000
	v_lshlrev_b32_e32 v3, 20, v3
	v_and_b32_e32 v2, 0x80000000, v2
	v_lshl_add_u32 v5, v6, 23, v5
	v_or3_b32 v2, v2, v5, v3
.LBB30_1117:
	s_or_b64 exec, exec, s[20:21]
.LBB30_1118:
	s_mov_b64 s[20:21], -1
.LBB30_1119:
	s_branch .LBB30_1151
.LBB30_1120:
	v_cmp_lt_i16_e32 vcc, 22, v8
	s_cbranch_vccz .LBB30_1130
; %bb.1121:
	v_cmp_gt_i16_e32 vcc, 24, v8
	s_cbranch_vccnz .LBB30_1133
; %bb.1122:
	v_cmp_lt_i16_e32 vcc, 24, v8
	s_cbranch_vccz .LBB30_1134
; %bb.1123:
	global_load_ubyte v3, v[0:1], off
	s_movk_i32 s16, 0x7f
                                        ; implicit-def: $sgpr22
	s_waitcnt vmcnt(0)
	v_cmp_lt_i16_e32 vcc, s16, v3
	s_mov_b64 s[16:17], 0
	s_and_saveexec_b64 s[18:19], vcc
	s_xor_b64 s[18:19], exec, s[18:19]
	s_cbranch_execz .LBB30_1145
; %bb.1124:
	s_movk_i32 s16, 0x80
	v_cmp_eq_u16_e32 vcc, s16, v3
	s_mov_b64 s[16:17], -1
                                        ; implicit-def: $sgpr22
	s_and_saveexec_b64 s[20:21], vcc
; %bb.1125:
	s_mov_b32 s22, 0x7f800001
	s_xor_b64 s[16:17], exec, -1
; %bb.1126:
	s_or_b64 exec, exec, s[20:21]
	s_and_b64 s[16:17], s[16:17], exec
	s_or_saveexec_b64 s[18:19], s[18:19]
	v_mov_b32_e32 v2, s22
	s_xor_b64 exec, exec, s[18:19]
	s_cbranch_execnz .LBB30_1146
.LBB30_1127:
	s_or_b64 exec, exec, s[18:19]
	s_and_saveexec_b64 s[18:19], s[16:17]
	s_cbranch_execz .LBB30_1129
.LBB30_1128:
	v_lshlrev_b32_e32 v2, 24, v3
	v_and_b32_e32 v3, 0xffff, v3
	v_and_b32_e32 v5, 3, v3
	v_ffbh_u32_e32 v9, v5
	v_min_u32_e32 v9, 32, v9
	v_subrev_u32_e32 v10, 29, v9
	v_bfe_u32 v6, v3, 2, 5
	v_lshlrev_b32_e32 v3, v10, v3
	v_sub_u32_e32 v9, 30, v9
	v_and_b32_e32 v3, 3, v3
	v_cmp_eq_u32_e32 vcc, 0, v6
	v_cndmask_b32_e32 v6, v6, v9, vcc
	v_cndmask_b32_e32 v3, v5, v3, vcc
	v_mov_b32_e32 v5, 0x37800000
	v_lshlrev_b32_e32 v3, 21, v3
	v_and_b32_e32 v2, 0x80000000, v2
	v_lshl_add_u32 v5, v6, 23, v5
	v_or3_b32 v2, v2, v5, v3
.LBB30_1129:
	s_or_b64 exec, exec, s[18:19]
	s_mov_b64 s[16:17], 0
	s_branch .LBB30_1135
.LBB30_1130:
                                        ; implicit-def: $vgpr2
	s_mov_b64 s[18:19], 0
	s_branch .LBB30_1141
.LBB30_1131:
	s_or_saveexec_b64 s[20:21], s[20:21]
	v_mov_b32_e32 v2, s24
	s_xor_b64 exec, exec, s[20:21]
	s_cbranch_execz .LBB30_1115
.LBB30_1132:
	v_cmp_ne_u16_e32 vcc, 0, v3
	s_andn2_b64 s[16:17], s[16:17], exec
	s_and_b64 s[22:23], vcc, exec
	v_mov_b32_e32 v2, 0
	s_or_b64 s[16:17], s[16:17], s[22:23]
	s_or_b64 exec, exec, s[20:21]
	s_and_saveexec_b64 s[20:21], s[16:17]
	s_cbranch_execnz .LBB30_1116
	s_branch .LBB30_1117
.LBB30_1133:
	s_mov_b64 s[16:17], -1
                                        ; implicit-def: $vgpr2
	s_branch .LBB30_1138
.LBB30_1134:
	s_mov_b64 s[16:17], -1
                                        ; implicit-def: $vgpr2
.LBB30_1135:
	s_and_b64 vcc, exec, s[16:17]
	s_cbranch_vccz .LBB30_1137
; %bb.1136:
	global_load_ubyte v2, v[0:1], off
	s_mov_b32 s16, 0x7f800000
	s_waitcnt vmcnt(0)
	v_lshlrev_b32_e32 v2, 24, v2
	v_and_b32_e32 v3, 0x7f000000, v2
	v_ffbh_u32_e32 v5, v3
	v_min_u32_e32 v5, 32, v5
	v_sub_u32_e64 v5, v5, 4 clamp
	v_lshlrev_b32_e32 v9, v5, v3
	v_lshlrev_b32_e32 v5, 23, v5
	v_lshrrev_b32_e32 v9, 4, v9
	v_add_u32_e32 v6, 0x1000000, v3
	v_sub_u32_e32 v5, v9, v5
	v_ashrrev_i32_e32 v6, 8, v6
	v_add_u32_e32 v5, 0x3c000000, v5
	v_and_or_b32 v5, v6, s16, v5
	v_cmp_ne_u32_e32 vcc, 0, v3
	v_cndmask_b32_e32 v3, 0, v5, vcc
	s_brev_b32 s16, 1
	v_and_or_b32 v2, v2, s16, v3
.LBB30_1137:
	s_mov_b64 s[16:17], 0
.LBB30_1138:
	s_andn2_b64 vcc, exec, s[16:17]
	s_cbranch_vccnz .LBB30_1140
; %bb.1139:
	global_load_ubyte v2, v[0:1], off
	s_movk_i32 s16, 0x7f00
	s_brev_b32 s17, 16
	s_waitcnt vmcnt(0)
	v_lshlrev_b16_e32 v3, 8, v2
	v_lshlrev_b32_e32 v2, 25, v2
	v_lshrrev_b32_e32 v5, 4, v2
	v_and_or_b32 v6, v3, s16, 0.5
	v_or_b32_e32 v5, 0x70000000, v5
	v_add_f32_e32 v6, -0.5, v6
	v_mul_f32_e32 v5, 0x7800000, v5
	v_cmp_gt_u32_e32 vcc, s17, v2
	v_bfe_i32 v3, v3, 0, 16
	v_cndmask_b32_e32 v2, v5, v6, vcc
	s_brev_b32 s16, 1
	v_and_or_b32 v2, v3, s16, v2
.LBB30_1140:
	s_mov_b64 s[20:21], -1
	s_mov_b64 s[18:19], 0
	s_cbranch_execnz .LBB30_1151
.LBB30_1141:
	v_cmp_lt_i16_e32 vcc, 14, v8
	s_cbranch_vccz .LBB30_1144
; %bb.1142:
	v_cmp_eq_u16_e32 vcc, 15, v8
	s_cbranch_vccz .LBB30_1147
; %bb.1143:
	global_load_ushort v2, v[0:1], off
	s_mov_b64 s[4:5], 0
	s_mov_b64 s[20:21], -1
	s_waitcnt vmcnt(0)
	v_lshlrev_b32_e32 v2, 16, v2
	s_branch .LBB30_1148
.LBB30_1144:
	s_mov_b64 s[16:17], -1
                                        ; implicit-def: $vgpr2
	s_branch .LBB30_1149
.LBB30_1145:
	s_or_saveexec_b64 s[18:19], s[18:19]
	v_mov_b32_e32 v2, s22
	s_xor_b64 exec, exec, s[18:19]
	s_cbranch_execz .LBB30_1127
.LBB30_1146:
	v_cmp_ne_u16_e32 vcc, 0, v3
	s_andn2_b64 s[16:17], s[16:17], exec
	s_and_b64 s[20:21], vcc, exec
	v_mov_b32_e32 v2, 0
	s_or_b64 s[16:17], s[16:17], s[20:21]
	s_or_b64 exec, exec, s[18:19]
	s_and_saveexec_b64 s[18:19], s[16:17]
	s_cbranch_execnz .LBB30_1128
	s_branch .LBB30_1129
.LBB30_1147:
	s_mov_b64 s[4:5], -1
                                        ; implicit-def: $vgpr2
.LBB30_1148:
	s_mov_b64 s[16:17], 0
.LBB30_1149:
	s_and_b64 vcc, exec, s[16:17]
	s_cbranch_vccz .LBB30_1151
; %bb.1150:
	v_cmp_ne_u16_e64 s[4:5], 11, v8
	s_mov_b64 s[18:19], -1
                                        ; implicit-def: $vgpr2
.LBB30_1151:
	s_and_b64 vcc, exec, s[4:5]
	s_mov_b64 s[16:17], s[14:15]
	s_cbranch_vccnz .LBB30_1224
; %bb.1152:
	s_andn2_b64 vcc, exec, s[18:19]
	s_cbranch_vccnz .LBB30_1154
.LBB30_1153:
	global_load_ubyte v2, v[0:1], off
	s_mov_b64 s[20:21], -1
	s_waitcnt vmcnt(0)
	v_cmp_ne_u16_e32 vcc, 0, v2
	v_cndmask_b32_e64 v2, 0, 1.0, vcc
.LBB30_1154:
	s_branch .LBB30_1084
.LBB30_1155:
	v_cmp_gt_i16_e32 vcc, 5, v8
	s_cbranch_vccnz .LBB30_1160
; %bb.1156:
	v_cmp_gt_i16_e32 vcc, 8, v8
	s_cbranch_vccnz .LBB30_1161
; %bb.1157:
	;; [unrolled: 3-line block ×3, first 2 shown]
	v_cmp_lt_i16_e32 vcc, 9, v8
	s_cbranch_vccz .LBB30_1163
; %bb.1159:
	global_load_dwordx2 v[2:3], v[0:1], off
	s_mov_b64 s[4:5], 0
	s_waitcnt vmcnt(0)
	v_cvt_f32_f64_e32 v2, v[2:3]
	s_branch .LBB30_1164
.LBB30_1160:
                                        ; implicit-def: $vgpr2
	s_branch .LBB30_1181
.LBB30_1161:
                                        ; implicit-def: $vgpr2
	s_branch .LBB30_1170
.LBB30_1162:
	s_mov_b64 s[4:5], -1
                                        ; implicit-def: $vgpr2
	s_branch .LBB30_1167
.LBB30_1163:
	s_mov_b64 s[4:5], -1
                                        ; implicit-def: $vgpr2
.LBB30_1164:
	s_andn2_b64 vcc, exec, s[4:5]
	s_cbranch_vccnz .LBB30_1166
; %bb.1165:
	global_load_dword v2, v[0:1], off
.LBB30_1166:
	s_mov_b64 s[4:5], 0
.LBB30_1167:
	s_andn2_b64 vcc, exec, s[4:5]
	s_cbranch_vccnz .LBB30_1169
; %bb.1168:
	global_load_dword v2, v[0:1], off
	s_waitcnt vmcnt(0)
	v_cvt_f32_f16_e32 v2, v2
.LBB30_1169:
	s_cbranch_execnz .LBB30_1180
.LBB30_1170:
	v_cmp_gt_i16_e32 vcc, 6, v8
	s_cbranch_vccnz .LBB30_1173
; %bb.1171:
	v_cmp_lt_i16_e32 vcc, 6, v8
	s_cbranch_vccz .LBB30_1174
; %bb.1172:
	global_load_dwordx2 v[2:3], v[0:1], off
	s_mov_b64 s[4:5], 0
	s_waitcnt vmcnt(0)
	v_cvt_f32_f64_e32 v2, v[2:3]
	s_branch .LBB30_1175
.LBB30_1173:
	s_mov_b64 s[4:5], -1
                                        ; implicit-def: $vgpr2
	s_branch .LBB30_1178
.LBB30_1174:
	s_mov_b64 s[4:5], -1
                                        ; implicit-def: $vgpr2
.LBB30_1175:
	s_andn2_b64 vcc, exec, s[4:5]
	s_cbranch_vccnz .LBB30_1177
; %bb.1176:
	global_load_dword v2, v[0:1], off
.LBB30_1177:
	s_mov_b64 s[4:5], 0
.LBB30_1178:
	s_andn2_b64 vcc, exec, s[4:5]
	s_cbranch_vccnz .LBB30_1180
; %bb.1179:
	global_load_ushort v2, v[0:1], off
	s_waitcnt vmcnt(0)
	v_cvt_f32_f16_e32 v2, v2
.LBB30_1180:
	s_cbranch_execnz .LBB30_1199
.LBB30_1181:
	v_cmp_gt_i16_e32 vcc, 2, v8
	s_cbranch_vccnz .LBB30_1185
; %bb.1182:
	v_cmp_gt_i16_e32 vcc, 3, v8
	s_cbranch_vccnz .LBB30_1186
; %bb.1183:
	v_cmp_lt_i16_e32 vcc, 3, v8
	s_cbranch_vccz .LBB30_1187
; %bb.1184:
	global_load_dwordx2 v[2:3], v[0:1], off
	s_mov_b64 s[4:5], 0
	s_waitcnt vmcnt(0)
	v_xor_b32_e32 v6, v2, v3
	v_ffbh_i32_e32 v5, v3
	v_ashrrev_i32_e32 v6, 31, v6
	v_add_u32_e32 v5, -1, v5
	v_add_u32_e32 v6, 32, v6
	v_min_u32_e32 v5, v5, v6
	v_lshlrev_b64 v[2:3], v5, v[2:3]
	v_min_u32_e32 v2, 1, v2
	v_or_b32_e32 v2, v3, v2
	v_cvt_f32_i32_e32 v2, v2
	v_sub_u32_e32 v3, 32, v5
	v_ldexp_f32 v2, v2, v3
	s_branch .LBB30_1188
.LBB30_1185:
                                        ; implicit-def: $vgpr2
	s_branch .LBB30_1194
.LBB30_1186:
	s_mov_b64 s[4:5], -1
                                        ; implicit-def: $vgpr2
	s_branch .LBB30_1191
.LBB30_1187:
	s_mov_b64 s[4:5], -1
                                        ; implicit-def: $vgpr2
.LBB30_1188:
	s_andn2_b64 vcc, exec, s[4:5]
	s_cbranch_vccnz .LBB30_1190
; %bb.1189:
	global_load_dword v2, v[0:1], off
	s_waitcnt vmcnt(0)
	v_cvt_f32_i32_e32 v2, v2
.LBB30_1190:
	s_mov_b64 s[4:5], 0
.LBB30_1191:
	s_andn2_b64 vcc, exec, s[4:5]
	s_cbranch_vccnz .LBB30_1193
; %bb.1192:
	global_load_sshort v2, v[0:1], off
	s_waitcnt vmcnt(0)
	v_cvt_f32_i32_e32 v2, v2
.LBB30_1193:
	s_cbranch_execnz .LBB30_1199
.LBB30_1194:
	v_cmp_lt_i16_e32 vcc, 0, v8
	s_cbranch_vccz .LBB30_1196
; %bb.1195:
	global_load_sbyte v2, v[0:1], off
	s_mov_b64 s[4:5], 0
	s_waitcnt vmcnt(0)
	v_cvt_f32_i32_e32 v2, v2
	s_branch .LBB30_1197
.LBB30_1196:
	s_mov_b64 s[4:5], -1
                                        ; implicit-def: $vgpr2
.LBB30_1197:
	s_andn2_b64 vcc, exec, s[4:5]
	s_cbranch_vccnz .LBB30_1199
; %bb.1198:
	global_load_ubyte v0, v[0:1], off
	s_waitcnt vmcnt(0)
	v_cvt_f32_ubyte0_e32 v2, v0
.LBB30_1199:
.LBB30_1200:
	s_waitcnt vmcnt(0)
	v_trunc_f32_e32 v0, v2
	s_mov_b32 s4, 0x2f800000
	v_mul_f32_e64 v1, |v0|, s4
	v_floor_f32_e32 v1, v1
	s_mov_b32 s4, 0xcf800000
	v_cvt_u32_f32_e32 v2, v1
	v_fma_f32 v1, v1, s4, |v0|
	v_cvt_u32_f32_e32 v1, v1
	v_ashrrev_i32_e32 v0, 31, v0
	v_xor_b32_e32 v3, v2, v0
	v_xor_b32_e32 v1, v1, v0
	v_sub_co_u32_e32 v2, vcc, v1, v0
	v_subb_co_u32_e32 v3, vcc, v3, v0, vcc
	v_cmp_lt_i64_e32 vcc, -1, v[2:3]
	v_mov_b32_e32 v0, 0
	s_and_saveexec_b64 s[4:5], vcc
	s_cbranch_execz .LBB30_1212
; %bb.1201:
	v_cmp_lt_i64_e32 vcc, 0, v[2:3]
	v_mov_b32_e32 v0, 1.0
	s_and_saveexec_b64 s[18:19], vcc
	s_cbranch_execz .LBB30_1211
; %bb.1202:
	v_cmp_ne_u64_e32 vcc, 1, v[2:3]
                                        ; implicit-def: $vgpr0
	s_and_saveexec_b64 s[20:21], vcc
	s_xor_b64 s[20:21], exec, s[20:21]
	s_cbranch_execz .LBB30_1208
; %bb.1203:
	s_mov_b64 s[22:23], 0x81
	v_cmp_gt_u64_e32 vcc, s[22:23], v[2:3]
	v_mov_b32_e32 v0, 0x7fc00000
	s_and_saveexec_b64 s[22:23], vcc
	s_cbranch_execz .LBB30_1207
; %bb.1204:
	s_mov_b64 s[26:27], 1
	s_mov_b64 s[24:25], 0
	v_mov_b32_e32 v0, s2
	v_mov_b32_e32 v1, 1.0
.LBB30_1205:                            ; =>This Inner Loop Header: Depth=1
	s_flbit_i32_b32 s28, s27
	s_min_u32 s30, s28, 32
	s_lshl_b64 s[28:29], s[26:27], s30
	s_min_u32 s28, s28, 1
	s_or_b32 s28, s29, s28
	v_cvt_f32_u32_e32 v5, s28
	s_sub_i32 s30, 32, s30
	s_add_u32 s26, s26, 1
	s_addc_u32 s27, s27, 0
	v_ldexp_f32 v5, v5, s30
	v_cmp_eq_u64_e32 vcc, s[26:27], v[2:3]
	v_mul_f32_e32 v5, v1, v5
	s_or_b64 s[24:25], vcc, s[24:25]
	v_mov_b32_e32 v1, v0
	v_fma_f32 v0, s2, v0, -v5
	s_andn2_b64 exec, exec, s[24:25]
	s_cbranch_execnz .LBB30_1205
; %bb.1206:
	s_or_b64 exec, exec, s[24:25]
.LBB30_1207:
	s_or_b64 exec, exec, s[22:23]
.LBB30_1208:
	s_andn2_saveexec_b64 s[20:21], s[20:21]
; %bb.1209:
	v_mov_b32_e32 v0, s2
; %bb.1210:
	s_or_b64 exec, exec, s[20:21]
.LBB30_1211:
	s_or_b64 exec, exec, s[18:19]
.LBB30_1212:
	s_or_b64 exec, exec, s[4:5]
	s_lshl_b32 s13, s13, 7
	v_add_u32_e32 v1, s13, v4
	v_ashrrev_i32_e32 v3, 31, v1
	v_mov_b32_e32 v4, s11
	v_add_co_u32_e32 v2, vcc, s10, v1
	v_addc_co_u32_e32 v3, vcc, v4, v3, vcc
	s_and_b64 vcc, exec, s[0:1]
	s_cbranch_vccnz .LBB30_1219
; %bb.1213:
	v_cmp_lt_i16_e32 vcc, 25, v8
	s_mov_b64 s[18:19], 0
	s_cbranch_vccz .LBB30_1221
; %bb.1214:
	v_cmp_lt_i16_e32 vcc, 28, v8
	s_cbranch_vccz .LBB30_1222
; %bb.1215:
	v_cmp_lt_i16_e32 vcc, 43, v8
	;; [unrolled: 3-line block ×3, first 2 shown]
	s_cbranch_vccz .LBB30_1225
; %bb.1217:
	v_cmp_eq_u16_e32 vcc, 46, v8
	s_mov_b64 s[22:23], 0
	s_cbranch_vccz .LBB30_1228
; %bb.1218:
	global_load_dword v4, v[2:3], off
	s_mov_b64 s[4:5], 0
	s_mov_b64 s[20:21], -1
	s_waitcnt vmcnt(0)
	v_lshlrev_b32_e32 v4, 16, v4
	s_branch .LBB30_1229
.LBB30_1219:
	s_mov_b64 s[20:21], 0
                                        ; implicit-def: $vgpr4
	s_cbranch_execnz .LBB30_1294
.LBB30_1220:
	s_andn2_b64 vcc, exec, s[20:21]
	s_cbranch_vccnz .LBB30_1643
	s_branch .LBB30_1341
.LBB30_1221:
	s_mov_b64 s[20:21], 0
	s_mov_b64 s[4:5], 0
                                        ; implicit-def: $vgpr4
	s_cbranch_execnz .LBB30_1258
	s_branch .LBB30_1290
.LBB30_1222:
	s_mov_b64 s[22:23], -1
	s_mov_b64 s[20:21], 0
	s_mov_b64 s[4:5], 0
                                        ; implicit-def: $vgpr4
	s_branch .LBB30_1239
.LBB30_1223:
	s_mov_b64 s[22:23], -1
	s_mov_b64 s[20:21], 0
	s_mov_b64 s[4:5], 0
                                        ; implicit-def: $vgpr4
	s_branch .LBB30_1234
.LBB30_1224:
	s_or_b64 s[16:17], s[14:15], exec
	s_trap 2
                                        ; implicit-def: $vgpr2
	s_cbranch_execz .LBB30_1153
	s_branch .LBB30_1154
.LBB30_1225:
	s_mov_b64 s[22:23], -1
	s_mov_b64 s[20:21], 0
	s_mov_b64 s[4:5], 0
                                        ; implicit-def: $vgpr4
	s_branch .LBB30_1229
.LBB30_1226:
	s_or_saveexec_b64 s[26:27], s[26:27]
                                        ; implicit-def: $sgpr28
	s_xor_b64 exec, exec, s[26:27]
	s_cbranch_execz .LBB30_1000
.LBB30_1227:
	s_mov_b32 s28, 0x42800000
	v_add_f32_e64 v1, |v0|, s28
	v_and_b32_e32 v1, 0xff, v1
	v_cmp_ne_u32_e32 vcc, 0, v1
	s_andn2_b64 s[24:25], s[24:25], exec
	s_and_b64 s[30:31], vcc, exec
	s_mov_b32 s28, 0
	s_or_b64 s[24:25], s[24:25], s[30:31]
	s_or_b64 exec, exec, s[26:27]
	v_mov_b32_e32 v5, s28
	s_and_saveexec_b64 s[26:27], s[24:25]
	s_cbranch_execnz .LBB30_1001
	s_branch .LBB30_1002
.LBB30_1228:
	s_mov_b64 s[4:5], -1
                                        ; implicit-def: $vgpr4
	s_mov_b64 s[20:21], 0
.LBB30_1229:
	s_and_b64 vcc, exec, s[22:23]
	s_cbranch_vccz .LBB30_1233
; %bb.1230:
	v_cmp_eq_u16_e32 vcc, 44, v8
	s_cbranch_vccz .LBB30_1232
; %bb.1231:
	global_load_ubyte v4, v[2:3], off
	s_movk_i32 s20, 0xff
	v_mov_b32_e32 v5, 0x7f800001
	v_mov_b32_e32 v6, 0x400000
	s_mov_b64 s[4:5], 0
	s_waitcnt vmcnt(0)
	v_lshlrev_b32_e32 v9, 23, v4
	v_cmp_ne_u32_e32 vcc, s20, v4
	v_cndmask_b32_e32 v5, v5, v9, vcc
	v_cmp_ne_u32_e32 vcc, 0, v4
	v_cndmask_b32_e32 v4, v6, v5, vcc
	s_mov_b64 s[20:21], -1
	s_branch .LBB30_1233
.LBB30_1232:
	s_mov_b64 s[4:5], -1
                                        ; implicit-def: $vgpr4
.LBB30_1233:
	s_mov_b64 s[22:23], 0
.LBB30_1234:
	s_and_b64 vcc, exec, s[22:23]
	s_cbranch_vccz .LBB30_1238
; %bb.1235:
	v_cmp_eq_u16_e32 vcc, 29, v8
	s_cbranch_vccz .LBB30_1237
; %bb.1236:
	global_load_dwordx2 v[4:5], v[2:3], off
	s_mov_b64 s[4:5], 0
	s_mov_b64 s[20:21], -1
	s_mov_b64 s[22:23], 0
	s_waitcnt vmcnt(0)
	v_ffbh_u32_e32 v6, v5
	v_min_u32_e32 v6, 32, v6
	v_lshlrev_b64 v[4:5], v6, v[4:5]
	v_min_u32_e32 v4, 1, v4
	v_or_b32_e32 v4, v5, v4
	v_cvt_f32_u32_e32 v4, v4
	v_sub_u32_e32 v5, 32, v6
	v_ldexp_f32 v4, v4, v5
	s_branch .LBB30_1239
.LBB30_1237:
	s_mov_b64 s[4:5], -1
                                        ; implicit-def: $vgpr4
.LBB30_1238:
	s_mov_b64 s[22:23], 0
.LBB30_1239:
	s_and_b64 vcc, exec, s[22:23]
	s_cbranch_vccz .LBB30_1257
; %bb.1240:
	v_cmp_gt_i16_e32 vcc, 27, v8
	s_cbranch_vccnz .LBB30_1243
; %bb.1241:
	v_cmp_lt_i16_e32 vcc, 27, v8
	s_cbranch_vccz .LBB30_1244
; %bb.1242:
	global_load_dword v4, v[2:3], off
	s_mov_b64 s[20:21], 0
	s_waitcnt vmcnt(0)
	v_cvt_f32_u32_e32 v4, v4
	s_branch .LBB30_1245
.LBB30_1243:
	s_mov_b64 s[20:21], -1
                                        ; implicit-def: $vgpr4
	s_branch .LBB30_1248
.LBB30_1244:
	s_mov_b64 s[20:21], -1
                                        ; implicit-def: $vgpr4
.LBB30_1245:
	s_andn2_b64 vcc, exec, s[20:21]
	s_cbranch_vccnz .LBB30_1247
; %bb.1246:
	global_load_ushort v4, v[2:3], off
	s_waitcnt vmcnt(0)
	v_cvt_f32_u32_e32 v4, v4
.LBB30_1247:
	s_mov_b64 s[20:21], 0
.LBB30_1248:
	s_andn2_b64 vcc, exec, s[20:21]
	s_cbranch_vccnz .LBB30_1256
; %bb.1249:
	global_load_ubyte v5, v[2:3], off
	s_movk_i32 s20, 0x7f
                                        ; implicit-def: $sgpr26
	s_waitcnt vmcnt(0)
	v_cmp_lt_i16_e32 vcc, s20, v5
	s_mov_b64 s[20:21], 0
	s_and_saveexec_b64 s[22:23], vcc
	s_xor_b64 s[22:23], exec, s[22:23]
	s_cbranch_execz .LBB30_1269
; %bb.1250:
	s_movk_i32 s20, 0x80
	v_cmp_eq_u16_e32 vcc, s20, v5
	s_mov_b64 s[20:21], -1
                                        ; implicit-def: $sgpr26
	s_and_saveexec_b64 s[24:25], vcc
; %bb.1251:
	s_mov_b32 s26, 0x7f800001
	s_xor_b64 s[20:21], exec, -1
; %bb.1252:
	s_or_b64 exec, exec, s[24:25]
	s_and_b64 s[20:21], s[20:21], exec
	s_or_saveexec_b64 s[22:23], s[22:23]
	v_mov_b32_e32 v4, s26
	s_xor_b64 exec, exec, s[22:23]
	s_cbranch_execnz .LBB30_1270
.LBB30_1253:
	s_or_b64 exec, exec, s[22:23]
	s_and_saveexec_b64 s[22:23], s[20:21]
	s_cbranch_execz .LBB30_1255
.LBB30_1254:
	v_lshlrev_b32_e32 v4, 24, v5
	v_and_b32_e32 v5, 0xffff, v5
	v_and_b32_e32 v6, 7, v5
	v_ffbh_u32_e32 v10, v6
	v_min_u32_e32 v10, 32, v10
	v_subrev_u32_e32 v11, 28, v10
	v_bfe_u32 v9, v5, 3, 4
	v_lshlrev_b32_e32 v5, v11, v5
	v_sub_u32_e32 v10, 29, v10
	v_and_b32_e32 v5, 7, v5
	v_cmp_eq_u32_e32 vcc, 0, v9
	v_cndmask_b32_e32 v9, v9, v10, vcc
	v_cndmask_b32_e32 v5, v6, v5, vcc
	v_mov_b32_e32 v6, 0x3b800000
	v_lshlrev_b32_e32 v5, 20, v5
	v_and_b32_e32 v4, 0x80000000, v4
	v_lshl_add_u32 v6, v9, 23, v6
	v_or3_b32 v4, v4, v6, v5
.LBB30_1255:
	s_or_b64 exec, exec, s[22:23]
.LBB30_1256:
	s_mov_b64 s[20:21], -1
.LBB30_1257:
	s_branch .LBB30_1290
.LBB30_1258:
	v_cmp_lt_i16_e32 vcc, 22, v8
	s_cbranch_vccz .LBB30_1268
; %bb.1259:
	v_cmp_gt_i16_e32 vcc, 24, v8
	s_cbranch_vccnz .LBB30_1271
; %bb.1260:
	v_cmp_lt_i16_e32 vcc, 24, v8
	s_cbranch_vccz .LBB30_1272
; %bb.1261:
	global_load_ubyte v5, v[2:3], off
	s_movk_i32 s18, 0x7f
                                        ; implicit-def: $sgpr24
	s_waitcnt vmcnt(0)
	v_cmp_lt_i16_e32 vcc, s18, v5
	s_mov_b64 s[18:19], 0
	s_and_saveexec_b64 s[20:21], vcc
	s_xor_b64 s[20:21], exec, s[20:21]
	s_cbranch_execz .LBB30_1284
; %bb.1262:
	s_movk_i32 s18, 0x80
	v_cmp_eq_u16_e32 vcc, s18, v5
	s_mov_b64 s[18:19], -1
                                        ; implicit-def: $sgpr24
	s_and_saveexec_b64 s[22:23], vcc
; %bb.1263:
	s_mov_b32 s24, 0x7f800001
	s_xor_b64 s[18:19], exec, -1
; %bb.1264:
	s_or_b64 exec, exec, s[22:23]
	s_and_b64 s[18:19], s[18:19], exec
	s_or_saveexec_b64 s[20:21], s[20:21]
	v_mov_b32_e32 v4, s24
	s_xor_b64 exec, exec, s[20:21]
	s_cbranch_execnz .LBB30_1285
.LBB30_1265:
	s_or_b64 exec, exec, s[20:21]
	s_and_saveexec_b64 s[20:21], s[18:19]
	s_cbranch_execz .LBB30_1267
.LBB30_1266:
	v_lshlrev_b32_e32 v4, 24, v5
	v_and_b32_e32 v5, 0xffff, v5
	v_and_b32_e32 v6, 3, v5
	v_ffbh_u32_e32 v10, v6
	v_min_u32_e32 v10, 32, v10
	v_subrev_u32_e32 v11, 29, v10
	v_bfe_u32 v9, v5, 2, 5
	v_lshlrev_b32_e32 v5, v11, v5
	v_sub_u32_e32 v10, 30, v10
	v_and_b32_e32 v5, 3, v5
	v_cmp_eq_u32_e32 vcc, 0, v9
	v_cndmask_b32_e32 v9, v9, v10, vcc
	v_cndmask_b32_e32 v5, v6, v5, vcc
	v_mov_b32_e32 v6, 0x37800000
	v_lshlrev_b32_e32 v5, 21, v5
	v_and_b32_e32 v4, 0x80000000, v4
	v_lshl_add_u32 v6, v9, 23, v6
	v_or3_b32 v4, v4, v6, v5
.LBB30_1267:
	s_or_b64 exec, exec, s[20:21]
	s_mov_b64 s[18:19], 0
	s_branch .LBB30_1273
.LBB30_1268:
	s_mov_b64 s[18:19], -1
                                        ; implicit-def: $vgpr4
	s_branch .LBB30_1279
.LBB30_1269:
	s_or_saveexec_b64 s[22:23], s[22:23]
	v_mov_b32_e32 v4, s26
	s_xor_b64 exec, exec, s[22:23]
	s_cbranch_execz .LBB30_1253
.LBB30_1270:
	v_cmp_ne_u16_e32 vcc, 0, v5
	s_andn2_b64 s[20:21], s[20:21], exec
	s_and_b64 s[24:25], vcc, exec
	v_mov_b32_e32 v4, 0
	s_or_b64 s[20:21], s[20:21], s[24:25]
	s_or_b64 exec, exec, s[22:23]
	s_and_saveexec_b64 s[22:23], s[20:21]
	s_cbranch_execnz .LBB30_1254
	s_branch .LBB30_1255
.LBB30_1271:
	s_mov_b64 s[18:19], -1
                                        ; implicit-def: $vgpr4
	s_branch .LBB30_1276
.LBB30_1272:
	s_mov_b64 s[18:19], -1
                                        ; implicit-def: $vgpr4
.LBB30_1273:
	s_and_b64 vcc, exec, s[18:19]
	s_cbranch_vccz .LBB30_1275
; %bb.1274:
	global_load_ubyte v4, v[2:3], off
	s_mov_b32 s18, 0x7f800000
	s_waitcnt vmcnt(0)
	v_lshlrev_b32_e32 v4, 24, v4
	v_and_b32_e32 v5, 0x7f000000, v4
	v_ffbh_u32_e32 v6, v5
	v_min_u32_e32 v6, 32, v6
	v_sub_u32_e64 v6, v6, 4 clamp
	v_lshlrev_b32_e32 v10, v6, v5
	v_lshlrev_b32_e32 v6, 23, v6
	v_lshrrev_b32_e32 v10, 4, v10
	v_add_u32_e32 v9, 0x1000000, v5
	v_sub_u32_e32 v6, v10, v6
	v_ashrrev_i32_e32 v9, 8, v9
	v_add_u32_e32 v6, 0x3c000000, v6
	v_and_or_b32 v6, v9, s18, v6
	v_cmp_ne_u32_e32 vcc, 0, v5
	v_cndmask_b32_e32 v5, 0, v6, vcc
	s_brev_b32 s18, 1
	v_and_or_b32 v4, v4, s18, v5
.LBB30_1275:
	s_mov_b64 s[18:19], 0
.LBB30_1276:
	s_andn2_b64 vcc, exec, s[18:19]
	s_cbranch_vccnz .LBB30_1278
; %bb.1277:
	global_load_ubyte v4, v[2:3], off
	s_movk_i32 s18, 0x7f00
	s_brev_b32 s19, 16
	s_waitcnt vmcnt(0)
	v_lshlrev_b16_e32 v5, 8, v4
	v_lshlrev_b32_e32 v4, 25, v4
	v_lshrrev_b32_e32 v6, 4, v4
	v_and_or_b32 v9, v5, s18, 0.5
	v_or_b32_e32 v6, 0x70000000, v6
	v_add_f32_e32 v9, -0.5, v9
	v_mul_f32_e32 v6, 0x7800000, v6
	v_cmp_gt_u32_e32 vcc, s19, v4
	v_bfe_i32 v5, v5, 0, 16
	v_cndmask_b32_e32 v4, v6, v9, vcc
	s_brev_b32 s18, 1
	v_and_or_b32 v4, v5, s18, v4
.LBB30_1278:
	s_mov_b64 s[18:19], 0
	s_mov_b64 s[20:21], -1
.LBB30_1279:
	s_andn2_b64 vcc, exec, s[18:19]
	s_mov_b64 s[18:19], 0
	s_cbranch_vccnz .LBB30_1290
; %bb.1280:
	v_cmp_lt_i16_e32 vcc, 14, v8
	s_cbranch_vccz .LBB30_1283
; %bb.1281:
	v_cmp_eq_u16_e32 vcc, 15, v8
	s_cbranch_vccz .LBB30_1286
; %bb.1282:
	global_load_ushort v4, v[2:3], off
	s_mov_b64 s[4:5], 0
	s_mov_b64 s[20:21], -1
	s_waitcnt vmcnt(0)
	v_lshlrev_b32_e32 v4, 16, v4
	s_branch .LBB30_1287
.LBB30_1283:
	s_mov_b64 s[22:23], -1
                                        ; implicit-def: $vgpr4
	s_branch .LBB30_1288
.LBB30_1284:
	s_or_saveexec_b64 s[20:21], s[20:21]
	v_mov_b32_e32 v4, s24
	s_xor_b64 exec, exec, s[20:21]
	s_cbranch_execz .LBB30_1265
.LBB30_1285:
	v_cmp_ne_u16_e32 vcc, 0, v5
	s_andn2_b64 s[18:19], s[18:19], exec
	s_and_b64 s[22:23], vcc, exec
	v_mov_b32_e32 v4, 0
	s_or_b64 s[18:19], s[18:19], s[22:23]
	s_or_b64 exec, exec, s[20:21]
	s_and_saveexec_b64 s[20:21], s[18:19]
	s_cbranch_execnz .LBB30_1266
	s_branch .LBB30_1267
.LBB30_1286:
	s_mov_b64 s[4:5], -1
                                        ; implicit-def: $vgpr4
.LBB30_1287:
	s_mov_b64 s[22:23], 0
.LBB30_1288:
	s_and_b64 vcc, exec, s[22:23]
	s_cbranch_vccz .LBB30_1290
; %bb.1289:
	v_cmp_ne_u16_e64 s[4:5], 11, v8
	s_mov_b64 s[18:19], -1
                                        ; implicit-def: $vgpr4
.LBB30_1290:
	s_and_b64 vcc, exec, s[4:5]
	s_cbranch_vccnz .LBB30_1365
; %bb.1291:
	s_andn2_b64 vcc, exec, s[18:19]
	s_cbranch_vccnz .LBB30_1293
.LBB30_1292:
	global_load_ubyte v4, v[2:3], off
	s_mov_b64 s[20:21], -1
	s_waitcnt vmcnt(0)
	v_cmp_ne_u16_e32 vcc, 0, v4
	v_cndmask_b32_e64 v4, 0, 1.0, vcc
.LBB30_1293:
	s_branch .LBB30_1220
.LBB30_1294:
	v_cmp_gt_i16_e32 vcc, 5, v8
	s_cbranch_vccnz .LBB30_1299
; %bb.1295:
	v_cmp_gt_i16_e32 vcc, 8, v8
	s_cbranch_vccnz .LBB30_1300
; %bb.1296:
	;; [unrolled: 3-line block ×3, first 2 shown]
	v_cmp_lt_i16_e32 vcc, 9, v8
	s_cbranch_vccz .LBB30_1302
; %bb.1298:
	global_load_dwordx2 v[4:5], v[2:3], off
	s_mov_b64 s[4:5], 0
	s_waitcnt vmcnt(0)
	v_cvt_f32_f64_e32 v4, v[4:5]
	s_branch .LBB30_1303
.LBB30_1299:
                                        ; implicit-def: $vgpr4
	s_branch .LBB30_1321
.LBB30_1300:
	s_mov_b64 s[4:5], -1
                                        ; implicit-def: $vgpr4
	s_branch .LBB30_1309
.LBB30_1301:
	s_mov_b64 s[4:5], -1
                                        ; implicit-def: $vgpr4
	s_branch .LBB30_1306
.LBB30_1302:
	s_mov_b64 s[4:5], -1
                                        ; implicit-def: $vgpr4
.LBB30_1303:
	s_andn2_b64 vcc, exec, s[4:5]
	s_cbranch_vccnz .LBB30_1305
; %bb.1304:
	global_load_dword v4, v[2:3], off
.LBB30_1305:
	s_mov_b64 s[4:5], 0
.LBB30_1306:
	s_andn2_b64 vcc, exec, s[4:5]
	s_cbranch_vccnz .LBB30_1308
; %bb.1307:
	global_load_dword v4, v[2:3], off
	s_waitcnt vmcnt(0)
	v_cvt_f32_f16_e32 v4, v4
.LBB30_1308:
	s_mov_b64 s[4:5], 0
.LBB30_1309:
	s_andn2_b64 vcc, exec, s[4:5]
	s_cbranch_vccnz .LBB30_1320
; %bb.1310:
	v_cmp_gt_i16_e32 vcc, 6, v8
	s_cbranch_vccnz .LBB30_1313
; %bb.1311:
	v_cmp_lt_i16_e32 vcc, 6, v8
	s_cbranch_vccz .LBB30_1314
; %bb.1312:
	global_load_dwordx2 v[4:5], v[2:3], off
	s_mov_b64 s[4:5], 0
	s_waitcnt vmcnt(0)
	v_cvt_f32_f64_e32 v4, v[4:5]
	s_branch .LBB30_1315
.LBB30_1313:
	s_mov_b64 s[4:5], -1
                                        ; implicit-def: $vgpr4
	s_branch .LBB30_1318
.LBB30_1314:
	s_mov_b64 s[4:5], -1
                                        ; implicit-def: $vgpr4
.LBB30_1315:
	s_andn2_b64 vcc, exec, s[4:5]
	s_cbranch_vccnz .LBB30_1317
; %bb.1316:
	global_load_dword v4, v[2:3], off
.LBB30_1317:
	s_mov_b64 s[4:5], 0
.LBB30_1318:
	s_andn2_b64 vcc, exec, s[4:5]
	s_cbranch_vccnz .LBB30_1320
; %bb.1319:
	global_load_ushort v4, v[2:3], off
	s_waitcnt vmcnt(0)
	v_cvt_f32_f16_e32 v4, v4
.LBB30_1320:
	s_cbranch_execnz .LBB30_1340
.LBB30_1321:
	v_cmp_gt_i16_e32 vcc, 2, v8
	s_cbranch_vccnz .LBB30_1325
; %bb.1322:
	v_cmp_gt_i16_e32 vcc, 3, v8
	s_cbranch_vccnz .LBB30_1326
; %bb.1323:
	v_cmp_lt_i16_e32 vcc, 3, v8
	s_cbranch_vccz .LBB30_1327
; %bb.1324:
	global_load_dwordx2 v[4:5], v[2:3], off
	s_mov_b64 s[4:5], 0
	s_waitcnt vmcnt(0)
	v_xor_b32_e32 v9, v4, v5
	v_ffbh_i32_e32 v6, v5
	v_ashrrev_i32_e32 v9, 31, v9
	v_add_u32_e32 v6, -1, v6
	v_add_u32_e32 v9, 32, v9
	v_min_u32_e32 v6, v6, v9
	v_lshlrev_b64 v[4:5], v6, v[4:5]
	v_min_u32_e32 v4, 1, v4
	v_or_b32_e32 v4, v5, v4
	v_cvt_f32_i32_e32 v4, v4
	v_sub_u32_e32 v5, 32, v6
	v_ldexp_f32 v4, v4, v5
	s_branch .LBB30_1328
.LBB30_1325:
	s_mov_b64 s[4:5], -1
                                        ; implicit-def: $vgpr4
	s_branch .LBB30_1334
.LBB30_1326:
	s_mov_b64 s[4:5], -1
                                        ; implicit-def: $vgpr4
	s_branch .LBB30_1331
.LBB30_1327:
	s_mov_b64 s[4:5], -1
                                        ; implicit-def: $vgpr4
.LBB30_1328:
	s_andn2_b64 vcc, exec, s[4:5]
	s_cbranch_vccnz .LBB30_1330
; %bb.1329:
	global_load_dword v4, v[2:3], off
	s_waitcnt vmcnt(0)
	v_cvt_f32_i32_e32 v4, v4
.LBB30_1330:
	s_mov_b64 s[4:5], 0
.LBB30_1331:
	s_andn2_b64 vcc, exec, s[4:5]
	s_cbranch_vccnz .LBB30_1333
; %bb.1332:
	global_load_sshort v4, v[2:3], off
	s_waitcnt vmcnt(0)
	v_cvt_f32_i32_e32 v4, v4
.LBB30_1333:
	s_mov_b64 s[4:5], 0
.LBB30_1334:
	s_andn2_b64 vcc, exec, s[4:5]
	s_cbranch_vccnz .LBB30_1340
; %bb.1335:
	v_cmp_lt_i16_e32 vcc, 0, v8
	s_cbranch_vccz .LBB30_1337
; %bb.1336:
	global_load_sbyte v4, v[2:3], off
	s_mov_b64 s[4:5], 0
	s_waitcnt vmcnt(0)
	v_cvt_f32_i32_e32 v4, v4
	s_branch .LBB30_1338
.LBB30_1337:
	s_mov_b64 s[4:5], -1
                                        ; implicit-def: $vgpr4
.LBB30_1338:
	s_andn2_b64 vcc, exec, s[4:5]
	s_cbranch_vccnz .LBB30_1340
; %bb.1339:
	global_load_ubyte v2, v[2:3], off
	s_waitcnt vmcnt(0)
	v_cvt_f32_ubyte0_e32 v4, v2
.LBB30_1340:
.LBB30_1341:
	s_waitcnt vmcnt(0)
	v_trunc_f32_e32 v2, v4
	s_mov_b32 s4, 0x2f800000
	v_mul_f32_e64 v3, |v2|, s4
	v_floor_f32_e32 v3, v3
	s_mov_b32 s4, 0xcf800000
	v_cvt_u32_f32_e32 v4, v3
	v_fma_f32 v3, v3, s4, |v2|
	v_cvt_u32_f32_e32 v3, v3
	v_ashrrev_i32_e32 v2, 31, v2
	v_xor_b32_e32 v5, v4, v2
	v_xor_b32_e32 v3, v3, v2
	v_sub_co_u32_e32 v4, vcc, v3, v2
	v_subb_co_u32_e32 v5, vcc, v5, v2, vcc
	v_cmp_lt_i64_e32 vcc, -1, v[4:5]
	v_mov_b32_e32 v2, 0
	s_and_saveexec_b64 s[4:5], vcc
	s_cbranch_execz .LBB30_1353
; %bb.1342:
	v_cmp_lt_i64_e32 vcc, 0, v[4:5]
	v_mov_b32_e32 v2, 1.0
	s_and_saveexec_b64 s[18:19], vcc
	s_cbranch_execz .LBB30_1352
; %bb.1343:
	v_cmp_ne_u64_e32 vcc, 1, v[4:5]
                                        ; implicit-def: $vgpr2
	s_and_saveexec_b64 s[20:21], vcc
	s_xor_b64 s[20:21], exec, s[20:21]
	s_cbranch_execz .LBB30_1349
; %bb.1344:
	s_mov_b64 s[22:23], 0x81
	v_cmp_gt_u64_e32 vcc, s[22:23], v[4:5]
	v_mov_b32_e32 v2, 0x7fc00000
	s_and_saveexec_b64 s[22:23], vcc
	s_cbranch_execz .LBB30_1348
; %bb.1345:
	s_mov_b64 s[26:27], 1
	s_mov_b64 s[24:25], 0
	v_mov_b32_e32 v2, s2
	v_mov_b32_e32 v3, 1.0
.LBB30_1346:                            ; =>This Inner Loop Header: Depth=1
	s_flbit_i32_b32 s28, s27
	s_min_u32 s30, s28, 32
	s_lshl_b64 s[28:29], s[26:27], s30
	s_min_u32 s28, s28, 1
	s_or_b32 s28, s29, s28
	v_cvt_f32_u32_e32 v6, s28
	s_sub_i32 s30, 32, s30
	s_add_u32 s26, s26, 1
	s_addc_u32 s27, s27, 0
	v_ldexp_f32 v6, v6, s30
	v_cmp_eq_u64_e32 vcc, s[26:27], v[4:5]
	v_mul_f32_e32 v6, v3, v6
	s_or_b64 s[24:25], vcc, s[24:25]
	v_mov_b32_e32 v3, v2
	v_fma_f32 v2, s2, v2, -v6
	s_andn2_b64 exec, exec, s[24:25]
	s_cbranch_execnz .LBB30_1346
; %bb.1347:
	s_or_b64 exec, exec, s[24:25]
.LBB30_1348:
	s_or_b64 exec, exec, s[22:23]
.LBB30_1349:
	s_andn2_saveexec_b64 s[20:21], s[20:21]
; %bb.1350:
	v_mov_b32_e32 v2, s2
; %bb.1351:
	s_or_b64 exec, exec, s[20:21]
.LBB30_1352:
	s_or_b64 exec, exec, s[18:19]
.LBB30_1353:
	s_or_b64 exec, exec, s[4:5]
	v_add_u32_e32 v1, s13, v1
	v_ashrrev_i32_e32 v3, 31, v1
	v_mov_b32_e32 v5, s11
	v_add_co_u32_e32 v4, vcc, s10, v1
	v_addc_co_u32_e32 v5, vcc, v5, v3, vcc
	s_and_b64 vcc, exec, s[0:1]
	s_cbranch_vccnz .LBB30_1360
; %bb.1354:
	v_cmp_lt_i16_e32 vcc, 25, v8
	s_mov_b64 s[18:19], 0
	s_cbranch_vccz .LBB30_1362
; %bb.1355:
	v_cmp_lt_i16_e32 vcc, 28, v8
	s_cbranch_vccz .LBB30_1363
; %bb.1356:
	v_cmp_lt_i16_e32 vcc, 43, v8
	s_cbranch_vccz .LBB30_1364
; %bb.1357:
	v_cmp_lt_i16_e32 vcc, 45, v8
	s_cbranch_vccz .LBB30_1366
; %bb.1358:
	v_cmp_eq_u16_e32 vcc, 46, v8
	s_mov_b64 s[22:23], 0
	s_cbranch_vccz .LBB30_1367
; %bb.1359:
	global_load_dword v3, v[4:5], off
	s_mov_b64 s[4:5], 0
	s_mov_b64 s[20:21], -1
	s_waitcnt vmcnt(0)
	v_lshlrev_b32_e32 v3, 16, v3
	s_branch .LBB30_1368
.LBB30_1360:
	s_mov_b64 s[20:21], 0
                                        ; implicit-def: $vgpr3
	s_cbranch_execnz .LBB30_1434
.LBB30_1361:
	s_andn2_b64 vcc, exec, s[20:21]
	s_cbranch_vccnz .LBB30_1643
	s_branch .LBB30_1482
.LBB30_1362:
	s_mov_b64 s[22:23], -1
	s_mov_b64 s[20:21], 0
	s_mov_b64 s[4:5], 0
                                        ; implicit-def: $vgpr3
	s_branch .LBB30_1397
.LBB30_1363:
	s_mov_b64 s[22:23], -1
	s_mov_b64 s[20:21], 0
	s_mov_b64 s[4:5], 0
                                        ; implicit-def: $vgpr3
	s_branch .LBB30_1378
.LBB30_1364:
	s_mov_b64 s[22:23], -1
	s_mov_b64 s[20:21], 0
	s_mov_b64 s[4:5], 0
                                        ; implicit-def: $vgpr3
	s_branch .LBB30_1373
.LBB30_1365:
	s_trap 2
	s_or_b64 s[16:17], s[16:17], exec
                                        ; implicit-def: $vgpr4
	s_cbranch_execz .LBB30_1292
	s_branch .LBB30_1293
.LBB30_1366:
	s_mov_b64 s[22:23], -1
	s_mov_b64 s[20:21], 0
	s_mov_b64 s[4:5], 0
                                        ; implicit-def: $vgpr3
	s_branch .LBB30_1368
.LBB30_1367:
	s_mov_b64 s[4:5], -1
                                        ; implicit-def: $vgpr3
	s_mov_b64 s[20:21], 0
.LBB30_1368:
	s_and_b64 vcc, exec, s[22:23]
	s_cbranch_vccz .LBB30_1372
; %bb.1369:
	v_cmp_eq_u16_e32 vcc, 44, v8
	s_cbranch_vccz .LBB30_1371
; %bb.1370:
	global_load_ubyte v3, v[4:5], off
	s_movk_i32 s20, 0xff
	v_mov_b32_e32 v6, 0x7f800001
	v_mov_b32_e32 v9, 0x400000
	s_mov_b64 s[4:5], 0
	s_waitcnt vmcnt(0)
	v_lshlrev_b32_e32 v10, 23, v3
	v_cmp_ne_u32_e32 vcc, s20, v3
	v_cndmask_b32_e32 v6, v6, v10, vcc
	v_cmp_ne_u32_e32 vcc, 0, v3
	v_cndmask_b32_e32 v3, v9, v6, vcc
	s_mov_b64 s[20:21], -1
	s_branch .LBB30_1372
.LBB30_1371:
	s_mov_b64 s[4:5], -1
                                        ; implicit-def: $vgpr3
.LBB30_1372:
	s_mov_b64 s[22:23], 0
.LBB30_1373:
	s_and_b64 vcc, exec, s[22:23]
	s_cbranch_vccz .LBB30_1377
; %bb.1374:
	v_cmp_eq_u16_e32 vcc, 29, v8
	s_cbranch_vccz .LBB30_1376
; %bb.1375:
	global_load_dwordx2 v[10:11], v[4:5], off
	s_mov_b64 s[4:5], 0
	s_mov_b64 s[20:21], -1
	s_mov_b64 s[22:23], 0
	s_waitcnt vmcnt(0)
	v_ffbh_u32_e32 v3, v11
	v_min_u32_e32 v3, 32, v3
	v_lshlrev_b64 v[10:11], v3, v[10:11]
	v_min_u32_e32 v6, 1, v10
	v_or_b32_e32 v6, v11, v6
	v_cvt_f32_u32_e32 v6, v6
	v_sub_u32_e32 v3, 32, v3
	v_ldexp_f32 v3, v6, v3
	s_branch .LBB30_1378
.LBB30_1376:
	s_mov_b64 s[4:5], -1
                                        ; implicit-def: $vgpr3
.LBB30_1377:
	s_mov_b64 s[22:23], 0
.LBB30_1378:
	s_and_b64 vcc, exec, s[22:23]
	s_cbranch_vccz .LBB30_1396
; %bb.1379:
	v_cmp_gt_i16_e32 vcc, 27, v8
	s_cbranch_vccnz .LBB30_1382
; %bb.1380:
	v_cmp_lt_i16_e32 vcc, 27, v8
	s_cbranch_vccz .LBB30_1383
; %bb.1381:
	global_load_dword v3, v[4:5], off
	s_mov_b64 s[20:21], 0
	s_waitcnt vmcnt(0)
	v_cvt_f32_u32_e32 v3, v3
	s_branch .LBB30_1384
.LBB30_1382:
	s_mov_b64 s[20:21], -1
                                        ; implicit-def: $vgpr3
	s_branch .LBB30_1387
.LBB30_1383:
	s_mov_b64 s[20:21], -1
                                        ; implicit-def: $vgpr3
.LBB30_1384:
	s_andn2_b64 vcc, exec, s[20:21]
	s_cbranch_vccnz .LBB30_1386
; %bb.1385:
	global_load_ushort v3, v[4:5], off
	s_waitcnt vmcnt(0)
	v_cvt_f32_u32_e32 v3, v3
.LBB30_1386:
	s_mov_b64 s[20:21], 0
.LBB30_1387:
	s_andn2_b64 vcc, exec, s[20:21]
	s_cbranch_vccnz .LBB30_1395
; %bb.1388:
	global_load_ubyte v6, v[4:5], off
	s_movk_i32 s20, 0x7f
                                        ; implicit-def: $sgpr26
	s_waitcnt vmcnt(0)
	v_cmp_lt_i16_e32 vcc, s20, v6
	s_mov_b64 s[20:21], 0
	s_and_saveexec_b64 s[22:23], vcc
	s_xor_b64 s[22:23], exec, s[22:23]
	s_cbranch_execz .LBB30_1409
; %bb.1389:
	s_movk_i32 s20, 0x80
	v_cmp_eq_u16_e32 vcc, s20, v6
	s_mov_b64 s[20:21], -1
                                        ; implicit-def: $sgpr26
	s_and_saveexec_b64 s[24:25], vcc
; %bb.1390:
	s_mov_b32 s26, 0x7f800001
	s_xor_b64 s[20:21], exec, -1
; %bb.1391:
	s_or_b64 exec, exec, s[24:25]
	s_and_b64 s[20:21], s[20:21], exec
	s_or_saveexec_b64 s[22:23], s[22:23]
	v_mov_b32_e32 v3, s26
	s_xor_b64 exec, exec, s[22:23]
	s_cbranch_execnz .LBB30_1410
.LBB30_1392:
	s_or_b64 exec, exec, s[22:23]
	s_and_saveexec_b64 s[22:23], s[20:21]
	s_cbranch_execz .LBB30_1394
.LBB30_1393:
	v_lshlrev_b32_e32 v3, 24, v6
	v_and_b32_e32 v6, 0xffff, v6
	v_and_b32_e32 v9, 7, v6
	v_ffbh_u32_e32 v11, v9
	v_min_u32_e32 v11, 32, v11
	v_subrev_u32_e32 v12, 28, v11
	v_bfe_u32 v10, v6, 3, 4
	v_lshlrev_b32_e32 v6, v12, v6
	v_sub_u32_e32 v11, 29, v11
	v_and_b32_e32 v6, 7, v6
	v_cmp_eq_u32_e32 vcc, 0, v10
	v_cndmask_b32_e32 v10, v10, v11, vcc
	v_cndmask_b32_e32 v6, v9, v6, vcc
	v_mov_b32_e32 v9, 0x3b800000
	v_lshlrev_b32_e32 v6, 20, v6
	v_and_b32_e32 v3, 0x80000000, v3
	v_lshl_add_u32 v9, v10, 23, v9
	v_or3_b32 v3, v3, v9, v6
.LBB30_1394:
	s_or_b64 exec, exec, s[22:23]
.LBB30_1395:
	s_mov_b64 s[20:21], -1
.LBB30_1396:
	s_mov_b64 s[22:23], 0
.LBB30_1397:
	s_and_b64 vcc, exec, s[22:23]
	s_cbranch_vccz .LBB30_1430
; %bb.1398:
	v_cmp_lt_i16_e32 vcc, 22, v8
	s_cbranch_vccz .LBB30_1408
; %bb.1399:
	v_cmp_gt_i16_e32 vcc, 24, v8
	s_cbranch_vccnz .LBB30_1411
; %bb.1400:
	v_cmp_lt_i16_e32 vcc, 24, v8
	s_cbranch_vccz .LBB30_1412
; %bb.1401:
	global_load_ubyte v6, v[4:5], off
	s_movk_i32 s18, 0x7f
                                        ; implicit-def: $sgpr24
	s_waitcnt vmcnt(0)
	v_cmp_lt_i16_e32 vcc, s18, v6
	s_mov_b64 s[18:19], 0
	s_and_saveexec_b64 s[20:21], vcc
	s_xor_b64 s[20:21], exec, s[20:21]
	s_cbranch_execz .LBB30_1424
; %bb.1402:
	s_movk_i32 s18, 0x80
	v_cmp_eq_u16_e32 vcc, s18, v6
	s_mov_b64 s[18:19], -1
                                        ; implicit-def: $sgpr24
	s_and_saveexec_b64 s[22:23], vcc
; %bb.1403:
	s_mov_b32 s24, 0x7f800001
	s_xor_b64 s[18:19], exec, -1
; %bb.1404:
	s_or_b64 exec, exec, s[22:23]
	s_and_b64 s[18:19], s[18:19], exec
	s_or_saveexec_b64 s[20:21], s[20:21]
	v_mov_b32_e32 v3, s24
	s_xor_b64 exec, exec, s[20:21]
	s_cbranch_execnz .LBB30_1425
.LBB30_1405:
	s_or_b64 exec, exec, s[20:21]
	s_and_saveexec_b64 s[20:21], s[18:19]
	s_cbranch_execz .LBB30_1407
.LBB30_1406:
	v_lshlrev_b32_e32 v3, 24, v6
	v_and_b32_e32 v6, 0xffff, v6
	v_and_b32_e32 v9, 3, v6
	v_ffbh_u32_e32 v11, v9
	v_min_u32_e32 v11, 32, v11
	v_subrev_u32_e32 v12, 29, v11
	v_bfe_u32 v10, v6, 2, 5
	v_lshlrev_b32_e32 v6, v12, v6
	v_sub_u32_e32 v11, 30, v11
	v_and_b32_e32 v6, 3, v6
	v_cmp_eq_u32_e32 vcc, 0, v10
	v_cndmask_b32_e32 v10, v10, v11, vcc
	v_cndmask_b32_e32 v6, v9, v6, vcc
	v_mov_b32_e32 v9, 0x37800000
	v_lshlrev_b32_e32 v6, 21, v6
	v_and_b32_e32 v3, 0x80000000, v3
	v_lshl_add_u32 v9, v10, 23, v9
	v_or3_b32 v3, v3, v9, v6
.LBB30_1407:
	s_or_b64 exec, exec, s[20:21]
	s_mov_b64 s[18:19], 0
	s_branch .LBB30_1413
.LBB30_1408:
	s_mov_b64 s[18:19], -1
                                        ; implicit-def: $vgpr3
	s_branch .LBB30_1419
.LBB30_1409:
	s_or_saveexec_b64 s[22:23], s[22:23]
	v_mov_b32_e32 v3, s26
	s_xor_b64 exec, exec, s[22:23]
	s_cbranch_execz .LBB30_1392
.LBB30_1410:
	v_cmp_ne_u16_e32 vcc, 0, v6
	s_andn2_b64 s[20:21], s[20:21], exec
	s_and_b64 s[24:25], vcc, exec
	v_mov_b32_e32 v3, 0
	s_or_b64 s[20:21], s[20:21], s[24:25]
	s_or_b64 exec, exec, s[22:23]
	s_and_saveexec_b64 s[22:23], s[20:21]
	s_cbranch_execnz .LBB30_1393
	s_branch .LBB30_1394
.LBB30_1411:
	s_mov_b64 s[18:19], -1
                                        ; implicit-def: $vgpr3
	s_branch .LBB30_1416
.LBB30_1412:
	s_mov_b64 s[18:19], -1
                                        ; implicit-def: $vgpr3
.LBB30_1413:
	s_and_b64 vcc, exec, s[18:19]
	s_cbranch_vccz .LBB30_1415
; %bb.1414:
	global_load_ubyte v3, v[4:5], off
	s_mov_b32 s18, 0x7f800000
	s_waitcnt vmcnt(0)
	v_lshlrev_b32_e32 v3, 24, v3
	v_and_b32_e32 v6, 0x7f000000, v3
	v_ffbh_u32_e32 v9, v6
	v_min_u32_e32 v9, 32, v9
	v_sub_u32_e64 v9, v9, 4 clamp
	v_lshlrev_b32_e32 v11, v9, v6
	v_lshlrev_b32_e32 v9, 23, v9
	v_lshrrev_b32_e32 v11, 4, v11
	v_add_u32_e32 v10, 0x1000000, v6
	v_sub_u32_e32 v9, v11, v9
	v_ashrrev_i32_e32 v10, 8, v10
	v_add_u32_e32 v9, 0x3c000000, v9
	v_and_or_b32 v9, v10, s18, v9
	v_cmp_ne_u32_e32 vcc, 0, v6
	v_cndmask_b32_e32 v6, 0, v9, vcc
	s_brev_b32 s18, 1
	v_and_or_b32 v3, v3, s18, v6
.LBB30_1415:
	s_mov_b64 s[18:19], 0
.LBB30_1416:
	s_andn2_b64 vcc, exec, s[18:19]
	s_cbranch_vccnz .LBB30_1418
; %bb.1417:
	global_load_ubyte v3, v[4:5], off
	s_movk_i32 s18, 0x7f00
	s_brev_b32 s19, 16
	s_waitcnt vmcnt(0)
	v_lshlrev_b16_e32 v6, 8, v3
	v_lshlrev_b32_e32 v3, 25, v3
	v_lshrrev_b32_e32 v9, 4, v3
	v_and_or_b32 v10, v6, s18, 0.5
	v_or_b32_e32 v9, 0x70000000, v9
	v_add_f32_e32 v10, -0.5, v10
	v_mul_f32_e32 v9, 0x7800000, v9
	v_cmp_gt_u32_e32 vcc, s19, v3
	v_bfe_i32 v6, v6, 0, 16
	v_cndmask_b32_e32 v3, v9, v10, vcc
	s_brev_b32 s18, 1
	v_and_or_b32 v3, v6, s18, v3
.LBB30_1418:
	s_mov_b64 s[18:19], 0
	s_mov_b64 s[20:21], -1
.LBB30_1419:
	s_andn2_b64 vcc, exec, s[18:19]
	s_mov_b64 s[18:19], 0
	s_cbranch_vccnz .LBB30_1430
; %bb.1420:
	v_cmp_lt_i16_e32 vcc, 14, v8
	s_cbranch_vccz .LBB30_1423
; %bb.1421:
	v_cmp_eq_u16_e32 vcc, 15, v8
	s_cbranch_vccz .LBB30_1426
; %bb.1422:
	global_load_ushort v3, v[4:5], off
	s_mov_b64 s[4:5], 0
	s_mov_b64 s[20:21], -1
	s_waitcnt vmcnt(0)
	v_lshlrev_b32_e32 v3, 16, v3
	s_branch .LBB30_1427
.LBB30_1423:
	s_mov_b64 s[22:23], -1
                                        ; implicit-def: $vgpr3
	s_branch .LBB30_1428
.LBB30_1424:
	s_or_saveexec_b64 s[20:21], s[20:21]
	v_mov_b32_e32 v3, s24
	s_xor_b64 exec, exec, s[20:21]
	s_cbranch_execz .LBB30_1405
.LBB30_1425:
	v_cmp_ne_u16_e32 vcc, 0, v6
	s_andn2_b64 s[18:19], s[18:19], exec
	s_and_b64 s[22:23], vcc, exec
	v_mov_b32_e32 v3, 0
	s_or_b64 s[18:19], s[18:19], s[22:23]
	s_or_b64 exec, exec, s[20:21]
	s_and_saveexec_b64 s[20:21], s[18:19]
	s_cbranch_execnz .LBB30_1406
	s_branch .LBB30_1407
.LBB30_1426:
	s_mov_b64 s[4:5], -1
                                        ; implicit-def: $vgpr3
.LBB30_1427:
	s_mov_b64 s[22:23], 0
.LBB30_1428:
	s_and_b64 vcc, exec, s[22:23]
	s_cbranch_vccz .LBB30_1430
; %bb.1429:
	v_cmp_ne_u16_e64 s[4:5], 11, v8
	s_mov_b64 s[18:19], -1
                                        ; implicit-def: $vgpr3
.LBB30_1430:
	s_and_b64 vcc, exec, s[4:5]
	s_cbranch_vccnz .LBB30_1505
; %bb.1431:
	s_andn2_b64 vcc, exec, s[18:19]
	s_cbranch_vccnz .LBB30_1433
.LBB30_1432:
	global_load_ubyte v3, v[4:5], off
	s_mov_b64 s[20:21], -1
	s_waitcnt vmcnt(0)
	v_cmp_ne_u16_e32 vcc, 0, v3
	v_cndmask_b32_e64 v3, 0, 1.0, vcc
.LBB30_1433:
	s_branch .LBB30_1361
.LBB30_1434:
	v_cmp_gt_i16_e32 vcc, 5, v8
	s_cbranch_vccnz .LBB30_1439
; %bb.1435:
	v_cmp_gt_i16_e32 vcc, 8, v8
	s_cbranch_vccnz .LBB30_1440
; %bb.1436:
	;; [unrolled: 3-line block ×3, first 2 shown]
	v_cmp_lt_i16_e32 vcc, 9, v8
	s_cbranch_vccz .LBB30_1442
; %bb.1438:
	global_load_dwordx2 v[10:11], v[4:5], off
	s_mov_b64 s[4:5], 0
	s_waitcnt vmcnt(0)
	v_cvt_f32_f64_e32 v3, v[10:11]
	s_branch .LBB30_1443
.LBB30_1439:
	s_mov_b64 s[4:5], -1
                                        ; implicit-def: $vgpr3
	s_branch .LBB30_1461
.LBB30_1440:
	s_mov_b64 s[4:5], -1
                                        ; implicit-def: $vgpr3
	s_branch .LBB30_1449
.LBB30_1441:
	s_mov_b64 s[4:5], -1
                                        ; implicit-def: $vgpr3
	s_branch .LBB30_1446
.LBB30_1442:
	s_mov_b64 s[4:5], -1
                                        ; implicit-def: $vgpr3
.LBB30_1443:
	s_andn2_b64 vcc, exec, s[4:5]
	s_cbranch_vccnz .LBB30_1445
; %bb.1444:
	global_load_dword v3, v[4:5], off
.LBB30_1445:
	s_mov_b64 s[4:5], 0
.LBB30_1446:
	s_andn2_b64 vcc, exec, s[4:5]
	s_cbranch_vccnz .LBB30_1448
; %bb.1447:
	global_load_dword v3, v[4:5], off
	s_waitcnt vmcnt(0)
	v_cvt_f32_f16_e32 v3, v3
.LBB30_1448:
	s_mov_b64 s[4:5], 0
.LBB30_1449:
	s_andn2_b64 vcc, exec, s[4:5]
	s_cbranch_vccnz .LBB30_1460
; %bb.1450:
	v_cmp_gt_i16_e32 vcc, 6, v8
	s_cbranch_vccnz .LBB30_1453
; %bb.1451:
	v_cmp_lt_i16_e32 vcc, 6, v8
	s_cbranch_vccz .LBB30_1454
; %bb.1452:
	global_load_dwordx2 v[10:11], v[4:5], off
	s_mov_b64 s[4:5], 0
	s_waitcnt vmcnt(0)
	v_cvt_f32_f64_e32 v3, v[10:11]
	s_branch .LBB30_1455
.LBB30_1453:
	s_mov_b64 s[4:5], -1
                                        ; implicit-def: $vgpr3
	s_branch .LBB30_1458
.LBB30_1454:
	s_mov_b64 s[4:5], -1
                                        ; implicit-def: $vgpr3
.LBB30_1455:
	s_andn2_b64 vcc, exec, s[4:5]
	s_cbranch_vccnz .LBB30_1457
; %bb.1456:
	global_load_dword v3, v[4:5], off
.LBB30_1457:
	s_mov_b64 s[4:5], 0
.LBB30_1458:
	s_andn2_b64 vcc, exec, s[4:5]
	s_cbranch_vccnz .LBB30_1460
; %bb.1459:
	global_load_ushort v3, v[4:5], off
	s_waitcnt vmcnt(0)
	v_cvt_f32_f16_e32 v3, v3
.LBB30_1460:
	s_mov_b64 s[4:5], 0
.LBB30_1461:
	s_andn2_b64 vcc, exec, s[4:5]
	s_cbranch_vccnz .LBB30_1481
; %bb.1462:
	v_cmp_gt_i16_e32 vcc, 2, v8
	s_cbranch_vccnz .LBB30_1466
; %bb.1463:
	v_cmp_gt_i16_e32 vcc, 3, v8
	s_cbranch_vccnz .LBB30_1467
; %bb.1464:
	v_cmp_lt_i16_e32 vcc, 3, v8
	s_cbranch_vccz .LBB30_1468
; %bb.1465:
	global_load_dwordx2 v[10:11], v[4:5], off
	s_mov_b64 s[4:5], 0
	s_waitcnt vmcnt(0)
	v_xor_b32_e32 v6, v10, v11
	v_ffbh_i32_e32 v3, v11
	v_ashrrev_i32_e32 v6, 31, v6
	v_add_u32_e32 v3, -1, v3
	v_add_u32_e32 v6, 32, v6
	v_min_u32_e32 v3, v3, v6
	v_lshlrev_b64 v[10:11], v3, v[10:11]
	v_min_u32_e32 v6, 1, v10
	v_or_b32_e32 v6, v11, v6
	v_cvt_f32_i32_e32 v6, v6
	v_sub_u32_e32 v3, 32, v3
	v_ldexp_f32 v3, v6, v3
	s_branch .LBB30_1469
.LBB30_1466:
	s_mov_b64 s[4:5], -1
                                        ; implicit-def: $vgpr3
	s_branch .LBB30_1475
.LBB30_1467:
	s_mov_b64 s[4:5], -1
                                        ; implicit-def: $vgpr3
	s_branch .LBB30_1472
.LBB30_1468:
	s_mov_b64 s[4:5], -1
                                        ; implicit-def: $vgpr3
.LBB30_1469:
	s_andn2_b64 vcc, exec, s[4:5]
	s_cbranch_vccnz .LBB30_1471
; %bb.1470:
	global_load_dword v3, v[4:5], off
	s_waitcnt vmcnt(0)
	v_cvt_f32_i32_e32 v3, v3
.LBB30_1471:
	s_mov_b64 s[4:5], 0
.LBB30_1472:
	s_andn2_b64 vcc, exec, s[4:5]
	s_cbranch_vccnz .LBB30_1474
; %bb.1473:
	global_load_sshort v3, v[4:5], off
	s_waitcnt vmcnt(0)
	v_cvt_f32_i32_e32 v3, v3
.LBB30_1474:
	s_mov_b64 s[4:5], 0
.LBB30_1475:
	s_andn2_b64 vcc, exec, s[4:5]
	s_cbranch_vccnz .LBB30_1481
; %bb.1476:
	v_cmp_lt_i16_e32 vcc, 0, v8
	s_cbranch_vccz .LBB30_1478
; %bb.1477:
	global_load_sbyte v3, v[4:5], off
	s_mov_b64 s[4:5], 0
	s_waitcnt vmcnt(0)
	v_cvt_f32_i32_e32 v3, v3
	s_branch .LBB30_1479
.LBB30_1478:
	s_mov_b64 s[4:5], -1
                                        ; implicit-def: $vgpr3
.LBB30_1479:
	s_andn2_b64 vcc, exec, s[4:5]
	s_cbranch_vccnz .LBB30_1481
; %bb.1480:
	global_load_ubyte v3, v[4:5], off
	s_waitcnt vmcnt(0)
	v_cvt_f32_ubyte0_e32 v3, v3
.LBB30_1481:
.LBB30_1482:
	s_waitcnt vmcnt(0)
	v_trunc_f32_e32 v3, v3
	s_mov_b32 s4, 0x2f800000
	v_mul_f32_e64 v4, |v3|, s4
	v_floor_f32_e32 v4, v4
	s_mov_b32 s4, 0xcf800000
	v_cvt_u32_f32_e32 v5, v4
	v_fma_f32 v4, v4, s4, |v3|
	v_cvt_u32_f32_e32 v4, v4
	v_ashrrev_i32_e32 v3, 31, v3
	v_xor_b32_e32 v5, v5, v3
	v_mov_b32_e32 v6, 0
	v_xor_b32_e32 v4, v4, v3
	v_sub_co_u32_e32 v4, vcc, v4, v3
	v_subb_co_u32_e32 v5, vcc, v5, v3, vcc
	v_cmp_lt_i64_e32 vcc, -1, v[4:5]
	s_and_saveexec_b64 s[4:5], vcc
	s_cbranch_execz .LBB30_1494
; %bb.1483:
	v_cmp_lt_i64_e32 vcc, 0, v[4:5]
	v_mov_b32_e32 v6, 1.0
	s_and_saveexec_b64 s[18:19], vcc
	s_cbranch_execz .LBB30_1493
; %bb.1484:
	v_cmp_ne_u64_e32 vcc, 1, v[4:5]
                                        ; implicit-def: $vgpr6
	s_and_saveexec_b64 s[20:21], vcc
	s_xor_b64 s[20:21], exec, s[20:21]
	s_cbranch_execz .LBB30_1490
; %bb.1485:
	s_mov_b64 s[22:23], 0x81
	v_cmp_gt_u64_e32 vcc, s[22:23], v[4:5]
	v_mov_b32_e32 v6, 0x7fc00000
	s_and_saveexec_b64 s[22:23], vcc
	s_cbranch_execz .LBB30_1489
; %bb.1486:
	s_mov_b64 s[26:27], 1
	s_mov_b64 s[24:25], 0
	v_mov_b32_e32 v6, s2
	v_mov_b32_e32 v3, 1.0
.LBB30_1487:                            ; =>This Inner Loop Header: Depth=1
	s_flbit_i32_b32 s28, s27
	s_min_u32 s30, s28, 32
	s_lshl_b64 s[28:29], s[26:27], s30
	s_min_u32 s28, s28, 1
	s_or_b32 s28, s29, s28
	v_cvt_f32_u32_e32 v9, s28
	s_sub_i32 s30, 32, s30
	s_add_u32 s26, s26, 1
	s_addc_u32 s27, s27, 0
	v_ldexp_f32 v9, v9, s30
	v_cmp_eq_u64_e32 vcc, s[26:27], v[4:5]
	v_mul_f32_e32 v9, v3, v9
	s_or_b64 s[24:25], vcc, s[24:25]
	v_mov_b32_e32 v3, v6
	v_fma_f32 v6, s2, v6, -v9
	s_andn2_b64 exec, exec, s[24:25]
	s_cbranch_execnz .LBB30_1487
; %bb.1488:
	s_or_b64 exec, exec, s[24:25]
.LBB30_1489:
	s_or_b64 exec, exec, s[22:23]
.LBB30_1490:
	s_andn2_saveexec_b64 s[20:21], s[20:21]
; %bb.1491:
	v_mov_b32_e32 v6, s2
; %bb.1492:
	s_or_b64 exec, exec, s[20:21]
.LBB30_1493:
	s_or_b64 exec, exec, s[18:19]
.LBB30_1494:
	s_or_b64 exec, exec, s[4:5]
	v_add_u32_e32 v1, s13, v1
	v_ashrrev_i32_e32 v3, 31, v1
	v_mov_b32_e32 v5, s11
	v_add_co_u32_e32 v4, vcc, s10, v1
	v_addc_co_u32_e32 v5, vcc, v5, v3, vcc
	s_and_b64 vcc, exec, s[0:1]
	s_cbranch_vccnz .LBB30_1501
; %bb.1495:
	v_cmp_lt_i16_e32 vcc, 25, v8
	s_mov_b64 s[4:5], 0
	s_cbranch_vccz .LBB30_1502
; %bb.1496:
	v_cmp_lt_i16_e32 vcc, 28, v8
	s_cbranch_vccz .LBB30_1503
; %bb.1497:
	v_cmp_lt_i16_e32 vcc, 43, v8
	;; [unrolled: 3-line block ×3, first 2 shown]
	s_cbranch_vccz .LBB30_1506
; %bb.1499:
	v_cmp_eq_u16_e32 vcc, 46, v8
	s_mov_b64 s[18:19], 0
	s_cbranch_vccz .LBB30_1507
; %bb.1500:
	global_load_dword v1, v[4:5], off
	s_mov_b64 s[0:1], 0
	s_mov_b64 s[10:11], -1
	s_waitcnt vmcnt(0)
	v_lshlrev_b32_e32 v1, 16, v1
	s_branch .LBB30_1508
.LBB30_1501:
	s_mov_b64 s[0:1], -1
	s_mov_b64 s[10:11], 0
                                        ; implicit-def: $vgpr1
	s_branch .LBB30_1574
.LBB30_1502:
	s_mov_b64 s[18:19], -1
	s_mov_b64 s[10:11], 0
	s_mov_b64 s[0:1], 0
                                        ; implicit-def: $vgpr1
	s_branch .LBB30_1537
.LBB30_1503:
	s_mov_b64 s[18:19], -1
	s_mov_b64 s[10:11], 0
	s_mov_b64 s[0:1], 0
                                        ; implicit-def: $vgpr1
	s_branch .LBB30_1518
.LBB30_1504:
	s_mov_b64 s[18:19], -1
	s_mov_b64 s[10:11], 0
	s_mov_b64 s[0:1], 0
                                        ; implicit-def: $vgpr1
	s_branch .LBB30_1513
.LBB30_1505:
	s_trap 2
	s_or_b64 s[16:17], s[16:17], exec
                                        ; implicit-def: $vgpr3
	s_cbranch_execz .LBB30_1432
	s_branch .LBB30_1433
.LBB30_1506:
	s_mov_b64 s[18:19], -1
	s_mov_b64 s[10:11], 0
	s_mov_b64 s[0:1], 0
                                        ; implicit-def: $vgpr1
	s_branch .LBB30_1508
.LBB30_1507:
	s_mov_b64 s[0:1], -1
                                        ; implicit-def: $vgpr1
	s_mov_b64 s[10:11], 0
.LBB30_1508:
	s_and_b64 vcc, exec, s[18:19]
	s_cbranch_vccz .LBB30_1512
; %bb.1509:
	v_cmp_eq_u16_e32 vcc, 44, v8
	s_cbranch_vccz .LBB30_1511
; %bb.1510:
	global_load_ubyte v1, v[4:5], off
	s_movk_i32 s10, 0xff
	v_mov_b32_e32 v3, 0x7f800001
	v_mov_b32_e32 v9, 0x400000
	s_mov_b64 s[0:1], 0
	s_waitcnt vmcnt(0)
	v_lshlrev_b32_e32 v10, 23, v1
	v_cmp_ne_u32_e32 vcc, s10, v1
	v_cndmask_b32_e32 v3, v3, v10, vcc
	v_cmp_ne_u32_e32 vcc, 0, v1
	v_cndmask_b32_e32 v1, v9, v3, vcc
	s_mov_b64 s[10:11], -1
	s_branch .LBB30_1512
.LBB30_1511:
	s_mov_b64 s[0:1], -1
                                        ; implicit-def: $vgpr1
.LBB30_1512:
	s_mov_b64 s[18:19], 0
.LBB30_1513:
	s_and_b64 vcc, exec, s[18:19]
	s_cbranch_vccz .LBB30_1517
; %bb.1514:
	v_cmp_eq_u16_e32 vcc, 29, v8
	s_cbranch_vccz .LBB30_1516
; %bb.1515:
	global_load_dwordx2 v[10:11], v[4:5], off
	s_mov_b64 s[0:1], 0
	s_mov_b64 s[10:11], -1
	s_mov_b64 s[18:19], 0
	s_waitcnt vmcnt(0)
	v_ffbh_u32_e32 v1, v11
	v_min_u32_e32 v1, 32, v1
	v_lshlrev_b64 v[10:11], v1, v[10:11]
	v_min_u32_e32 v3, 1, v10
	v_or_b32_e32 v3, v11, v3
	v_cvt_f32_u32_e32 v3, v3
	v_sub_u32_e32 v1, 32, v1
	v_ldexp_f32 v1, v3, v1
	s_branch .LBB30_1518
.LBB30_1516:
	s_mov_b64 s[0:1], -1
                                        ; implicit-def: $vgpr1
.LBB30_1517:
	s_mov_b64 s[18:19], 0
.LBB30_1518:
	s_and_b64 vcc, exec, s[18:19]
	s_cbranch_vccz .LBB30_1536
; %bb.1519:
	v_cmp_gt_i16_e32 vcc, 27, v8
	s_cbranch_vccnz .LBB30_1522
; %bb.1520:
	v_cmp_lt_i16_e32 vcc, 27, v8
	s_cbranch_vccz .LBB30_1523
; %bb.1521:
	global_load_dword v1, v[4:5], off
	s_mov_b64 s[10:11], 0
	s_waitcnt vmcnt(0)
	v_cvt_f32_u32_e32 v1, v1
	s_branch .LBB30_1524
.LBB30_1522:
	s_mov_b64 s[10:11], -1
                                        ; implicit-def: $vgpr1
	s_branch .LBB30_1527
.LBB30_1523:
	s_mov_b64 s[10:11], -1
                                        ; implicit-def: $vgpr1
.LBB30_1524:
	s_andn2_b64 vcc, exec, s[10:11]
	s_cbranch_vccnz .LBB30_1526
; %bb.1525:
	global_load_ushort v1, v[4:5], off
	s_waitcnt vmcnt(0)
	v_cvt_f32_u32_e32 v1, v1
.LBB30_1526:
	s_mov_b64 s[10:11], 0
.LBB30_1527:
	s_andn2_b64 vcc, exec, s[10:11]
	s_cbranch_vccnz .LBB30_1535
; %bb.1528:
	global_load_ubyte v3, v[4:5], off
	s_movk_i32 s10, 0x7f
                                        ; implicit-def: $sgpr13
	s_waitcnt vmcnt(0)
	v_cmp_lt_i16_e32 vcc, s10, v3
	s_mov_b64 s[10:11], 0
	s_and_saveexec_b64 s[18:19], vcc
	s_xor_b64 s[18:19], exec, s[18:19]
	s_cbranch_execz .LBB30_1549
; %bb.1529:
	s_movk_i32 s10, 0x80
	v_cmp_eq_u16_e32 vcc, s10, v3
	s_mov_b64 s[10:11], -1
                                        ; implicit-def: $sgpr13
	s_and_saveexec_b64 s[20:21], vcc
; %bb.1530:
	s_mov_b32 s13, 0x7f800001
	s_xor_b64 s[10:11], exec, -1
; %bb.1531:
	s_or_b64 exec, exec, s[20:21]
	s_and_b64 s[10:11], s[10:11], exec
	s_or_saveexec_b64 s[18:19], s[18:19]
	v_mov_b32_e32 v1, s13
	s_xor_b64 exec, exec, s[18:19]
	s_cbranch_execnz .LBB30_1550
.LBB30_1532:
	s_or_b64 exec, exec, s[18:19]
	s_and_saveexec_b64 s[18:19], s[10:11]
	s_cbranch_execz .LBB30_1534
.LBB30_1533:
	v_lshlrev_b32_e32 v1, 24, v3
	v_and_b32_e32 v3, 0xffff, v3
	v_and_b32_e32 v9, 7, v3
	v_ffbh_u32_e32 v11, v9
	v_min_u32_e32 v11, 32, v11
	v_subrev_u32_e32 v12, 28, v11
	v_bfe_u32 v10, v3, 3, 4
	v_lshlrev_b32_e32 v3, v12, v3
	v_sub_u32_e32 v11, 29, v11
	v_and_b32_e32 v3, 7, v3
	v_cmp_eq_u32_e32 vcc, 0, v10
	v_cndmask_b32_e32 v10, v10, v11, vcc
	v_cndmask_b32_e32 v3, v9, v3, vcc
	v_mov_b32_e32 v9, 0x3b800000
	v_lshlrev_b32_e32 v3, 20, v3
	v_and_b32_e32 v1, 0x80000000, v1
	v_lshl_add_u32 v9, v10, 23, v9
	v_or3_b32 v1, v1, v9, v3
.LBB30_1534:
	s_or_b64 exec, exec, s[18:19]
.LBB30_1535:
	s_mov_b64 s[10:11], -1
.LBB30_1536:
	s_mov_b64 s[18:19], 0
.LBB30_1537:
	s_and_b64 vcc, exec, s[18:19]
	s_cbranch_vccz .LBB30_1570
; %bb.1538:
	v_cmp_lt_i16_e32 vcc, 22, v8
	s_cbranch_vccz .LBB30_1548
; %bb.1539:
	v_cmp_gt_i16_e32 vcc, 24, v8
	s_cbranch_vccnz .LBB30_1551
; %bb.1540:
	v_cmp_lt_i16_e32 vcc, 24, v8
	s_cbranch_vccz .LBB30_1552
; %bb.1541:
	global_load_ubyte v3, v[4:5], off
	s_movk_i32 s4, 0x7f
                                        ; implicit-def: $sgpr13
	s_waitcnt vmcnt(0)
	v_cmp_lt_i16_e32 vcc, s4, v3
	s_mov_b64 s[4:5], 0
	s_and_saveexec_b64 s[10:11], vcc
	s_xor_b64 s[10:11], exec, s[10:11]
	s_cbranch_execz .LBB30_1564
; %bb.1542:
	s_movk_i32 s4, 0x80
	v_cmp_eq_u16_e32 vcc, s4, v3
	s_mov_b64 s[4:5], -1
                                        ; implicit-def: $sgpr13
	s_and_saveexec_b64 s[18:19], vcc
; %bb.1543:
	s_mov_b32 s13, 0x7f800001
	s_xor_b64 s[4:5], exec, -1
; %bb.1544:
	s_or_b64 exec, exec, s[18:19]
	s_and_b64 s[4:5], s[4:5], exec
	s_or_saveexec_b64 s[10:11], s[10:11]
	v_mov_b32_e32 v1, s13
	s_xor_b64 exec, exec, s[10:11]
	s_cbranch_execnz .LBB30_1565
.LBB30_1545:
	s_or_b64 exec, exec, s[10:11]
	s_and_saveexec_b64 s[10:11], s[4:5]
	s_cbranch_execz .LBB30_1547
.LBB30_1546:
	v_lshlrev_b32_e32 v1, 24, v3
	v_and_b32_e32 v3, 0xffff, v3
	v_and_b32_e32 v9, 3, v3
	v_ffbh_u32_e32 v11, v9
	v_min_u32_e32 v11, 32, v11
	v_subrev_u32_e32 v12, 29, v11
	v_bfe_u32 v10, v3, 2, 5
	v_lshlrev_b32_e32 v3, v12, v3
	v_sub_u32_e32 v11, 30, v11
	v_and_b32_e32 v3, 3, v3
	v_cmp_eq_u32_e32 vcc, 0, v10
	v_cndmask_b32_e32 v10, v10, v11, vcc
	v_cndmask_b32_e32 v3, v9, v3, vcc
	v_mov_b32_e32 v9, 0x37800000
	v_lshlrev_b32_e32 v3, 21, v3
	v_and_b32_e32 v1, 0x80000000, v1
	v_lshl_add_u32 v9, v10, 23, v9
	v_or3_b32 v1, v1, v9, v3
.LBB30_1547:
	s_or_b64 exec, exec, s[10:11]
	s_mov_b64 s[4:5], 0
	s_branch .LBB30_1553
.LBB30_1548:
	s_mov_b64 s[4:5], -1
                                        ; implicit-def: $vgpr1
	s_branch .LBB30_1559
.LBB30_1549:
	s_or_saveexec_b64 s[18:19], s[18:19]
	v_mov_b32_e32 v1, s13
	s_xor_b64 exec, exec, s[18:19]
	s_cbranch_execz .LBB30_1532
.LBB30_1550:
	v_cmp_ne_u16_e32 vcc, 0, v3
	s_andn2_b64 s[10:11], s[10:11], exec
	s_and_b64 s[20:21], vcc, exec
	v_mov_b32_e32 v1, 0
	s_or_b64 s[10:11], s[10:11], s[20:21]
	s_or_b64 exec, exec, s[18:19]
	s_and_saveexec_b64 s[18:19], s[10:11]
	s_cbranch_execnz .LBB30_1533
	s_branch .LBB30_1534
.LBB30_1551:
	s_mov_b64 s[4:5], -1
                                        ; implicit-def: $vgpr1
	s_branch .LBB30_1556
.LBB30_1552:
	s_mov_b64 s[4:5], -1
                                        ; implicit-def: $vgpr1
.LBB30_1553:
	s_and_b64 vcc, exec, s[4:5]
	s_cbranch_vccz .LBB30_1555
; %bb.1554:
	global_load_ubyte v1, v[4:5], off
	s_mov_b32 s4, 0x7f800000
	s_waitcnt vmcnt(0)
	v_lshlrev_b32_e32 v1, 24, v1
	v_and_b32_e32 v3, 0x7f000000, v1
	v_ffbh_u32_e32 v9, v3
	v_min_u32_e32 v9, 32, v9
	v_sub_u32_e64 v9, v9, 4 clamp
	v_lshlrev_b32_e32 v11, v9, v3
	v_lshlrev_b32_e32 v9, 23, v9
	v_lshrrev_b32_e32 v11, 4, v11
	v_add_u32_e32 v10, 0x1000000, v3
	v_sub_u32_e32 v9, v11, v9
	v_ashrrev_i32_e32 v10, 8, v10
	v_add_u32_e32 v9, 0x3c000000, v9
	v_and_or_b32 v9, v10, s4, v9
	v_cmp_ne_u32_e32 vcc, 0, v3
	v_cndmask_b32_e32 v3, 0, v9, vcc
	s_brev_b32 s4, 1
	v_and_or_b32 v1, v1, s4, v3
.LBB30_1555:
	s_mov_b64 s[4:5], 0
.LBB30_1556:
	s_andn2_b64 vcc, exec, s[4:5]
	s_cbranch_vccnz .LBB30_1558
; %bb.1557:
	global_load_ubyte v1, v[4:5], off
	s_movk_i32 s4, 0x7f00
	s_brev_b32 s5, 16
	s_waitcnt vmcnt(0)
	v_lshlrev_b16_e32 v3, 8, v1
	v_lshlrev_b32_e32 v1, 25, v1
	v_lshrrev_b32_e32 v9, 4, v1
	v_and_or_b32 v10, v3, s4, 0.5
	v_or_b32_e32 v9, 0x70000000, v9
	v_add_f32_e32 v10, -0.5, v10
	v_mul_f32_e32 v9, 0x7800000, v9
	v_cmp_gt_u32_e32 vcc, s5, v1
	v_bfe_i32 v3, v3, 0, 16
	v_cndmask_b32_e32 v1, v9, v10, vcc
	s_brev_b32 s4, 1
	v_and_or_b32 v1, v3, s4, v1
.LBB30_1558:
	s_mov_b64 s[4:5], 0
	s_mov_b64 s[10:11], -1
.LBB30_1559:
	s_andn2_b64 vcc, exec, s[4:5]
	s_mov_b64 s[4:5], 0
	s_cbranch_vccnz .LBB30_1570
; %bb.1560:
	v_cmp_lt_i16_e32 vcc, 14, v8
	s_cbranch_vccz .LBB30_1563
; %bb.1561:
	v_cmp_eq_u16_e32 vcc, 15, v8
	s_cbranch_vccz .LBB30_1566
; %bb.1562:
	global_load_ushort v1, v[4:5], off
	s_mov_b64 s[0:1], 0
	s_mov_b64 s[10:11], -1
	s_waitcnt vmcnt(0)
	v_lshlrev_b32_e32 v1, 16, v1
	s_branch .LBB30_1567
.LBB30_1563:
	s_mov_b64 s[18:19], -1
                                        ; implicit-def: $vgpr1
	s_branch .LBB30_1568
.LBB30_1564:
	s_or_saveexec_b64 s[10:11], s[10:11]
	v_mov_b32_e32 v1, s13
	s_xor_b64 exec, exec, s[10:11]
	s_cbranch_execz .LBB30_1545
.LBB30_1565:
	v_cmp_ne_u16_e32 vcc, 0, v3
	s_andn2_b64 s[4:5], s[4:5], exec
	s_and_b64 s[18:19], vcc, exec
	v_mov_b32_e32 v1, 0
	s_or_b64 s[4:5], s[4:5], s[18:19]
	s_or_b64 exec, exec, s[10:11]
	s_and_saveexec_b64 s[10:11], s[4:5]
	s_cbranch_execnz .LBB30_1546
	s_branch .LBB30_1547
.LBB30_1566:
	s_mov_b64 s[0:1], -1
                                        ; implicit-def: $vgpr1
.LBB30_1567:
	s_mov_b64 s[18:19], 0
.LBB30_1568:
	s_and_b64 vcc, exec, s[18:19]
	s_cbranch_vccz .LBB30_1570
; %bb.1569:
	v_cmp_ne_u16_e64 s[0:1], 11, v8
	s_mov_b64 s[4:5], -1
                                        ; implicit-def: $vgpr1
.LBB30_1570:
	s_and_b64 vcc, exec, s[0:1]
	s_cbranch_vccnz .LBB30_1692
; %bb.1571:
	s_andn2_b64 vcc, exec, s[4:5]
	s_cbranch_vccnz .LBB30_1573
.LBB30_1572:
	global_load_ubyte v1, v[4:5], off
	s_mov_b64 s[10:11], -1
	s_waitcnt vmcnt(0)
	v_cmp_ne_u16_e32 vcc, 0, v1
	v_cndmask_b32_e64 v1, 0, 1.0, vcc
.LBB30_1573:
	s_mov_b64 s[0:1], 0
.LBB30_1574:
	s_and_b64 vcc, exec, s[0:1]
	s_cbranch_vccz .LBB30_1623
; %bb.1575:
	v_cmp_gt_i16_e32 vcc, 5, v8
	s_cbranch_vccnz .LBB30_1580
; %bb.1576:
	v_cmp_gt_i16_e32 vcc, 8, v8
	s_cbranch_vccnz .LBB30_1581
	;; [unrolled: 3-line block ×3, first 2 shown]
; %bb.1578:
	v_cmp_lt_i16_e32 vcc, 9, v8
	s_cbranch_vccz .LBB30_1583
; %bb.1579:
	global_load_dwordx2 v[10:11], v[4:5], off
	s_mov_b64 s[0:1], 0
	s_waitcnt vmcnt(0)
	v_cvt_f32_f64_e32 v1, v[10:11]
	s_branch .LBB30_1584
.LBB30_1580:
	s_mov_b64 s[0:1], -1
                                        ; implicit-def: $vgpr1
	s_branch .LBB30_1602
.LBB30_1581:
	s_mov_b64 s[0:1], -1
                                        ; implicit-def: $vgpr1
	s_branch .LBB30_1590
.LBB30_1582:
	s_mov_b64 s[0:1], -1
                                        ; implicit-def: $vgpr1
	s_branch .LBB30_1587
.LBB30_1583:
	s_mov_b64 s[0:1], -1
                                        ; implicit-def: $vgpr1
.LBB30_1584:
	s_andn2_b64 vcc, exec, s[0:1]
	s_cbranch_vccnz .LBB30_1586
; %bb.1585:
	global_load_dword v1, v[4:5], off
.LBB30_1586:
	s_mov_b64 s[0:1], 0
.LBB30_1587:
	s_andn2_b64 vcc, exec, s[0:1]
	s_cbranch_vccnz .LBB30_1589
; %bb.1588:
	global_load_dword v1, v[4:5], off
	s_waitcnt vmcnt(0)
	v_cvt_f32_f16_e32 v1, v1
.LBB30_1589:
	s_mov_b64 s[0:1], 0
.LBB30_1590:
	s_andn2_b64 vcc, exec, s[0:1]
	s_cbranch_vccnz .LBB30_1601
; %bb.1591:
	v_cmp_gt_i16_e32 vcc, 6, v8
	s_cbranch_vccnz .LBB30_1594
; %bb.1592:
	v_cmp_lt_i16_e32 vcc, 6, v8
	s_cbranch_vccz .LBB30_1595
; %bb.1593:
	global_load_dwordx2 v[10:11], v[4:5], off
	s_mov_b64 s[0:1], 0
	s_waitcnt vmcnt(0)
	v_cvt_f32_f64_e32 v1, v[10:11]
	s_branch .LBB30_1596
.LBB30_1594:
	s_mov_b64 s[0:1], -1
                                        ; implicit-def: $vgpr1
	s_branch .LBB30_1599
.LBB30_1595:
	s_mov_b64 s[0:1], -1
                                        ; implicit-def: $vgpr1
.LBB30_1596:
	s_andn2_b64 vcc, exec, s[0:1]
	s_cbranch_vccnz .LBB30_1598
; %bb.1597:
	global_load_dword v1, v[4:5], off
.LBB30_1598:
	s_mov_b64 s[0:1], 0
.LBB30_1599:
	s_andn2_b64 vcc, exec, s[0:1]
	s_cbranch_vccnz .LBB30_1601
; %bb.1600:
	global_load_ushort v1, v[4:5], off
	s_waitcnt vmcnt(0)
	v_cvt_f32_f16_e32 v1, v1
.LBB30_1601:
	s_mov_b64 s[0:1], 0
.LBB30_1602:
	s_andn2_b64 vcc, exec, s[0:1]
	s_cbranch_vccnz .LBB30_1622
; %bb.1603:
	v_cmp_gt_i16_e32 vcc, 2, v8
	s_cbranch_vccnz .LBB30_1607
; %bb.1604:
	v_cmp_gt_i16_e32 vcc, 3, v8
	s_cbranch_vccnz .LBB30_1608
; %bb.1605:
	v_cmp_lt_i16_e32 vcc, 3, v8
	s_cbranch_vccz .LBB30_1609
; %bb.1606:
	global_load_dwordx2 v[10:11], v[4:5], off
	s_mov_b64 s[0:1], 0
	s_waitcnt vmcnt(0)
	v_xor_b32_e32 v3, v10, v11
	v_ffbh_i32_e32 v1, v11
	v_ashrrev_i32_e32 v3, 31, v3
	v_add_u32_e32 v1, -1, v1
	v_add_u32_e32 v3, 32, v3
	v_min_u32_e32 v1, v1, v3
	v_lshlrev_b64 v[10:11], v1, v[10:11]
	v_min_u32_e32 v3, 1, v10
	v_or_b32_e32 v3, v11, v3
	v_cvt_f32_i32_e32 v3, v3
	v_sub_u32_e32 v1, 32, v1
	v_ldexp_f32 v1, v3, v1
	s_branch .LBB30_1610
.LBB30_1607:
	s_mov_b64 s[0:1], -1
                                        ; implicit-def: $vgpr1
	s_branch .LBB30_1616
.LBB30_1608:
	s_mov_b64 s[0:1], -1
                                        ; implicit-def: $vgpr1
	s_branch .LBB30_1613
.LBB30_1609:
	s_mov_b64 s[0:1], -1
                                        ; implicit-def: $vgpr1
.LBB30_1610:
	s_andn2_b64 vcc, exec, s[0:1]
	s_cbranch_vccnz .LBB30_1612
; %bb.1611:
	global_load_dword v1, v[4:5], off
	s_waitcnt vmcnt(0)
	v_cvt_f32_i32_e32 v1, v1
.LBB30_1612:
	s_mov_b64 s[0:1], 0
.LBB30_1613:
	s_andn2_b64 vcc, exec, s[0:1]
	s_cbranch_vccnz .LBB30_1615
; %bb.1614:
	global_load_sshort v1, v[4:5], off
	s_waitcnt vmcnt(0)
	v_cvt_f32_i32_e32 v1, v1
.LBB30_1615:
	s_mov_b64 s[0:1], 0
.LBB30_1616:
	s_andn2_b64 vcc, exec, s[0:1]
	s_cbranch_vccnz .LBB30_1622
; %bb.1617:
	v_cmp_lt_i16_e32 vcc, 0, v8
	s_cbranch_vccz .LBB30_1619
; %bb.1618:
	global_load_sbyte v1, v[4:5], off
	s_mov_b64 s[0:1], 0
	s_waitcnt vmcnt(0)
	v_cvt_f32_i32_e32 v1, v1
	s_branch .LBB30_1620
.LBB30_1619:
	s_mov_b64 s[0:1], -1
                                        ; implicit-def: $vgpr1
.LBB30_1620:
	s_andn2_b64 vcc, exec, s[0:1]
	s_cbranch_vccnz .LBB30_1622
; %bb.1621:
	global_load_ubyte v1, v[4:5], off
	s_waitcnt vmcnt(0)
	v_cvt_f32_ubyte0_e32 v1, v1
.LBB30_1622:
	s_mov_b64 s[10:11], -1
.LBB30_1623:
	s_andn2_b64 vcc, exec, s[10:11]
	s_cbranch_vccnz .LBB30_1643
; %bb.1624:
	s_waitcnt vmcnt(0)
	v_trunc_f32_e32 v1, v1
	s_mov_b32 s0, 0x2f800000
	v_mul_f32_e64 v3, |v1|, s0
	v_floor_f32_e32 v3, v3
	s_mov_b32 s0, 0xcf800000
	v_cvt_u32_f32_e32 v4, v3
	v_fma_f32 v3, v3, s0, |v1|
	v_cvt_u32_f32_e32 v3, v3
	v_ashrrev_i32_e32 v1, 31, v1
	v_xor_b32_e32 v4, v4, v1
	v_xor_b32_e32 v3, v3, v1
	v_sub_co_u32_e32 v8, vcc, v3, v1
	v_subb_co_u32_e32 v9, vcc, v4, v1, vcc
	v_cmp_lt_i64_e32 vcc, -1, v[8:9]
	v_mov_b32_e32 v4, 0
	s_and_saveexec_b64 s[0:1], vcc
	s_cbranch_execz .LBB30_1636
; %bb.1625:
	v_cmp_lt_i64_e32 vcc, 0, v[8:9]
	v_mov_b32_e32 v4, 1.0
	s_and_saveexec_b64 s[4:5], vcc
	s_cbranch_execz .LBB30_1635
; %bb.1626:
	v_cmp_ne_u64_e32 vcc, 1, v[8:9]
                                        ; implicit-def: $vgpr4
	s_and_saveexec_b64 s[10:11], vcc
	s_xor_b64 s[10:11], exec, s[10:11]
	s_cbranch_execz .LBB30_1632
; %bb.1627:
	s_mov_b64 s[18:19], 0x81
	v_cmp_gt_u64_e32 vcc, s[18:19], v[8:9]
	v_mov_b32_e32 v4, 0x7fc00000
	s_and_saveexec_b64 s[18:19], vcc
	s_cbranch_execz .LBB30_1631
; %bb.1628:
	s_mov_b64 s[22:23], 1
	s_mov_b64 s[20:21], 0
	v_mov_b32_e32 v4, s2
	v_mov_b32_e32 v1, 1.0
.LBB30_1629:                            ; =>This Inner Loop Header: Depth=1
	s_flbit_i32_b32 s13, s23
	s_min_u32 s13, s13, 32
	s_lshl_b64 s[24:25], s[22:23], s13
	s_min_u32 s24, s24, 1
	s_or_b32 s24, s25, s24
	v_mov_b32_e32 v3, v4
	v_cvt_f32_u32_e32 v4, s24
	s_sub_i32 s13, 32, s13
	s_add_u32 s22, s22, 1
	s_addc_u32 s23, s23, 0
	v_ldexp_f32 v4, v4, s13
	v_cmp_eq_u64_e32 vcc, s[22:23], v[8:9]
	v_mul_f32_e32 v4, v1, v4
	s_or_b64 s[20:21], vcc, s[20:21]
	v_mov_b32_e32 v1, v3
	v_fma_f32 v4, s2, v3, -v4
	s_andn2_b64 exec, exec, s[20:21]
	s_cbranch_execnz .LBB30_1629
; %bb.1630:
	s_or_b64 exec, exec, s[20:21]
.LBB30_1631:
	s_or_b64 exec, exec, s[18:19]
.LBB30_1632:
	s_andn2_saveexec_b64 s[10:11], s[10:11]
; %bb.1633:
	v_mov_b32_e32 v4, s2
; %bb.1634:
	s_or_b64 exec, exec, s[10:11]
.LBB30_1635:
	s_or_b64 exec, exec, s[4:5]
.LBB30_1636:
	s_or_b64 exec, exec, s[0:1]
	v_mul_lo_u32 v3, s12, v7
	v_ashrrev_i32_e32 v1, 31, v3
	v_mov_b32_e32 v5, s9
	v_add_co_u32_e32 v8, vcc, s8, v3
	v_addc_co_u32_e32 v9, vcc, v5, v1, vcc
	v_mov_b32_e32 v1, 11
	v_cmp_lt_i16_sdwa s[0:1], s3, v1 src0_sel:BYTE_0 src1_sel:DWORD
	s_and_b64 vcc, exec, s[0:1]
	s_cbranch_vccnz .LBB30_1689
; %bb.1637:
	v_mov_b32_e32 v1, 25
	v_cmp_gt_i16_sdwa s[0:1], s3, v1 src0_sel:BYTE_0 src1_sel:DWORD
	s_mov_b64 s[18:19], -1
	s_mov_b64 s[4:5], 0
	s_and_b64 vcc, exec, s[0:1]
	s_mov_b64 s[10:11], 0
	s_mov_b64 s[0:1], 0
	s_cbranch_vccz .LBB30_1721
; %bb.1638:
	v_mov_b32_e32 v1, 28
	v_cmp_gt_i16_sdwa s[0:1], s3, v1 src0_sel:BYTE_0 src1_sel:DWORD
	s_and_b64 vcc, exec, s[0:1]
	s_cbranch_vccz .LBB30_1690
; %bb.1639:
	v_mov_b32_e32 v1, 43
	v_cmp_gt_i16_sdwa s[0:1], s3, v1 src0_sel:BYTE_0 src1_sel:DWORD
	s_and_b64 vcc, exec, s[0:1]
	;; [unrolled: 5-line block ×3, first 2 shown]
	s_cbranch_vccz .LBB30_1693
; %bb.1641:
	v_mov_b32_e32 v1, 46
	v_cmp_eq_u16_sdwa s[10:11], s3, v1 src0_sel:BYTE_0 src1_sel:DWORD
	s_mov_b64 s[0:1], -1
	s_mov_b64 s[18:19], 0
	s_and_b64 vcc, exec, s[10:11]
	s_mov_b64 s[10:11], 0
	s_cbranch_vccz .LBB30_1694
; %bb.1642:
	v_bfe_u32 v1, v0, 16, 1
	s_movk_i32 s0, 0x7fff
	v_add3_u32 v1, v0, v1, s0
	v_lshrrev_b32_e32 v1, 16, v1
	v_mov_b32_e32 v5, 0x7fc0
	v_cmp_o_f32_e32 vcc, v0, v0
	v_cndmask_b32_e32 v1, v5, v1, vcc
	global_store_dword v[8:9], v1, off
	s_mov_b64 s[0:1], 0
	s_mov_b64 s[10:11], -1
	s_branch .LBB30_1694
.LBB30_1643:
	s_mov_b64 s[0:1], 0
                                        ; implicit-def: $vgpr2
                                        ; implicit-def: $vgpr0_vgpr1
                                        ; implicit-def: $vgpr4
.LBB30_1644:
	s_mov_b64 s[2:3], 0
.LBB30_1645:
	s_and_b64 s[4:5], s[2:3], exec
	s_andn2_b64 s[2:3], s[14:15], exec
	s_and_b64 s[8:9], s[16:17], exec
	s_and_b64 s[0:1], s[0:1], exec
	s_or_b64 s[14:15], s[2:3], s[8:9]
.LBB30_1646:
	s_or_b64 exec, exec, s[6:7]
	s_and_saveexec_b64 s[2:3], s[14:15]
	s_cbranch_execz .LBB30_1649
; %bb.1647:
	; divergent unreachable
	s_or_b64 exec, exec, s[2:3]
	s_and_saveexec_b64 s[2:3], s[4:5]
	s_xor_b64 s[2:3], exec, s[2:3]
	s_cbranch_execnz .LBB30_1650
.LBB30_1648:
	s_or_b64 exec, exec, s[2:3]
	s_and_saveexec_b64 s[2:3], s[0:1]
	s_cbranch_execnz .LBB30_1651
	s_branch .LBB30_1688
.LBB30_1649:
	s_or_b64 exec, exec, s[2:3]
	s_and_saveexec_b64 s[2:3], s[4:5]
	s_xor_b64 s[2:3], exec, s[2:3]
	s_cbranch_execz .LBB30_1648
.LBB30_1650:
	s_waitcnt vmcnt(0)
	v_cmp_neq_f32_e32 vcc, 0, v4
	v_cndmask_b32_e64 v3, 0, 1, vcc
	global_store_byte v[0:1], v3, off
	s_or_b64 exec, exec, s[2:3]
	s_and_saveexec_b64 s[2:3], s[0:1]
	s_cbranch_execz .LBB30_1688
.LBB30_1651:
	s_waitcnt vmcnt(0)
	v_cmp_gt_i16_e32 vcc, 5, v2
	s_mov_b64 s[0:1], -1
	s_cbranch_vccnz .LBB30_1672
; %bb.1652:
	v_cmp_gt_i16_e32 vcc, 8, v2
	s_cbranch_vccnz .LBB30_1662
; %bb.1653:
	v_cmp_gt_i16_e32 vcc, 9, v2
	s_cbranch_vccnz .LBB30_1659
; %bb.1654:
	v_cmp_lt_i16_e32 vcc, 9, v2
	s_cbranch_vccz .LBB30_1656
; %bb.1655:
	v_mov_b32_e32 v8, 0
	v_cvt_f64_f32_e32 v[6:7], v4
	v_mov_b32_e32 v9, v8
	global_store_dwordx4 v[0:1], v[6:9], off
	s_mov_b64 s[0:1], 0
.LBB30_1656:
	s_andn2_b64 vcc, exec, s[0:1]
	s_cbranch_vccnz .LBB30_1658
; %bb.1657:
	v_mov_b32_e32 v5, 0
	global_store_dwordx2 v[0:1], v[4:5], off
.LBB30_1658:
	s_mov_b64 s[0:1], 0
.LBB30_1659:
	s_andn2_b64 vcc, exec, s[0:1]
	s_cbranch_vccnz .LBB30_1661
; %bb.1660:
	v_cvt_f16_f32_e32 v3, v4
	global_store_dword v[0:1], v3, off
.LBB30_1661:
	s_mov_b64 s[0:1], 0
.LBB30_1662:
	s_andn2_b64 vcc, exec, s[0:1]
	s_cbranch_vccnz .LBB30_1671
; %bb.1663:
	v_cmp_gt_i16_e32 vcc, 6, v2
	s_mov_b64 s[0:1], -1
	s_cbranch_vccnz .LBB30_1669
; %bb.1664:
	v_cmp_lt_i16_e32 vcc, 6, v2
	s_cbranch_vccz .LBB30_1666
; %bb.1665:
	v_cvt_f64_f32_e32 v[6:7], v4
	global_store_dwordx2 v[0:1], v[6:7], off
	s_mov_b64 s[0:1], 0
.LBB30_1666:
	s_andn2_b64 vcc, exec, s[0:1]
	s_cbranch_vccnz .LBB30_1668
; %bb.1667:
	global_store_dword v[0:1], v4, off
.LBB30_1668:
	s_mov_b64 s[0:1], 0
.LBB30_1669:
	s_andn2_b64 vcc, exec, s[0:1]
	s_cbranch_vccnz .LBB30_1671
; %bb.1670:
	v_cvt_f16_f32_e32 v3, v4
	global_store_short v[0:1], v3, off
.LBB30_1671:
	s_mov_b64 s[0:1], 0
.LBB30_1672:
	s_andn2_b64 vcc, exec, s[0:1]
	s_cbranch_vccnz .LBB30_1688
; %bb.1673:
	v_cmp_gt_i16_e32 vcc, 2, v2
	s_mov_b64 s[0:1], -1
	s_cbranch_vccnz .LBB30_1683
; %bb.1674:
	v_cmp_gt_i16_e32 vcc, 3, v2
	s_cbranch_vccnz .LBB30_1680
; %bb.1675:
	v_cmp_lt_i16_e32 vcc, 3, v2
	s_cbranch_vccz .LBB30_1677
; %bb.1676:
	v_trunc_f32_e32 v3, v4
	s_mov_b32 s0, 0x2f800000
	v_mul_f32_e64 v5, |v3|, s0
	v_floor_f32_e32 v5, v5
	s_mov_b32 s0, 0xcf800000
	v_cvt_u32_f32_e32 v6, v5
	v_fma_f32 v5, v5, s0, |v3|
	v_cvt_u32_f32_e32 v5, v5
	v_ashrrev_i32_e32 v3, 31, v3
	v_xor_b32_e32 v7, v6, v3
	s_mov_b64 s[0:1], 0
	v_xor_b32_e32 v5, v5, v3
	v_sub_co_u32_e32 v6, vcc, v5, v3
	v_subb_co_u32_e32 v7, vcc, v7, v3, vcc
	global_store_dwordx2 v[0:1], v[6:7], off
.LBB30_1677:
	s_andn2_b64 vcc, exec, s[0:1]
	s_cbranch_vccnz .LBB30_1679
; %bb.1678:
	v_cvt_i32_f32_e32 v3, v4
	global_store_dword v[0:1], v3, off
.LBB30_1679:
	s_mov_b64 s[0:1], 0
.LBB30_1680:
	s_andn2_b64 vcc, exec, s[0:1]
	s_cbranch_vccnz .LBB30_1682
; %bb.1681:
	v_cvt_i32_f32_e32 v3, v4
	global_store_short v[0:1], v3, off
.LBB30_1682:
	s_mov_b64 s[0:1], 0
.LBB30_1683:
	s_andn2_b64 vcc, exec, s[0:1]
	s_cbranch_vccnz .LBB30_1688
; %bb.1684:
	v_cmp_lt_i16_e32 vcc, 0, v2
	s_mov_b64 s[0:1], -1
	s_cbranch_vccz .LBB30_1686
; %bb.1685:
	v_cvt_i32_f32_e32 v2, v4
	s_mov_b64 s[0:1], 0
	global_store_byte v[0:1], v2, off
.LBB30_1686:
	s_andn2_b64 vcc, exec, s[0:1]
	s_cbranch_vccnz .LBB30_1688
; %bb.1687:
	v_trunc_f32_e32 v2, v4
	s_mov_b32 s0, 0x2f800000
	v_mul_f32_e64 v3, |v2|, s0
	v_floor_f32_e32 v3, v3
	s_mov_b32 s0, 0xcf800000
	v_fma_f32 v3, v3, s0, |v2|
	v_cvt_u32_f32_e32 v3, v3
	v_ashrrev_i32_e32 v2, 31, v2
	v_xor_b32_e32 v3, v3, v2
	v_sub_u32_e32 v2, v3, v2
	global_store_byte v[0:1], v2, off
	s_endpgm
.LBB30_1688:
	s_endpgm
.LBB30_1689:
	s_mov_b64 s[0:1], -1
	s_mov_b64 s[10:11], 0
	s_branch .LBB30_1765
.LBB30_1690:
	s_mov_b64 s[0:1], 0
	s_branch .LBB30_1704
.LBB30_1691:
	s_mov_b64 s[0:1], 0
	s_branch .LBB30_1700
.LBB30_1692:
	s_trap 2
	s_or_b64 s[16:17], s[16:17], exec
                                        ; implicit-def: $vgpr1
	s_cbranch_execz .LBB30_1572
	s_branch .LBB30_1573
.LBB30_1693:
	s_mov_b64 s[0:1], 0
.LBB30_1694:
	s_and_b64 vcc, exec, s[18:19]
	s_cbranch_vccz .LBB30_1699
; %bb.1695:
	v_mov_b32_e32 v1, 44
	v_cmp_eq_u16_sdwa s[18:19], s3, v1 src0_sel:BYTE_0 src1_sel:DWORD
	s_mov_b64 s[0:1], -1
	s_and_b64 vcc, exec, s[18:19]
	s_cbranch_vccz .LBB30_1699
; %bb.1696:
	v_bfe_u32 v1, v0, 23, 8
	s_movk_i32 s0, 0xff
	v_cmp_ne_u32_e32 vcc, s0, v1
	v_mov_b32_e32 v5, 0xff
	s_and_saveexec_b64 s[10:11], vcc
; %bb.1697:
	s_mov_b32 s0, 0x3fffff
	v_and_b32_e32 v7, 0x400000, v0
	v_and_or_b32 v1, v0, s0, v1
	v_cmp_ne_u32_e32 vcc, 0, v7
	v_cmp_ne_u32_e64 s[0:1], 0, v1
	s_and_b64 s[0:1], vcc, s[0:1]
	v_lshrrev_b32_e32 v5, 23, v0
	v_cndmask_b32_e64 v1, 0, 1, s[0:1]
	v_add_u32_e32 v5, v5, v1
; %bb.1698:
	s_or_b64 exec, exec, s[10:11]
	s_mov_b64 s[0:1], 0
	s_mov_b64 s[10:11], -1
	global_store_byte v[8:9], v5, off
.LBB30_1699:
	s_mov_b64 s[18:19], 0
.LBB30_1700:
	s_and_b64 vcc, exec, s[18:19]
	s_cbranch_vccz .LBB30_1703
; %bb.1701:
	v_mov_b32_e32 v1, 29
	v_cmp_eq_u16_sdwa s[18:19], s3, v1 src0_sel:BYTE_0 src1_sel:DWORD
	s_mov_b64 s[0:1], -1
	s_and_b64 vcc, exec, s[18:19]
	s_cbranch_vccz .LBB30_1703
; %bb.1702:
	v_trunc_f32_e32 v1, v0
	v_mul_f32_e32 v5, 0x2f800000, v1
	v_floor_f32_e32 v5, v5
	v_fmac_f32_e32 v1, 0xcf800000, v5
	v_cvt_u32_f32_e32 v11, v5
	v_cvt_u32_f32_e32 v10, v1
	s_mov_b64 s[0:1], 0
	s_mov_b64 s[10:11], -1
	s_mov_b64 s[18:19], 0
	global_store_dwordx2 v[8:9], v[10:11], off
	s_branch .LBB30_1704
.LBB30_1703:
	s_mov_b64 s[18:19], 0
.LBB30_1704:
	s_and_b64 vcc, exec, s[18:19]
	s_cbranch_vccz .LBB30_1720
; %bb.1705:
	v_mov_b32_e32 v1, 27
	v_cmp_lt_i16_sdwa s[18:19], s3, v1 src0_sel:BYTE_0 src1_sel:DWORD
	s_mov_b64 s[10:11], -1
	s_and_b64 vcc, exec, s[18:19]
	s_cbranch_vccnz .LBB30_1711
; %bb.1706:
	v_cmp_gt_i16_sdwa s[18:19], s3, v1 src0_sel:BYTE_0 src1_sel:DWORD
	v_cvt_u32_f32_e32 v1, v0
	s_and_b64 vcc, exec, s[18:19]
	s_cbranch_vccz .LBB30_1708
; %bb.1707:
	s_mov_b64 s[10:11], 0
	global_store_dword v[8:9], v1, off
.LBB30_1708:
	s_andn2_b64 vcc, exec, s[10:11]
	s_cbranch_vccnz .LBB30_1710
; %bb.1709:
	global_store_short v[8:9], v1, off
.LBB30_1710:
	s_mov_b64 s[10:11], 0
.LBB30_1711:
	s_andn2_b64 vcc, exec, s[10:11]
	s_cbranch_vccnz .LBB30_1719
; %bb.1712:
	v_and_b32_e32 v1, 0x7fffffff, v0
	s_mov_b32 s2, 0x43800000
	v_cmp_gt_u32_e32 vcc, s2, v1
	v_mov_b32_e32 v5, 0x80
	s_and_saveexec_b64 s[10:11], vcc
	s_cbranch_execz .LBB30_1718
; %bb.1713:
	s_mov_b32 s2, 0x3bffffff
	v_cmp_lt_u32_e32 vcc, s2, v1
	s_mov_b64 s[18:19], 0
                                        ; implicit-def: $vgpr1
	s_and_saveexec_b64 s[20:21], vcc
	s_xor_b64 s[20:21], exec, s[20:21]
	s_cbranch_execz .LBB30_1814
; %bb.1714:
	v_bfe_u32 v1, v0, 20, 1
	s_mov_b32 s2, 0x487ffff
	v_add3_u32 v1, v0, v1, s2
	s_mov_b64 s[18:19], exec
	v_lshrrev_b32_e32 v1, 20, v1
	s_or_saveexec_b64 s[20:21], s[20:21]
                                        ; implicit-def: $sgpr2
	s_xor_b64 exec, exec, s[20:21]
	s_cbranch_execnz .LBB30_1815
.LBB30_1715:
	s_or_b64 exec, exec, s[20:21]
	v_mov_b32_e32 v5, s2
	s_and_saveexec_b64 s[20:21], s[18:19]
.LBB30_1716:
	v_lshrrev_b32_e32 v5, 24, v0
	s_movk_i32 s2, 0x80
	v_and_or_b32 v5, v5, s2, v1
.LBB30_1717:
	s_or_b64 exec, exec, s[20:21]
.LBB30_1718:
	s_or_b64 exec, exec, s[10:11]
	global_store_byte v[8:9], v5, off
.LBB30_1719:
	s_mov_b64 s[10:11], -1
.LBB30_1720:
	s_mov_b64 s[18:19], 0
.LBB30_1721:
	s_and_b64 vcc, exec, s[18:19]
	s_cbranch_vccz .LBB30_1761
; %bb.1722:
	v_mov_b32_e32 v1, 22
	v_cmp_gt_i16_sdwa s[18:19], s3, v1 src0_sel:BYTE_0 src1_sel:DWORD
	s_mov_b64 s[4:5], -1
	s_and_b64 vcc, exec, s[18:19]
	s_cbranch_vccz .LBB30_1754
; %bb.1723:
	v_mov_b32_e32 v1, 24
	v_cmp_lt_i16_sdwa s[10:11], s3, v1 src0_sel:BYTE_0 src1_sel:DWORD
	s_and_b64 vcc, exec, s[10:11]
	s_cbranch_vccnz .LBB30_1743
; %bb.1724:
	v_cmp_gt_i16_sdwa s[10:11], s3, v1 src0_sel:BYTE_0 src1_sel:DWORD
	s_and_b64 vcc, exec, s[10:11]
	s_cbranch_vccz .LBB30_1732
; %bb.1725:
	v_and_b32_e32 v1, 0x7fffffff, v0
	s_mov_b32 s2, 0x47800000
	v_cmp_gt_u32_e32 vcc, s2, v1
	v_mov_b32_e32 v5, 0x80
	s_and_saveexec_b64 s[4:5], vcc
	s_cbranch_execz .LBB30_1731
; %bb.1726:
	s_mov_b32 s2, 0x37ffffff
	v_cmp_lt_u32_e32 vcc, s2, v1
	s_mov_b64 s[10:11], 0
                                        ; implicit-def: $vgpr1
	s_and_saveexec_b64 s[18:19], vcc
	s_xor_b64 s[18:19], exec, s[18:19]
	s_cbranch_execz .LBB30_1818
; %bb.1727:
	v_bfe_u32 v1, v0, 21, 1
	s_mov_b32 s2, 0x88fffff
	v_add3_u32 v1, v0, v1, s2
	s_mov_b64 s[10:11], exec
	v_lshrrev_b32_e32 v1, 21, v1
	s_or_saveexec_b64 s[18:19], s[18:19]
                                        ; implicit-def: $sgpr2
	s_xor_b64 exec, exec, s[18:19]
	s_cbranch_execnz .LBB30_1819
.LBB30_1728:
	s_or_b64 exec, exec, s[18:19]
	v_mov_b32_e32 v5, s2
	s_and_saveexec_b64 s[18:19], s[10:11]
.LBB30_1729:
	v_lshrrev_b32_e32 v5, 24, v0
	s_movk_i32 s2, 0x80
	v_and_or_b32 v5, v5, s2, v1
.LBB30_1730:
	s_or_b64 exec, exec, s[18:19]
.LBB30_1731:
	s_or_b64 exec, exec, s[4:5]
	s_mov_b64 s[4:5], 0
	global_store_byte v[8:9], v5, off
.LBB30_1732:
	s_and_b64 vcc, exec, s[4:5]
	s_cbranch_vccz .LBB30_1742
; %bb.1733:
	v_and_b32_e32 v5, 0x7fffffff, v0
	s_mov_b32 s2, 0x43f00000
	v_cmp_gt_u32_e32 vcc, s2, v5
                                        ; implicit-def: $vgpr1
	s_and_saveexec_b64 s[4:5], vcc
	s_xor_b64 s[4:5], exec, s[4:5]
	s_cbranch_execz .LBB30_1739
; %bb.1734:
	s_mov_b32 s2, 0x3c7fffff
	v_cmp_lt_u32_e32 vcc, s2, v5
                                        ; implicit-def: $vgpr1
	s_and_saveexec_b64 s[10:11], vcc
	s_xor_b64 s[10:11], exec, s[10:11]
; %bb.1735:
	v_bfe_u32 v1, v0, 20, 1
	s_mov_b32 s2, 0x407ffff
	v_add3_u32 v1, v0, v1, s2
	v_lshrrev_b32_e32 v5, 20, v1
	v_and_b32_e32 v1, 0xff00000, v1
	s_mov_b32 s2, 0x7f00000
	v_mov_b32_e32 v7, 0x7e
	v_cmp_ne_u32_e32 vcc, s2, v1
	v_cndmask_b32_e32 v1, v7, v5, vcc
; %bb.1736:
	s_andn2_saveexec_b64 s[10:11], s[10:11]
; %bb.1737:
	s_mov_b32 s2, 0x46800000
	v_add_f32_e64 v1, |v0|, s2
; %bb.1738:
	s_or_b64 exec, exec, s[10:11]
                                        ; implicit-def: $vgpr5
.LBB30_1739:
	s_andn2_saveexec_b64 s[4:5], s[4:5]
; %bb.1740:
	s_mov_b32 s2, 0x7f800000
	v_mov_b32_e32 v1, 0x7e
	v_mov_b32_e32 v7, 0x7f
	v_cmp_lt_u32_e32 vcc, s2, v5
	v_cndmask_b32_e32 v1, v1, v7, vcc
; %bb.1741:
	s_or_b64 exec, exec, s[4:5]
	v_lshrrev_b32_e32 v5, 24, v0
	s_movk_i32 s2, 0x80
	v_and_or_b32 v1, v5, s2, v1
	global_store_byte v[8:9], v1, off
.LBB30_1742:
	s_mov_b64 s[4:5], 0
.LBB30_1743:
	s_andn2_b64 vcc, exec, s[4:5]
	s_cbranch_vccnz .LBB30_1753
; %bb.1744:
	v_and_b32_e32 v5, 0x7fffffff, v0
	s_mov_b32 s2, 0x47800000
	v_cmp_gt_u32_e32 vcc, s2, v5
                                        ; implicit-def: $vgpr1
	s_and_saveexec_b64 s[4:5], vcc
	s_xor_b64 s[4:5], exec, s[4:5]
	s_cbranch_execz .LBB30_1750
; %bb.1745:
	s_mov_b32 s2, 0x387fffff
	v_cmp_lt_u32_e32 vcc, s2, v5
                                        ; implicit-def: $vgpr1
	s_and_saveexec_b64 s[10:11], vcc
	s_xor_b64 s[10:11], exec, s[10:11]
; %bb.1746:
	v_bfe_u32 v1, v0, 21, 1
	s_mov_b32 s2, 0x80fffff
	v_add3_u32 v1, v0, v1, s2
	v_lshrrev_b32_e32 v1, 21, v1
; %bb.1747:
	s_andn2_saveexec_b64 s[10:11], s[10:11]
; %bb.1748:
	s_mov_b32 s2, 0x43000000
	v_add_f32_e64 v1, |v0|, s2
; %bb.1749:
	s_or_b64 exec, exec, s[10:11]
                                        ; implicit-def: $vgpr5
.LBB30_1750:
	s_andn2_saveexec_b64 s[4:5], s[4:5]
; %bb.1751:
	s_mov_b32 s2, 0x7f800000
	v_mov_b32_e32 v1, 0x7c
	v_mov_b32_e32 v7, 0x7f
	v_cmp_lt_u32_e32 vcc, s2, v5
	v_cndmask_b32_e32 v1, v1, v7, vcc
; %bb.1752:
	s_or_b64 exec, exec, s[4:5]
	v_lshrrev_b32_e32 v5, 24, v0
	s_movk_i32 s2, 0x80
	v_and_or_b32 v1, v5, s2, v1
	global_store_byte v[8:9], v1, off
.LBB30_1753:
	s_mov_b64 s[4:5], 0
	s_mov_b64 s[10:11], -1
.LBB30_1754:
	s_andn2_b64 vcc, exec, s[4:5]
	s_mov_b64 s[4:5], 0
	s_cbranch_vccnz .LBB30_1761
; %bb.1755:
	v_mov_b32_e32 v1, 14
	v_cmp_gt_i16_sdwa s[4:5], s3, v1 src0_sel:BYTE_0 src1_sel:DWORD
	s_mov_b64 s[18:19], -1
	s_and_b64 vcc, exec, s[4:5]
	s_cbranch_vccz .LBB30_1759
; %bb.1756:
	v_mov_b32_e32 v1, 15
	v_cmp_eq_u16_sdwa s[4:5], s3, v1 src0_sel:BYTE_0 src1_sel:DWORD
	s_mov_b64 s[0:1], -1
	s_and_b64 vcc, exec, s[4:5]
	s_cbranch_vccz .LBB30_1758
; %bb.1757:
	v_bfe_u32 v1, v0, 16, 1
	s_movk_i32 s0, 0x7fff
	v_add3_u32 v1, v0, v1, s0
	v_lshrrev_b32_e32 v1, 16, v1
	v_mov_b32_e32 v5, 0x7fc0
	v_cmp_o_f32_e32 vcc, v0, v0
	v_cndmask_b32_e32 v1, v5, v1, vcc
	global_store_short v[8:9], v1, off
	s_mov_b64 s[0:1], 0
	s_mov_b64 s[10:11], -1
.LBB30_1758:
	s_mov_b64 s[18:19], 0
.LBB30_1759:
	s_mov_b64 s[4:5], 0
	s_and_b64 vcc, exec, s[18:19]
	s_cbranch_vccz .LBB30_1761
; %bb.1760:
	v_mov_b32_e32 v1, 11
	v_cmp_ne_u16_sdwa s[0:1], s3, v1 src0_sel:BYTE_0 src1_sel:DWORD
	s_mov_b64 s[4:5], -1
.LBB30_1761:
	s_and_b64 vcc, exec, s[0:1]
	s_cbranch_vccnz .LBB30_1817
; %bb.1762:
	s_andn2_b64 vcc, exec, s[4:5]
	s_cbranch_vccnz .LBB30_1764
.LBB30_1763:
	v_cmp_neq_f32_e32 vcc, 0, v0
	v_cndmask_b32_e64 v1, 0, 1, vcc
	s_mov_b64 s[10:11], -1
	global_store_byte v[8:9], v1, off
.LBB30_1764:
	s_mov_b64 s[0:1], 0
.LBB30_1765:
	s_and_b64 vcc, exec, s[0:1]
	s_cbranch_vccz .LBB30_1804
; %bb.1766:
	v_mov_b32_e32 v1, 5
	v_cmp_lt_i16_sdwa s[4:5], s3, v1 src0_sel:BYTE_0 src1_sel:DWORD
	s_mov_b64 s[0:1], -1
	s_and_b64 vcc, exec, s[4:5]
	s_cbranch_vccnz .LBB30_1787
; %bb.1767:
	v_mov_b32_e32 v1, 8
	v_cmp_lt_i16_sdwa s[4:5], s3, v1 src0_sel:BYTE_0 src1_sel:DWORD
	s_and_b64 vcc, exec, s[4:5]
	s_cbranch_vccnz .LBB30_1777
; %bb.1768:
	v_mov_b32_e32 v1, 9
	v_cmp_lt_i16_sdwa s[4:5], s3, v1 src0_sel:BYTE_0 src1_sel:DWORD
	s_and_b64 vcc, exec, s[4:5]
	s_cbranch_vccnz .LBB30_1774
; %bb.1769:
	v_cmp_gt_i16_sdwa s[4:5], s3, v1 src0_sel:BYTE_0 src1_sel:DWORD
	s_and_b64 vcc, exec, s[4:5]
	s_cbranch_vccz .LBB30_1771
; %bb.1770:
	v_mov_b32_e32 v12, 0
	v_cvt_f64_f32_e32 v[10:11], v0
	v_mov_b32_e32 v13, v12
	global_store_dwordx4 v[8:9], v[10:13], off
	s_mov_b64 s[0:1], 0
.LBB30_1771:
	s_andn2_b64 vcc, exec, s[0:1]
	s_cbranch_vccnz .LBB30_1773
; %bb.1772:
	v_mov_b32_e32 v1, 0
	global_store_dwordx2 v[8:9], v[0:1], off
.LBB30_1773:
	s_mov_b64 s[0:1], 0
.LBB30_1774:
	s_andn2_b64 vcc, exec, s[0:1]
	s_cbranch_vccnz .LBB30_1776
; %bb.1775:
	v_cvt_f16_f32_e32 v1, v0
	global_store_dword v[8:9], v1, off
.LBB30_1776:
	s_mov_b64 s[0:1], 0
.LBB30_1777:
	s_andn2_b64 vcc, exec, s[0:1]
	s_cbranch_vccnz .LBB30_1786
; %bb.1778:
	v_mov_b32_e32 v1, 6
	v_cmp_lt_i16_sdwa s[4:5], s3, v1 src0_sel:BYTE_0 src1_sel:DWORD
	s_mov_b64 s[0:1], -1
	s_and_b64 vcc, exec, s[4:5]
	s_cbranch_vccnz .LBB30_1784
; %bb.1779:
	v_cmp_gt_i16_sdwa s[4:5], s3, v1 src0_sel:BYTE_0 src1_sel:DWORD
	s_and_b64 vcc, exec, s[4:5]
	s_cbranch_vccz .LBB30_1781
; %bb.1780:
	v_cvt_f64_f32_e32 v[10:11], v0
	global_store_dwordx2 v[8:9], v[10:11], off
	s_mov_b64 s[0:1], 0
.LBB30_1781:
	s_andn2_b64 vcc, exec, s[0:1]
	s_cbranch_vccnz .LBB30_1783
; %bb.1782:
	global_store_dword v[8:9], v0, off
.LBB30_1783:
	s_mov_b64 s[0:1], 0
.LBB30_1784:
	s_andn2_b64 vcc, exec, s[0:1]
	s_cbranch_vccnz .LBB30_1786
; %bb.1785:
	v_cvt_f16_f32_e32 v1, v0
	global_store_short v[8:9], v1, off
.LBB30_1786:
	s_mov_b64 s[0:1], 0
.LBB30_1787:
	s_andn2_b64 vcc, exec, s[0:1]
	s_cbranch_vccnz .LBB30_1803
; %bb.1788:
	v_mov_b32_e32 v1, 2
	v_cmp_lt_i16_sdwa s[4:5], s3, v1 src0_sel:BYTE_0 src1_sel:DWORD
	s_mov_b64 s[0:1], -1
	s_and_b64 vcc, exec, s[4:5]
	s_cbranch_vccnz .LBB30_1798
; %bb.1789:
	v_mov_b32_e32 v1, 3
	v_cmp_lt_i16_sdwa s[4:5], s3, v1 src0_sel:BYTE_0 src1_sel:DWORD
	s_and_b64 vcc, exec, s[4:5]
	s_cbranch_vccnz .LBB30_1795
; %bb.1790:
	v_cmp_gt_i16_sdwa s[4:5], s3, v1 src0_sel:BYTE_0 src1_sel:DWORD
	s_and_b64 vcc, exec, s[4:5]
	s_cbranch_vccz .LBB30_1792
; %bb.1791:
	v_trunc_f32_e32 v1, v0
	s_mov_b32 s0, 0x2f800000
	v_mul_f32_e64 v5, |v1|, s0
	v_floor_f32_e32 v5, v5
	s_mov_b32 s0, 0xcf800000
	v_cvt_u32_f32_e32 v7, v5
	v_fma_f32 v5, v5, s0, |v1|
	v_cvt_u32_f32_e32 v5, v5
	v_ashrrev_i32_e32 v1, 31, v1
	v_xor_b32_e32 v7, v7, v1
	s_mov_b64 s[0:1], 0
	v_xor_b32_e32 v5, v5, v1
	v_sub_co_u32_e32 v10, vcc, v5, v1
	v_subb_co_u32_e32 v11, vcc, v7, v1, vcc
	global_store_dwordx2 v[8:9], v[10:11], off
.LBB30_1792:
	s_andn2_b64 vcc, exec, s[0:1]
	s_cbranch_vccnz .LBB30_1794
; %bb.1793:
	v_cvt_i32_f32_e32 v1, v0
	global_store_dword v[8:9], v1, off
.LBB30_1794:
	s_mov_b64 s[0:1], 0
.LBB30_1795:
	s_andn2_b64 vcc, exec, s[0:1]
	s_cbranch_vccnz .LBB30_1797
; %bb.1796:
	v_cvt_i32_f32_e32 v1, v0
	global_store_short v[8:9], v1, off
.LBB30_1797:
	s_mov_b64 s[0:1], 0
.LBB30_1798:
	s_andn2_b64 vcc, exec, s[0:1]
	s_cbranch_vccnz .LBB30_1803
; %bb.1799:
	v_mov_b32_e32 v1, 0
	v_cmp_gt_i16_sdwa s[4:5], s3, v1 src0_sel:BYTE_0 src1_sel:DWORD
	s_mov_b64 s[0:1], -1
	s_and_b64 vcc, exec, s[4:5]
	s_cbranch_vccz .LBB30_1801
; %bb.1800:
	v_cvt_i32_f32_e32 v1, v0
	s_mov_b64 s[0:1], 0
	global_store_byte v[8:9], v1, off
.LBB30_1801:
	s_andn2_b64 vcc, exec, s[0:1]
	s_cbranch_vccnz .LBB30_1803
; %bb.1802:
	v_trunc_f32_e32 v0, v0
	s_mov_b32 s0, 0x2f800000
	v_mul_f32_e64 v1, |v0|, s0
	v_floor_f32_e32 v1, v1
	s_mov_b32 s0, 0xcf800000
	v_fma_f32 v1, v1, s0, |v0|
	v_cvt_u32_f32_e32 v1, v1
	v_ashrrev_i32_e32 v0, 31, v0
	v_xor_b32_e32 v1, v1, v0
	v_sub_u32_e32 v0, v1, v0
	global_store_byte v[8:9], v0, off
.LBB30_1803:
	s_mov_b64 s[10:11], -1
.LBB30_1804:
	s_andn2_b64 vcc, exec, s[10:11]
	s_cbranch_vccnz .LBB30_2135
; %bb.1805:
	s_lshl_b32 s2, s12, 7
	v_add_u32_e32 v5, s2, v3
	v_ashrrev_i32_e32 v1, 31, v5
	v_mov_b32_e32 v3, s9
	v_add_co_u32_e32 v0, vcc, s8, v5
	v_addc_co_u32_e32 v1, vcc, v3, v1, vcc
	v_mov_b32_e32 v3, 11
	v_cmp_lt_i16_sdwa s[0:1], s3, v3 src0_sel:BYTE_0 src1_sel:DWORD
	s_and_b64 vcc, exec, s[0:1]
	s_cbranch_vccnz .LBB30_1812
; %bb.1806:
	v_mov_b32_e32 v3, 25
	v_cmp_gt_i16_sdwa s[0:1], s3, v3 src0_sel:BYTE_0 src1_sel:DWORD
	s_mov_b64 s[12:13], -1
	s_mov_b64 s[4:5], 0
	s_and_b64 vcc, exec, s[0:1]
	s_mov_b64 s[10:11], 0
	s_mov_b64 s[0:1], 0
	s_cbranch_vccz .LBB30_1848
; %bb.1807:
	v_mov_b32_e32 v3, 28
	v_cmp_gt_i16_sdwa s[0:1], s3, v3 src0_sel:BYTE_0 src1_sel:DWORD
	s_and_b64 vcc, exec, s[0:1]
	s_cbranch_vccz .LBB30_1813
; %bb.1808:
	v_mov_b32_e32 v3, 43
	v_cmp_gt_i16_sdwa s[0:1], s3, v3 src0_sel:BYTE_0 src1_sel:DWORD
	s_and_b64 vcc, exec, s[0:1]
	;; [unrolled: 5-line block ×3, first 2 shown]
	s_cbranch_vccz .LBB30_1820
; %bb.1810:
	v_mov_b32_e32 v3, 46
	v_cmp_eq_u16_sdwa s[10:11], s3, v3 src0_sel:BYTE_0 src1_sel:DWORD
	s_mov_b64 s[0:1], -1
	s_mov_b64 s[12:13], 0
	s_and_b64 vcc, exec, s[10:11]
	s_mov_b64 s[10:11], 0
	s_cbranch_vccz .LBB30_1821
; %bb.1811:
	v_bfe_u32 v3, v2, 16, 1
	s_movk_i32 s0, 0x7fff
	v_add3_u32 v3, v2, v3, s0
	v_lshrrev_b32_e32 v3, 16, v3
	v_mov_b32_e32 v7, 0x7fc0
	v_cmp_o_f32_e32 vcc, v2, v2
	v_cndmask_b32_e32 v3, v7, v3, vcc
	global_store_dword v[0:1], v3, off
	s_mov_b64 s[0:1], 0
	s_mov_b64 s[10:11], -1
	s_branch .LBB30_1821
.LBB30_1812:
	s_mov_b64 s[0:1], -1
	s_mov_b64 s[10:11], 0
	s_branch .LBB30_1892
.LBB30_1813:
	s_mov_b64 s[0:1], 0
	s_branch .LBB30_1831
.LBB30_1814:
	s_or_saveexec_b64 s[20:21], s[20:21]
                                        ; implicit-def: $sgpr2
	s_xor_b64 exec, exec, s[20:21]
	s_cbranch_execz .LBB30_1715
.LBB30_1815:
	s_mov_b32 s2, 0x46000000
	v_add_f32_e64 v1, |v0|, s2
	v_and_b32_e32 v1, 0xff, v1
	v_cmp_ne_u32_e32 vcc, 0, v1
	s_andn2_b64 s[18:19], s[18:19], exec
	s_and_b64 s[22:23], vcc, exec
	s_mov_b32 s2, 0
	s_or_b64 s[18:19], s[18:19], s[22:23]
	s_or_b64 exec, exec, s[20:21]
	v_mov_b32_e32 v5, s2
	s_and_saveexec_b64 s[20:21], s[18:19]
	s_cbranch_execnz .LBB30_1716
	s_branch .LBB30_1717
.LBB30_1816:
	s_mov_b64 s[0:1], 0
	s_branch .LBB30_1827
.LBB30_1817:
	s_trap 2
	s_or_b64 s[16:17], s[16:17], exec
	s_cbranch_execz .LBB30_1763
	s_branch .LBB30_1764
.LBB30_1818:
	s_or_saveexec_b64 s[18:19], s[18:19]
                                        ; implicit-def: $sgpr2
	s_xor_b64 exec, exec, s[18:19]
	s_cbranch_execz .LBB30_1728
.LBB30_1819:
	s_mov_b32 s2, 0x42800000
	v_add_f32_e64 v1, |v0|, s2
	v_and_b32_e32 v1, 0xff, v1
	v_cmp_ne_u32_e32 vcc, 0, v1
	s_andn2_b64 s[10:11], s[10:11], exec
	s_and_b64 s[20:21], vcc, exec
	s_mov_b32 s2, 0
	s_or_b64 s[10:11], s[10:11], s[20:21]
	s_or_b64 exec, exec, s[18:19]
	v_mov_b32_e32 v5, s2
	s_and_saveexec_b64 s[18:19], s[10:11]
	s_cbranch_execnz .LBB30_1729
	s_branch .LBB30_1730
.LBB30_1820:
	s_mov_b64 s[0:1], 0
.LBB30_1821:
	s_and_b64 vcc, exec, s[12:13]
	s_cbranch_vccz .LBB30_1826
; %bb.1822:
	v_mov_b32_e32 v3, 44
	v_cmp_eq_u16_sdwa s[12:13], s3, v3 src0_sel:BYTE_0 src1_sel:DWORD
	s_mov_b64 s[0:1], -1
	s_and_b64 vcc, exec, s[12:13]
	s_cbranch_vccz .LBB30_1826
; %bb.1823:
	v_bfe_u32 v3, v2, 23, 8
	s_movk_i32 s0, 0xff
	v_cmp_ne_u32_e32 vcc, s0, v3
	v_mov_b32_e32 v7, 0xff
	s_and_saveexec_b64 s[10:11], vcc
; %bb.1824:
	s_mov_b32 s0, 0x3fffff
	v_and_b32_e32 v8, 0x400000, v2
	v_and_or_b32 v3, v2, s0, v3
	v_cmp_ne_u32_e32 vcc, 0, v8
	v_cmp_ne_u32_e64 s[0:1], 0, v3
	s_and_b64 s[0:1], vcc, s[0:1]
	v_lshrrev_b32_e32 v7, 23, v2
	v_cndmask_b32_e64 v3, 0, 1, s[0:1]
	v_add_u32_e32 v7, v7, v3
; %bb.1825:
	s_or_b64 exec, exec, s[10:11]
	s_mov_b64 s[0:1], 0
	s_mov_b64 s[10:11], -1
	global_store_byte v[0:1], v7, off
.LBB30_1826:
	s_mov_b64 s[12:13], 0
.LBB30_1827:
	s_and_b64 vcc, exec, s[12:13]
	s_cbranch_vccz .LBB30_1830
; %bb.1828:
	v_mov_b32_e32 v3, 29
	v_cmp_eq_u16_sdwa s[12:13], s3, v3 src0_sel:BYTE_0 src1_sel:DWORD
	s_mov_b64 s[0:1], -1
	s_and_b64 vcc, exec, s[12:13]
	s_cbranch_vccz .LBB30_1830
; %bb.1829:
	v_trunc_f32_e32 v3, v2
	v_mul_f32_e32 v7, 0x2f800000, v3
	v_floor_f32_e32 v7, v7
	v_fmac_f32_e32 v3, 0xcf800000, v7
	v_cvt_u32_f32_e32 v9, v7
	v_cvt_u32_f32_e32 v8, v3
	s_mov_b64 s[0:1], 0
	s_mov_b64 s[10:11], -1
	s_mov_b64 s[12:13], 0
	global_store_dwordx2 v[0:1], v[8:9], off
	s_branch .LBB30_1831
.LBB30_1830:
	s_mov_b64 s[12:13], 0
.LBB30_1831:
	s_and_b64 vcc, exec, s[12:13]
	s_cbranch_vccz .LBB30_1847
; %bb.1832:
	v_mov_b32_e32 v3, 27
	v_cmp_lt_i16_sdwa s[12:13], s3, v3 src0_sel:BYTE_0 src1_sel:DWORD
	s_mov_b64 s[10:11], -1
	s_and_b64 vcc, exec, s[12:13]
	s_cbranch_vccnz .LBB30_1838
; %bb.1833:
	v_cmp_gt_i16_sdwa s[12:13], s3, v3 src0_sel:BYTE_0 src1_sel:DWORD
	v_cvt_u32_f32_e32 v3, v2
	s_and_b64 vcc, exec, s[12:13]
	s_cbranch_vccz .LBB30_1835
; %bb.1834:
	s_mov_b64 s[10:11], 0
	global_store_dword v[0:1], v3, off
.LBB30_1835:
	s_andn2_b64 vcc, exec, s[10:11]
	s_cbranch_vccnz .LBB30_1837
; %bb.1836:
	global_store_short v[0:1], v3, off
.LBB30_1837:
	s_mov_b64 s[10:11], 0
.LBB30_1838:
	s_andn2_b64 vcc, exec, s[10:11]
	s_cbranch_vccnz .LBB30_1846
; %bb.1839:
	v_and_b32_e32 v3, 0x7fffffff, v2
	s_mov_b32 s10, 0x43800000
	v_cmp_gt_u32_e32 vcc, s10, v3
	v_mov_b32_e32 v7, 0x80
	s_and_saveexec_b64 s[10:11], vcc
	s_cbranch_execz .LBB30_1845
; %bb.1840:
	s_mov_b32 s12, 0x3bffffff
	v_cmp_lt_u32_e32 vcc, s12, v3
	s_mov_b64 s[12:13], 0
                                        ; implicit-def: $vgpr3
	s_and_saveexec_b64 s[18:19], vcc
	s_xor_b64 s[18:19], exec, s[18:19]
	s_cbranch_execz .LBB30_1941
; %bb.1841:
	v_bfe_u32 v3, v2, 20, 1
	s_mov_b32 s20, 0x487ffff
	v_add3_u32 v3, v2, v3, s20
	s_mov_b64 s[12:13], exec
	v_lshrrev_b32_e32 v3, 20, v3
	s_or_saveexec_b64 s[18:19], s[18:19]
                                        ; implicit-def: $sgpr20
	s_xor_b64 exec, exec, s[18:19]
	s_cbranch_execnz .LBB30_1942
.LBB30_1842:
	s_or_b64 exec, exec, s[18:19]
	v_mov_b32_e32 v7, s20
	s_and_saveexec_b64 s[18:19], s[12:13]
.LBB30_1843:
	v_lshrrev_b32_e32 v7, 24, v2
	s_movk_i32 s12, 0x80
	v_and_or_b32 v7, v7, s12, v3
.LBB30_1844:
	s_or_b64 exec, exec, s[18:19]
.LBB30_1845:
	s_or_b64 exec, exec, s[10:11]
	global_store_byte v[0:1], v7, off
.LBB30_1846:
	s_mov_b64 s[10:11], -1
.LBB30_1847:
	s_mov_b64 s[12:13], 0
.LBB30_1848:
	s_and_b64 vcc, exec, s[12:13]
	s_cbranch_vccz .LBB30_1888
; %bb.1849:
	v_mov_b32_e32 v3, 22
	v_cmp_gt_i16_sdwa s[12:13], s3, v3 src0_sel:BYTE_0 src1_sel:DWORD
	s_mov_b64 s[4:5], -1
	s_and_b64 vcc, exec, s[12:13]
	s_cbranch_vccz .LBB30_1881
; %bb.1850:
	v_mov_b32_e32 v3, 24
	v_cmp_lt_i16_sdwa s[10:11], s3, v3 src0_sel:BYTE_0 src1_sel:DWORD
	s_and_b64 vcc, exec, s[10:11]
	s_cbranch_vccnz .LBB30_1870
; %bb.1851:
	v_cmp_gt_i16_sdwa s[10:11], s3, v3 src0_sel:BYTE_0 src1_sel:DWORD
	s_and_b64 vcc, exec, s[10:11]
	s_cbranch_vccz .LBB30_1859
; %bb.1852:
	v_and_b32_e32 v3, 0x7fffffff, v2
	s_mov_b32 s4, 0x47800000
	v_cmp_gt_u32_e32 vcc, s4, v3
	v_mov_b32_e32 v7, 0x80
	s_and_saveexec_b64 s[4:5], vcc
	s_cbranch_execz .LBB30_1858
; %bb.1853:
	s_mov_b32 s10, 0x37ffffff
	v_cmp_lt_u32_e32 vcc, s10, v3
	s_mov_b64 s[10:11], 0
                                        ; implicit-def: $vgpr3
	s_and_saveexec_b64 s[12:13], vcc
	s_xor_b64 s[12:13], exec, s[12:13]
	s_cbranch_execz .LBB30_1945
; %bb.1854:
	v_bfe_u32 v3, v2, 21, 1
	s_mov_b32 s18, 0x88fffff
	v_add3_u32 v3, v2, v3, s18
	s_mov_b64 s[10:11], exec
	v_lshrrev_b32_e32 v3, 21, v3
	s_or_saveexec_b64 s[12:13], s[12:13]
                                        ; implicit-def: $sgpr18
	s_xor_b64 exec, exec, s[12:13]
	s_cbranch_execnz .LBB30_1946
.LBB30_1855:
	s_or_b64 exec, exec, s[12:13]
	v_mov_b32_e32 v7, s18
	s_and_saveexec_b64 s[12:13], s[10:11]
.LBB30_1856:
	v_lshrrev_b32_e32 v7, 24, v2
	s_movk_i32 s10, 0x80
	v_and_or_b32 v7, v7, s10, v3
.LBB30_1857:
	s_or_b64 exec, exec, s[12:13]
.LBB30_1858:
	s_or_b64 exec, exec, s[4:5]
	s_mov_b64 s[4:5], 0
	global_store_byte v[0:1], v7, off
.LBB30_1859:
	s_and_b64 vcc, exec, s[4:5]
	s_cbranch_vccz .LBB30_1869
; %bb.1860:
	v_and_b32_e32 v7, 0x7fffffff, v2
	s_mov_b32 s4, 0x43f00000
	v_cmp_gt_u32_e32 vcc, s4, v7
                                        ; implicit-def: $vgpr3
	s_and_saveexec_b64 s[4:5], vcc
	s_xor_b64 s[4:5], exec, s[4:5]
	s_cbranch_execz .LBB30_1866
; %bb.1861:
	s_mov_b32 s10, 0x3c7fffff
	v_cmp_lt_u32_e32 vcc, s10, v7
                                        ; implicit-def: $vgpr3
	s_and_saveexec_b64 s[10:11], vcc
	s_xor_b64 s[10:11], exec, s[10:11]
; %bb.1862:
	v_bfe_u32 v3, v2, 20, 1
	s_mov_b32 s12, 0x407ffff
	v_add3_u32 v3, v2, v3, s12
	v_lshrrev_b32_e32 v7, 20, v3
	v_and_b32_e32 v3, 0xff00000, v3
	s_mov_b32 s12, 0x7f00000
	v_mov_b32_e32 v8, 0x7e
	v_cmp_ne_u32_e32 vcc, s12, v3
	v_cndmask_b32_e32 v3, v8, v7, vcc
; %bb.1863:
	s_andn2_saveexec_b64 s[10:11], s[10:11]
; %bb.1864:
	s_mov_b32 s12, 0x46800000
	v_add_f32_e64 v3, |v2|, s12
; %bb.1865:
	s_or_b64 exec, exec, s[10:11]
                                        ; implicit-def: $vgpr7
.LBB30_1866:
	s_andn2_saveexec_b64 s[4:5], s[4:5]
; %bb.1867:
	s_mov_b32 s10, 0x7f800000
	v_mov_b32_e32 v3, 0x7e
	v_mov_b32_e32 v8, 0x7f
	v_cmp_lt_u32_e32 vcc, s10, v7
	v_cndmask_b32_e32 v3, v3, v8, vcc
; %bb.1868:
	s_or_b64 exec, exec, s[4:5]
	v_lshrrev_b32_e32 v7, 24, v2
	s_movk_i32 s4, 0x80
	v_and_or_b32 v3, v7, s4, v3
	global_store_byte v[0:1], v3, off
.LBB30_1869:
	s_mov_b64 s[4:5], 0
.LBB30_1870:
	s_andn2_b64 vcc, exec, s[4:5]
	s_cbranch_vccnz .LBB30_1880
; %bb.1871:
	v_and_b32_e32 v7, 0x7fffffff, v2
	s_mov_b32 s4, 0x47800000
	v_cmp_gt_u32_e32 vcc, s4, v7
                                        ; implicit-def: $vgpr3
	s_and_saveexec_b64 s[4:5], vcc
	s_xor_b64 s[4:5], exec, s[4:5]
	s_cbranch_execz .LBB30_1877
; %bb.1872:
	s_mov_b32 s10, 0x387fffff
	v_cmp_lt_u32_e32 vcc, s10, v7
                                        ; implicit-def: $vgpr3
	s_and_saveexec_b64 s[10:11], vcc
	s_xor_b64 s[10:11], exec, s[10:11]
; %bb.1873:
	v_bfe_u32 v3, v2, 21, 1
	s_mov_b32 s12, 0x80fffff
	v_add3_u32 v3, v2, v3, s12
	v_lshrrev_b32_e32 v3, 21, v3
; %bb.1874:
	s_andn2_saveexec_b64 s[10:11], s[10:11]
; %bb.1875:
	s_mov_b32 s12, 0x43000000
	v_add_f32_e64 v3, |v2|, s12
; %bb.1876:
	s_or_b64 exec, exec, s[10:11]
                                        ; implicit-def: $vgpr7
.LBB30_1877:
	s_andn2_saveexec_b64 s[4:5], s[4:5]
; %bb.1878:
	s_mov_b32 s10, 0x7f800000
	v_mov_b32_e32 v3, 0x7c
	v_mov_b32_e32 v8, 0x7f
	v_cmp_lt_u32_e32 vcc, s10, v7
	v_cndmask_b32_e32 v3, v3, v8, vcc
; %bb.1879:
	s_or_b64 exec, exec, s[4:5]
	v_lshrrev_b32_e32 v7, 24, v2
	s_movk_i32 s4, 0x80
	v_and_or_b32 v3, v7, s4, v3
	global_store_byte v[0:1], v3, off
.LBB30_1880:
	s_mov_b64 s[4:5], 0
	s_mov_b64 s[10:11], -1
.LBB30_1881:
	s_andn2_b64 vcc, exec, s[4:5]
	s_mov_b64 s[4:5], 0
	s_cbranch_vccnz .LBB30_1888
; %bb.1882:
	v_mov_b32_e32 v3, 14
	v_cmp_gt_i16_sdwa s[4:5], s3, v3 src0_sel:BYTE_0 src1_sel:DWORD
	s_mov_b64 s[12:13], -1
	s_and_b64 vcc, exec, s[4:5]
	s_cbranch_vccz .LBB30_1886
; %bb.1883:
	v_mov_b32_e32 v3, 15
	v_cmp_eq_u16_sdwa s[4:5], s3, v3 src0_sel:BYTE_0 src1_sel:DWORD
	s_mov_b64 s[0:1], -1
	s_and_b64 vcc, exec, s[4:5]
	s_cbranch_vccz .LBB30_1885
; %bb.1884:
	v_bfe_u32 v3, v2, 16, 1
	s_movk_i32 s0, 0x7fff
	v_add3_u32 v3, v2, v3, s0
	v_lshrrev_b32_e32 v3, 16, v3
	v_mov_b32_e32 v7, 0x7fc0
	v_cmp_o_f32_e32 vcc, v2, v2
	v_cndmask_b32_e32 v3, v7, v3, vcc
	global_store_short v[0:1], v3, off
	s_mov_b64 s[0:1], 0
	s_mov_b64 s[10:11], -1
.LBB30_1885:
	s_mov_b64 s[12:13], 0
.LBB30_1886:
	s_mov_b64 s[4:5], 0
	s_and_b64 vcc, exec, s[12:13]
	s_cbranch_vccz .LBB30_1888
; %bb.1887:
	v_mov_b32_e32 v3, 11
	v_cmp_ne_u16_sdwa s[0:1], s3, v3 src0_sel:BYTE_0 src1_sel:DWORD
	s_mov_b64 s[4:5], -1
.LBB30_1888:
	s_and_b64 vcc, exec, s[0:1]
	s_cbranch_vccnz .LBB30_1944
; %bb.1889:
	s_andn2_b64 vcc, exec, s[4:5]
	s_cbranch_vccnz .LBB30_1891
.LBB30_1890:
	v_cmp_neq_f32_e32 vcc, 0, v2
	v_cndmask_b32_e64 v3, 0, 1, vcc
	s_mov_b64 s[10:11], -1
	global_store_byte v[0:1], v3, off
.LBB30_1891:
	s_mov_b64 s[0:1], 0
.LBB30_1892:
	s_and_b64 vcc, exec, s[0:1]
	s_cbranch_vccz .LBB30_1931
; %bb.1893:
	v_mov_b32_e32 v3, 5
	v_cmp_lt_i16_sdwa s[4:5], s3, v3 src0_sel:BYTE_0 src1_sel:DWORD
	s_mov_b64 s[0:1], -1
	s_and_b64 vcc, exec, s[4:5]
	s_cbranch_vccnz .LBB30_1914
; %bb.1894:
	v_mov_b32_e32 v3, 8
	v_cmp_lt_i16_sdwa s[4:5], s3, v3 src0_sel:BYTE_0 src1_sel:DWORD
	s_and_b64 vcc, exec, s[4:5]
	s_cbranch_vccnz .LBB30_1904
; %bb.1895:
	v_mov_b32_e32 v3, 9
	v_cmp_lt_i16_sdwa s[4:5], s3, v3 src0_sel:BYTE_0 src1_sel:DWORD
	s_and_b64 vcc, exec, s[4:5]
	s_cbranch_vccnz .LBB30_1901
; %bb.1896:
	v_cmp_gt_i16_sdwa s[4:5], s3, v3 src0_sel:BYTE_0 src1_sel:DWORD
	s_and_b64 vcc, exec, s[4:5]
	s_cbranch_vccz .LBB30_1898
; %bb.1897:
	v_mov_b32_e32 v10, 0
	v_cvt_f64_f32_e32 v[8:9], v2
	v_mov_b32_e32 v11, v10
	global_store_dwordx4 v[0:1], v[8:11], off
	s_mov_b64 s[0:1], 0
.LBB30_1898:
	s_andn2_b64 vcc, exec, s[0:1]
	s_cbranch_vccnz .LBB30_1900
; %bb.1899:
	v_mov_b32_e32 v3, 0
	global_store_dwordx2 v[0:1], v[2:3], off
.LBB30_1900:
	s_mov_b64 s[0:1], 0
.LBB30_1901:
	s_andn2_b64 vcc, exec, s[0:1]
	s_cbranch_vccnz .LBB30_1903
; %bb.1902:
	v_cvt_f16_f32_e32 v3, v2
	global_store_dword v[0:1], v3, off
.LBB30_1903:
	s_mov_b64 s[0:1], 0
.LBB30_1904:
	s_andn2_b64 vcc, exec, s[0:1]
	s_cbranch_vccnz .LBB30_1913
; %bb.1905:
	v_mov_b32_e32 v3, 6
	v_cmp_lt_i16_sdwa s[4:5], s3, v3 src0_sel:BYTE_0 src1_sel:DWORD
	s_mov_b64 s[0:1], -1
	s_and_b64 vcc, exec, s[4:5]
	s_cbranch_vccnz .LBB30_1911
; %bb.1906:
	v_cmp_gt_i16_sdwa s[4:5], s3, v3 src0_sel:BYTE_0 src1_sel:DWORD
	s_and_b64 vcc, exec, s[4:5]
	s_cbranch_vccz .LBB30_1908
; %bb.1907:
	v_cvt_f64_f32_e32 v[8:9], v2
	global_store_dwordx2 v[0:1], v[8:9], off
	s_mov_b64 s[0:1], 0
.LBB30_1908:
	s_andn2_b64 vcc, exec, s[0:1]
	s_cbranch_vccnz .LBB30_1910
; %bb.1909:
	global_store_dword v[0:1], v2, off
.LBB30_1910:
	s_mov_b64 s[0:1], 0
.LBB30_1911:
	s_andn2_b64 vcc, exec, s[0:1]
	s_cbranch_vccnz .LBB30_1913
; %bb.1912:
	v_cvt_f16_f32_e32 v3, v2
	global_store_short v[0:1], v3, off
.LBB30_1913:
	s_mov_b64 s[0:1], 0
.LBB30_1914:
	s_andn2_b64 vcc, exec, s[0:1]
	s_cbranch_vccnz .LBB30_1930
; %bb.1915:
	v_mov_b32_e32 v3, 2
	v_cmp_lt_i16_sdwa s[4:5], s3, v3 src0_sel:BYTE_0 src1_sel:DWORD
	s_mov_b64 s[0:1], -1
	s_and_b64 vcc, exec, s[4:5]
	s_cbranch_vccnz .LBB30_1925
; %bb.1916:
	v_mov_b32_e32 v3, 3
	v_cmp_lt_i16_sdwa s[4:5], s3, v3 src0_sel:BYTE_0 src1_sel:DWORD
	s_and_b64 vcc, exec, s[4:5]
	s_cbranch_vccnz .LBB30_1922
; %bb.1917:
	v_cmp_gt_i16_sdwa s[4:5], s3, v3 src0_sel:BYTE_0 src1_sel:DWORD
	s_and_b64 vcc, exec, s[4:5]
	s_cbranch_vccz .LBB30_1919
; %bb.1918:
	v_trunc_f32_e32 v3, v2
	s_mov_b32 s0, 0x2f800000
	v_mul_f32_e64 v7, |v3|, s0
	v_floor_f32_e32 v7, v7
	s_mov_b32 s0, 0xcf800000
	v_cvt_u32_f32_e32 v8, v7
	v_fma_f32 v7, v7, s0, |v3|
	v_cvt_u32_f32_e32 v7, v7
	v_ashrrev_i32_e32 v3, 31, v3
	v_xor_b32_e32 v9, v8, v3
	s_mov_b64 s[0:1], 0
	v_xor_b32_e32 v7, v7, v3
	v_sub_co_u32_e32 v8, vcc, v7, v3
	v_subb_co_u32_e32 v9, vcc, v9, v3, vcc
	global_store_dwordx2 v[0:1], v[8:9], off
.LBB30_1919:
	s_andn2_b64 vcc, exec, s[0:1]
	s_cbranch_vccnz .LBB30_1921
; %bb.1920:
	v_cvt_i32_f32_e32 v3, v2
	global_store_dword v[0:1], v3, off
.LBB30_1921:
	s_mov_b64 s[0:1], 0
.LBB30_1922:
	s_andn2_b64 vcc, exec, s[0:1]
	s_cbranch_vccnz .LBB30_1924
; %bb.1923:
	v_cvt_i32_f32_e32 v3, v2
	global_store_short v[0:1], v3, off
.LBB30_1924:
	s_mov_b64 s[0:1], 0
.LBB30_1925:
	s_andn2_b64 vcc, exec, s[0:1]
	s_cbranch_vccnz .LBB30_1930
; %bb.1926:
	v_mov_b32_e32 v3, 0
	v_cmp_gt_i16_sdwa s[4:5], s3, v3 src0_sel:BYTE_0 src1_sel:DWORD
	s_mov_b64 s[0:1], -1
	s_and_b64 vcc, exec, s[4:5]
	s_cbranch_vccz .LBB30_1928
; %bb.1927:
	v_cvt_i32_f32_e32 v3, v2
	s_mov_b64 s[0:1], 0
	global_store_byte v[0:1], v3, off
.LBB30_1928:
	s_andn2_b64 vcc, exec, s[0:1]
	s_cbranch_vccnz .LBB30_1930
; %bb.1929:
	v_trunc_f32_e32 v2, v2
	s_mov_b32 s0, 0x2f800000
	v_mul_f32_e64 v3, |v2|, s0
	v_floor_f32_e32 v3, v3
	s_mov_b32 s0, 0xcf800000
	v_fma_f32 v3, v3, s0, |v2|
	v_cvt_u32_f32_e32 v3, v3
	v_ashrrev_i32_e32 v2, 31, v2
	v_xor_b32_e32 v3, v3, v2
	v_sub_u32_e32 v2, v3, v2
	global_store_byte v[0:1], v2, off
.LBB30_1930:
	s_mov_b64 s[10:11], -1
.LBB30_1931:
	s_andn2_b64 vcc, exec, s[10:11]
	s_cbranch_vccnz .LBB30_2135
; %bb.1932:
	v_add_u32_e32 v2, s2, v5
	v_ashrrev_i32_e32 v1, 31, v2
	v_mov_b32_e32 v3, s9
	v_add_co_u32_e32 v0, vcc, s8, v2
	v_addc_co_u32_e32 v1, vcc, v3, v1, vcc
	v_mov_b32_e32 v3, 11
	v_cmp_lt_i16_sdwa s[0:1], s3, v3 src0_sel:BYTE_0 src1_sel:DWORD
	s_and_b64 vcc, exec, s[0:1]
	s_cbranch_vccnz .LBB30_1939
; %bb.1933:
	v_mov_b32_e32 v3, 25
	v_cmp_gt_i16_sdwa s[0:1], s3, v3 src0_sel:BYTE_0 src1_sel:DWORD
	s_mov_b64 s[12:13], -1
	s_mov_b64 s[4:5], 0
	s_and_b64 vcc, exec, s[0:1]
	s_mov_b64 s[10:11], 0
	s_mov_b64 s[0:1], 0
	s_cbranch_vccz .LBB30_1975
; %bb.1934:
	v_mov_b32_e32 v3, 28
	v_cmp_gt_i16_sdwa s[0:1], s3, v3 src0_sel:BYTE_0 src1_sel:DWORD
	s_and_b64 vcc, exec, s[0:1]
	s_cbranch_vccz .LBB30_1940
; %bb.1935:
	v_mov_b32_e32 v3, 43
	v_cmp_gt_i16_sdwa s[0:1], s3, v3 src0_sel:BYTE_0 src1_sel:DWORD
	s_and_b64 vcc, exec, s[0:1]
	;; [unrolled: 5-line block ×3, first 2 shown]
	s_cbranch_vccz .LBB30_1947
; %bb.1937:
	v_mov_b32_e32 v3, 46
	v_cmp_eq_u16_sdwa s[10:11], s3, v3 src0_sel:BYTE_0 src1_sel:DWORD
	s_mov_b64 s[0:1], -1
	s_mov_b64 s[12:13], 0
	s_and_b64 vcc, exec, s[10:11]
	s_mov_b64 s[10:11], 0
	s_cbranch_vccz .LBB30_1948
; %bb.1938:
	v_bfe_u32 v3, v6, 16, 1
	s_movk_i32 s0, 0x7fff
	v_add3_u32 v3, v6, v3, s0
	v_lshrrev_b32_e32 v3, 16, v3
	v_mov_b32_e32 v5, 0x7fc0
	v_cmp_o_f32_e32 vcc, v6, v6
	v_cndmask_b32_e32 v3, v5, v3, vcc
	global_store_dword v[0:1], v3, off
	s_mov_b64 s[0:1], 0
	s_mov_b64 s[10:11], -1
	s_branch .LBB30_1948
.LBB30_1939:
	s_mov_b64 s[0:1], -1
	s_mov_b64 s[10:11], 0
	s_branch .LBB30_2019
.LBB30_1940:
	s_mov_b64 s[0:1], 0
	s_branch .LBB30_1958
.LBB30_1941:
	s_or_saveexec_b64 s[18:19], s[18:19]
                                        ; implicit-def: $sgpr20
	s_xor_b64 exec, exec, s[18:19]
	s_cbranch_execz .LBB30_1842
.LBB30_1942:
	s_mov_b32 s20, 0x46000000
	v_add_f32_e64 v3, |v2|, s20
	v_and_b32_e32 v3, 0xff, v3
	v_cmp_ne_u32_e32 vcc, 0, v3
	s_andn2_b64 s[12:13], s[12:13], exec
	s_and_b64 s[22:23], vcc, exec
	s_mov_b32 s20, 0
	s_or_b64 s[12:13], s[12:13], s[22:23]
	s_or_b64 exec, exec, s[18:19]
	v_mov_b32_e32 v7, s20
	s_and_saveexec_b64 s[18:19], s[12:13]
	s_cbranch_execnz .LBB30_1843
	s_branch .LBB30_1844
.LBB30_1943:
	s_mov_b64 s[0:1], 0
	s_branch .LBB30_1954
.LBB30_1944:
	s_trap 2
	s_or_b64 s[16:17], s[16:17], exec
	s_cbranch_execz .LBB30_1890
	s_branch .LBB30_1891
.LBB30_1945:
	s_or_saveexec_b64 s[12:13], s[12:13]
                                        ; implicit-def: $sgpr18
	s_xor_b64 exec, exec, s[12:13]
	s_cbranch_execz .LBB30_1855
.LBB30_1946:
	s_mov_b32 s18, 0x42800000
	v_add_f32_e64 v3, |v2|, s18
	v_and_b32_e32 v3, 0xff, v3
	v_cmp_ne_u32_e32 vcc, 0, v3
	s_andn2_b64 s[10:11], s[10:11], exec
	s_and_b64 s[20:21], vcc, exec
	s_mov_b32 s18, 0
	s_or_b64 s[10:11], s[10:11], s[20:21]
	s_or_b64 exec, exec, s[12:13]
	v_mov_b32_e32 v7, s18
	s_and_saveexec_b64 s[12:13], s[10:11]
	s_cbranch_execnz .LBB30_1856
	s_branch .LBB30_1857
.LBB30_1947:
	s_mov_b64 s[0:1], 0
.LBB30_1948:
	s_and_b64 vcc, exec, s[12:13]
	s_cbranch_vccz .LBB30_1953
; %bb.1949:
	v_mov_b32_e32 v3, 44
	v_cmp_eq_u16_sdwa s[12:13], s3, v3 src0_sel:BYTE_0 src1_sel:DWORD
	s_mov_b64 s[0:1], -1
	s_and_b64 vcc, exec, s[12:13]
	s_cbranch_vccz .LBB30_1953
; %bb.1950:
	v_bfe_u32 v3, v6, 23, 8
	s_movk_i32 s0, 0xff
	v_cmp_ne_u32_e32 vcc, s0, v3
	v_mov_b32_e32 v5, 0xff
	s_and_saveexec_b64 s[10:11], vcc
; %bb.1951:
	s_mov_b32 s0, 0x3fffff
	v_and_b32_e32 v7, 0x400000, v6
	v_and_or_b32 v3, v6, s0, v3
	v_cmp_ne_u32_e32 vcc, 0, v7
	v_cmp_ne_u32_e64 s[0:1], 0, v3
	s_and_b64 s[0:1], vcc, s[0:1]
	v_lshrrev_b32_e32 v5, 23, v6
	v_cndmask_b32_e64 v3, 0, 1, s[0:1]
	v_add_u32_e32 v5, v5, v3
; %bb.1952:
	s_or_b64 exec, exec, s[10:11]
	s_mov_b64 s[0:1], 0
	s_mov_b64 s[10:11], -1
	global_store_byte v[0:1], v5, off
.LBB30_1953:
	s_mov_b64 s[12:13], 0
.LBB30_1954:
	s_and_b64 vcc, exec, s[12:13]
	s_cbranch_vccz .LBB30_1957
; %bb.1955:
	v_mov_b32_e32 v3, 29
	v_cmp_eq_u16_sdwa s[12:13], s3, v3 src0_sel:BYTE_0 src1_sel:DWORD
	s_mov_b64 s[0:1], -1
	s_and_b64 vcc, exec, s[12:13]
	s_cbranch_vccz .LBB30_1957
; %bb.1956:
	v_trunc_f32_e32 v3, v6
	v_mul_f32_e32 v5, 0x2f800000, v3
	v_floor_f32_e32 v5, v5
	v_fmac_f32_e32 v3, 0xcf800000, v5
	v_cvt_u32_f32_e32 v9, v5
	v_cvt_u32_f32_e32 v8, v3
	s_mov_b64 s[0:1], 0
	s_mov_b64 s[10:11], -1
	s_mov_b64 s[12:13], 0
	global_store_dwordx2 v[0:1], v[8:9], off
	s_branch .LBB30_1958
.LBB30_1957:
	s_mov_b64 s[12:13], 0
.LBB30_1958:
	s_and_b64 vcc, exec, s[12:13]
	s_cbranch_vccz .LBB30_1974
; %bb.1959:
	v_mov_b32_e32 v3, 27
	v_cmp_lt_i16_sdwa s[12:13], s3, v3 src0_sel:BYTE_0 src1_sel:DWORD
	s_mov_b64 s[10:11], -1
	s_and_b64 vcc, exec, s[12:13]
	s_cbranch_vccnz .LBB30_1965
; %bb.1960:
	v_cmp_gt_i16_sdwa s[12:13], s3, v3 src0_sel:BYTE_0 src1_sel:DWORD
	v_cvt_u32_f32_e32 v3, v6
	s_and_b64 vcc, exec, s[12:13]
	s_cbranch_vccz .LBB30_1962
; %bb.1961:
	s_mov_b64 s[10:11], 0
	global_store_dword v[0:1], v3, off
.LBB30_1962:
	s_andn2_b64 vcc, exec, s[10:11]
	s_cbranch_vccnz .LBB30_1964
; %bb.1963:
	global_store_short v[0:1], v3, off
.LBB30_1964:
	s_mov_b64 s[10:11], 0
.LBB30_1965:
	s_andn2_b64 vcc, exec, s[10:11]
	s_cbranch_vccnz .LBB30_1973
; %bb.1966:
	v_and_b32_e32 v3, 0x7fffffff, v6
	s_mov_b32 s10, 0x43800000
	v_cmp_gt_u32_e32 vcc, s10, v3
	v_mov_b32_e32 v5, 0x80
	s_and_saveexec_b64 s[10:11], vcc
	s_cbranch_execz .LBB30_1972
; %bb.1967:
	s_mov_b32 s12, 0x3bffffff
	v_cmp_lt_u32_e32 vcc, s12, v3
	s_mov_b64 s[12:13], 0
                                        ; implicit-def: $vgpr3
	s_and_saveexec_b64 s[18:19], vcc
	s_xor_b64 s[18:19], exec, s[18:19]
	s_cbranch_execz .LBB30_2137
; %bb.1968:
	v_bfe_u32 v3, v6, 20, 1
	s_mov_b32 s20, 0x487ffff
	v_add3_u32 v3, v6, v3, s20
	s_mov_b64 s[12:13], exec
	v_lshrrev_b32_e32 v3, 20, v3
	s_or_saveexec_b64 s[18:19], s[18:19]
                                        ; implicit-def: $sgpr20
	s_xor_b64 exec, exec, s[18:19]
	s_cbranch_execnz .LBB30_2138
.LBB30_1969:
	s_or_b64 exec, exec, s[18:19]
	v_mov_b32_e32 v5, s20
	s_and_saveexec_b64 s[18:19], s[12:13]
.LBB30_1970:
	v_lshrrev_b32_e32 v5, 24, v6
	s_movk_i32 s12, 0x80
	v_and_or_b32 v5, v5, s12, v3
.LBB30_1971:
	s_or_b64 exec, exec, s[18:19]
.LBB30_1972:
	s_or_b64 exec, exec, s[10:11]
	global_store_byte v[0:1], v5, off
.LBB30_1973:
	s_mov_b64 s[10:11], -1
.LBB30_1974:
	s_mov_b64 s[12:13], 0
.LBB30_1975:
	s_and_b64 vcc, exec, s[12:13]
	s_cbranch_vccz .LBB30_2015
; %bb.1976:
	v_mov_b32_e32 v3, 22
	v_cmp_gt_i16_sdwa s[12:13], s3, v3 src0_sel:BYTE_0 src1_sel:DWORD
	s_mov_b64 s[4:5], -1
	s_and_b64 vcc, exec, s[12:13]
	s_cbranch_vccz .LBB30_2008
; %bb.1977:
	v_mov_b32_e32 v3, 24
	v_cmp_lt_i16_sdwa s[10:11], s3, v3 src0_sel:BYTE_0 src1_sel:DWORD
	s_and_b64 vcc, exec, s[10:11]
	s_cbranch_vccnz .LBB30_1997
; %bb.1978:
	v_cmp_gt_i16_sdwa s[10:11], s3, v3 src0_sel:BYTE_0 src1_sel:DWORD
	s_and_b64 vcc, exec, s[10:11]
	s_cbranch_vccz .LBB30_1986
; %bb.1979:
	v_and_b32_e32 v3, 0x7fffffff, v6
	s_mov_b32 s4, 0x47800000
	v_cmp_gt_u32_e32 vcc, s4, v3
	v_mov_b32_e32 v5, 0x80
	s_and_saveexec_b64 s[4:5], vcc
	s_cbranch_execz .LBB30_1985
; %bb.1980:
	s_mov_b32 s10, 0x37ffffff
	v_cmp_lt_u32_e32 vcc, s10, v3
	s_mov_b64 s[10:11], 0
                                        ; implicit-def: $vgpr3
	s_and_saveexec_b64 s[12:13], vcc
	s_xor_b64 s[12:13], exec, s[12:13]
	s_cbranch_execz .LBB30_2140
; %bb.1981:
	v_bfe_u32 v3, v6, 21, 1
	s_mov_b32 s18, 0x88fffff
	v_add3_u32 v3, v6, v3, s18
	s_mov_b64 s[10:11], exec
	v_lshrrev_b32_e32 v3, 21, v3
	s_or_saveexec_b64 s[12:13], s[12:13]
                                        ; implicit-def: $sgpr18
	s_xor_b64 exec, exec, s[12:13]
	s_cbranch_execnz .LBB30_2141
.LBB30_1982:
	s_or_b64 exec, exec, s[12:13]
	v_mov_b32_e32 v5, s18
	s_and_saveexec_b64 s[12:13], s[10:11]
.LBB30_1983:
	v_lshrrev_b32_e32 v5, 24, v6
	s_movk_i32 s10, 0x80
	v_and_or_b32 v5, v5, s10, v3
.LBB30_1984:
	s_or_b64 exec, exec, s[12:13]
.LBB30_1985:
	s_or_b64 exec, exec, s[4:5]
	s_mov_b64 s[4:5], 0
	global_store_byte v[0:1], v5, off
.LBB30_1986:
	s_and_b64 vcc, exec, s[4:5]
	s_cbranch_vccz .LBB30_1996
; %bb.1987:
	v_and_b32_e32 v5, 0x7fffffff, v6
	s_mov_b32 s4, 0x43f00000
	v_cmp_gt_u32_e32 vcc, s4, v5
                                        ; implicit-def: $vgpr3
	s_and_saveexec_b64 s[4:5], vcc
	s_xor_b64 s[4:5], exec, s[4:5]
	s_cbranch_execz .LBB30_1993
; %bb.1988:
	s_mov_b32 s10, 0x3c7fffff
	v_cmp_lt_u32_e32 vcc, s10, v5
                                        ; implicit-def: $vgpr3
	s_and_saveexec_b64 s[10:11], vcc
	s_xor_b64 s[10:11], exec, s[10:11]
; %bb.1989:
	v_bfe_u32 v3, v6, 20, 1
	s_mov_b32 s12, 0x407ffff
	v_add3_u32 v3, v6, v3, s12
	v_lshrrev_b32_e32 v5, 20, v3
	v_and_b32_e32 v3, 0xff00000, v3
	s_mov_b32 s12, 0x7f00000
	v_mov_b32_e32 v7, 0x7e
	v_cmp_ne_u32_e32 vcc, s12, v3
	v_cndmask_b32_e32 v3, v7, v5, vcc
; %bb.1990:
	s_andn2_saveexec_b64 s[10:11], s[10:11]
; %bb.1991:
	s_mov_b32 s12, 0x46800000
	v_add_f32_e64 v3, |v6|, s12
; %bb.1992:
	s_or_b64 exec, exec, s[10:11]
                                        ; implicit-def: $vgpr5
.LBB30_1993:
	s_andn2_saveexec_b64 s[4:5], s[4:5]
; %bb.1994:
	s_mov_b32 s10, 0x7f800000
	v_mov_b32_e32 v3, 0x7e
	v_mov_b32_e32 v7, 0x7f
	v_cmp_lt_u32_e32 vcc, s10, v5
	v_cndmask_b32_e32 v3, v3, v7, vcc
; %bb.1995:
	s_or_b64 exec, exec, s[4:5]
	v_lshrrev_b32_e32 v5, 24, v6
	s_movk_i32 s4, 0x80
	v_and_or_b32 v3, v5, s4, v3
	global_store_byte v[0:1], v3, off
.LBB30_1996:
	s_mov_b64 s[4:5], 0
.LBB30_1997:
	s_andn2_b64 vcc, exec, s[4:5]
	s_cbranch_vccnz .LBB30_2007
; %bb.1998:
	v_and_b32_e32 v5, 0x7fffffff, v6
	s_mov_b32 s4, 0x47800000
	v_cmp_gt_u32_e32 vcc, s4, v5
                                        ; implicit-def: $vgpr3
	s_and_saveexec_b64 s[4:5], vcc
	s_xor_b64 s[4:5], exec, s[4:5]
	s_cbranch_execz .LBB30_2004
; %bb.1999:
	s_mov_b32 s10, 0x387fffff
	v_cmp_lt_u32_e32 vcc, s10, v5
                                        ; implicit-def: $vgpr3
	s_and_saveexec_b64 s[10:11], vcc
	s_xor_b64 s[10:11], exec, s[10:11]
; %bb.2000:
	v_bfe_u32 v3, v6, 21, 1
	s_mov_b32 s12, 0x80fffff
	v_add3_u32 v3, v6, v3, s12
	v_lshrrev_b32_e32 v3, 21, v3
; %bb.2001:
	s_andn2_saveexec_b64 s[10:11], s[10:11]
; %bb.2002:
	s_mov_b32 s12, 0x43000000
	v_add_f32_e64 v3, |v6|, s12
; %bb.2003:
	s_or_b64 exec, exec, s[10:11]
                                        ; implicit-def: $vgpr5
.LBB30_2004:
	s_andn2_saveexec_b64 s[4:5], s[4:5]
; %bb.2005:
	s_mov_b32 s10, 0x7f800000
	v_mov_b32_e32 v3, 0x7c
	v_mov_b32_e32 v7, 0x7f
	v_cmp_lt_u32_e32 vcc, s10, v5
	v_cndmask_b32_e32 v3, v3, v7, vcc
; %bb.2006:
	s_or_b64 exec, exec, s[4:5]
	v_lshrrev_b32_e32 v5, 24, v6
	s_movk_i32 s4, 0x80
	v_and_or_b32 v3, v5, s4, v3
	global_store_byte v[0:1], v3, off
.LBB30_2007:
	s_mov_b64 s[4:5], 0
	s_mov_b64 s[10:11], -1
.LBB30_2008:
	s_andn2_b64 vcc, exec, s[4:5]
	s_mov_b64 s[4:5], 0
	s_cbranch_vccnz .LBB30_2015
; %bb.2009:
	v_mov_b32_e32 v3, 14
	v_cmp_gt_i16_sdwa s[4:5], s3, v3 src0_sel:BYTE_0 src1_sel:DWORD
	s_mov_b64 s[12:13], -1
	s_and_b64 vcc, exec, s[4:5]
	s_cbranch_vccz .LBB30_2013
; %bb.2010:
	v_mov_b32_e32 v3, 15
	v_cmp_eq_u16_sdwa s[4:5], s3, v3 src0_sel:BYTE_0 src1_sel:DWORD
	s_mov_b64 s[0:1], -1
	s_and_b64 vcc, exec, s[4:5]
	s_cbranch_vccz .LBB30_2012
; %bb.2011:
	v_bfe_u32 v3, v6, 16, 1
	s_movk_i32 s0, 0x7fff
	v_add3_u32 v3, v6, v3, s0
	v_lshrrev_b32_e32 v3, 16, v3
	v_mov_b32_e32 v5, 0x7fc0
	v_cmp_o_f32_e32 vcc, v6, v6
	v_cndmask_b32_e32 v3, v5, v3, vcc
	global_store_short v[0:1], v3, off
	s_mov_b64 s[0:1], 0
	s_mov_b64 s[10:11], -1
.LBB30_2012:
	s_mov_b64 s[12:13], 0
.LBB30_2013:
	s_mov_b64 s[4:5], 0
	s_and_b64 vcc, exec, s[12:13]
	s_cbranch_vccz .LBB30_2015
; %bb.2014:
	v_mov_b32_e32 v3, 11
	v_cmp_ne_u16_sdwa s[0:1], s3, v3 src0_sel:BYTE_0 src1_sel:DWORD
	s_mov_b64 s[4:5], -1
.LBB30_2015:
	s_and_b64 vcc, exec, s[0:1]
	s_cbranch_vccnz .LBB30_2139
; %bb.2016:
	s_andn2_b64 vcc, exec, s[4:5]
	s_cbranch_vccnz .LBB30_2018
.LBB30_2017:
	v_cmp_neq_f32_e32 vcc, 0, v6
	v_cndmask_b32_e64 v3, 0, 1, vcc
	s_mov_b64 s[10:11], -1
	global_store_byte v[0:1], v3, off
.LBB30_2018:
	s_mov_b64 s[0:1], 0
.LBB30_2019:
	s_and_b64 vcc, exec, s[0:1]
	s_cbranch_vccz .LBB30_2058
; %bb.2020:
	v_mov_b32_e32 v3, 5
	v_cmp_lt_i16_sdwa s[4:5], s3, v3 src0_sel:BYTE_0 src1_sel:DWORD
	s_mov_b64 s[0:1], -1
	s_and_b64 vcc, exec, s[4:5]
	s_cbranch_vccnz .LBB30_2041
; %bb.2021:
	v_mov_b32_e32 v3, 8
	v_cmp_lt_i16_sdwa s[4:5], s3, v3 src0_sel:BYTE_0 src1_sel:DWORD
	s_and_b64 vcc, exec, s[4:5]
	s_cbranch_vccnz .LBB30_2031
; %bb.2022:
	v_mov_b32_e32 v3, 9
	v_cmp_lt_i16_sdwa s[4:5], s3, v3 src0_sel:BYTE_0 src1_sel:DWORD
	s_and_b64 vcc, exec, s[4:5]
	s_cbranch_vccnz .LBB30_2028
; %bb.2023:
	v_cmp_gt_i16_sdwa s[4:5], s3, v3 src0_sel:BYTE_0 src1_sel:DWORD
	s_and_b64 vcc, exec, s[4:5]
	s_cbranch_vccz .LBB30_2025
; %bb.2024:
	v_mov_b32_e32 v10, 0
	v_cvt_f64_f32_e32 v[8:9], v6
	v_mov_b32_e32 v11, v10
	global_store_dwordx4 v[0:1], v[8:11], off
	s_mov_b64 s[0:1], 0
.LBB30_2025:
	s_andn2_b64 vcc, exec, s[0:1]
	s_cbranch_vccnz .LBB30_2027
; %bb.2026:
	v_mov_b32_e32 v7, 0
	global_store_dwordx2 v[0:1], v[6:7], off
.LBB30_2027:
	s_mov_b64 s[0:1], 0
.LBB30_2028:
	s_andn2_b64 vcc, exec, s[0:1]
	s_cbranch_vccnz .LBB30_2030
; %bb.2029:
	v_cvt_f16_f32_e32 v3, v6
	global_store_dword v[0:1], v3, off
.LBB30_2030:
	s_mov_b64 s[0:1], 0
.LBB30_2031:
	s_andn2_b64 vcc, exec, s[0:1]
	s_cbranch_vccnz .LBB30_2040
; %bb.2032:
	v_mov_b32_e32 v3, 6
	v_cmp_lt_i16_sdwa s[4:5], s3, v3 src0_sel:BYTE_0 src1_sel:DWORD
	s_mov_b64 s[0:1], -1
	s_and_b64 vcc, exec, s[4:5]
	s_cbranch_vccnz .LBB30_2038
; %bb.2033:
	v_cmp_gt_i16_sdwa s[4:5], s3, v3 src0_sel:BYTE_0 src1_sel:DWORD
	s_and_b64 vcc, exec, s[4:5]
	s_cbranch_vccz .LBB30_2035
; %bb.2034:
	v_cvt_f64_f32_e32 v[8:9], v6
	global_store_dwordx2 v[0:1], v[8:9], off
	s_mov_b64 s[0:1], 0
.LBB30_2035:
	s_andn2_b64 vcc, exec, s[0:1]
	s_cbranch_vccnz .LBB30_2037
; %bb.2036:
	global_store_dword v[0:1], v6, off
.LBB30_2037:
	s_mov_b64 s[0:1], 0
.LBB30_2038:
	s_andn2_b64 vcc, exec, s[0:1]
	s_cbranch_vccnz .LBB30_2040
; %bb.2039:
	v_cvt_f16_f32_e32 v3, v6
	global_store_short v[0:1], v3, off
.LBB30_2040:
	s_mov_b64 s[0:1], 0
.LBB30_2041:
	s_andn2_b64 vcc, exec, s[0:1]
	s_cbranch_vccnz .LBB30_2057
; %bb.2042:
	v_mov_b32_e32 v3, 2
	v_cmp_lt_i16_sdwa s[4:5], s3, v3 src0_sel:BYTE_0 src1_sel:DWORD
	s_mov_b64 s[0:1], -1
	s_and_b64 vcc, exec, s[4:5]
	s_cbranch_vccnz .LBB30_2052
; %bb.2043:
	v_mov_b32_e32 v3, 3
	v_cmp_lt_i16_sdwa s[4:5], s3, v3 src0_sel:BYTE_0 src1_sel:DWORD
	s_and_b64 vcc, exec, s[4:5]
	s_cbranch_vccnz .LBB30_2049
; %bb.2044:
	v_cmp_gt_i16_sdwa s[4:5], s3, v3 src0_sel:BYTE_0 src1_sel:DWORD
	s_and_b64 vcc, exec, s[4:5]
	s_cbranch_vccz .LBB30_2046
; %bb.2045:
	v_trunc_f32_e32 v3, v6
	s_mov_b32 s0, 0x2f800000
	v_mul_f32_e64 v5, |v3|, s0
	v_floor_f32_e32 v5, v5
	s_mov_b32 s0, 0xcf800000
	v_cvt_u32_f32_e32 v7, v5
	v_fma_f32 v5, v5, s0, |v3|
	v_cvt_u32_f32_e32 v5, v5
	v_ashrrev_i32_e32 v3, 31, v3
	v_xor_b32_e32 v7, v7, v3
	s_mov_b64 s[0:1], 0
	v_xor_b32_e32 v5, v5, v3
	v_sub_co_u32_e32 v8, vcc, v5, v3
	v_subb_co_u32_e32 v9, vcc, v7, v3, vcc
	global_store_dwordx2 v[0:1], v[8:9], off
.LBB30_2046:
	s_andn2_b64 vcc, exec, s[0:1]
	s_cbranch_vccnz .LBB30_2048
; %bb.2047:
	v_cvt_i32_f32_e32 v3, v6
	global_store_dword v[0:1], v3, off
.LBB30_2048:
	s_mov_b64 s[0:1], 0
.LBB30_2049:
	s_andn2_b64 vcc, exec, s[0:1]
	s_cbranch_vccnz .LBB30_2051
; %bb.2050:
	v_cvt_i32_f32_e32 v3, v6
	global_store_short v[0:1], v3, off
.LBB30_2051:
	s_mov_b64 s[0:1], 0
.LBB30_2052:
	s_andn2_b64 vcc, exec, s[0:1]
	s_cbranch_vccnz .LBB30_2057
; %bb.2053:
	v_mov_b32_e32 v3, 0
	v_cmp_gt_i16_sdwa s[4:5], s3, v3 src0_sel:BYTE_0 src1_sel:DWORD
	s_mov_b64 s[0:1], -1
	s_and_b64 vcc, exec, s[4:5]
	s_cbranch_vccz .LBB30_2055
; %bb.2054:
	v_cvt_i32_f32_e32 v3, v6
	s_mov_b64 s[0:1], 0
	global_store_byte v[0:1], v3, off
.LBB30_2055:
	s_andn2_b64 vcc, exec, s[0:1]
	s_cbranch_vccnz .LBB30_2057
; %bb.2056:
	v_trunc_f32_e32 v3, v6
	s_mov_b32 s0, 0x2f800000
	v_mul_f32_e64 v5, |v3|, s0
	v_floor_f32_e32 v5, v5
	s_mov_b32 s0, 0xcf800000
	v_fma_f32 v5, v5, s0, |v3|
	v_cvt_u32_f32_e32 v5, v5
	v_ashrrev_i32_e32 v3, 31, v3
	v_xor_b32_e32 v5, v5, v3
	v_sub_u32_e32 v3, v5, v3
	global_store_byte v[0:1], v3, off
.LBB30_2057:
	s_mov_b64 s[10:11], -1
.LBB30_2058:
	s_andn2_b64 vcc, exec, s[10:11]
	s_cbranch_vccnz .LBB30_2135
; %bb.2059:
	v_add_u32_e32 v0, s2, v2
	v_ashrrev_i32_e32 v1, 31, v0
	v_mov_b32_e32 v2, s9
	v_add_co_u32_e32 v0, vcc, s8, v0
	v_addc_co_u32_e32 v1, vcc, v2, v1, vcc
	v_mov_b32_e32 v2, 0xff
	v_and_b32_e32 v2, s3, v2
	v_cmp_gt_i16_e32 vcc, 11, v2
	s_cbranch_vccnz .LBB30_2136
; %bb.2060:
	v_cmp_lt_i16_e32 vcc, 25, v2
	s_mov_b64 s[4:5], -1
	s_mov_b64 s[2:3], 0
	s_mov_b64 s[0:1], 0
	s_cbranch_vccz .LBB30_2093
; %bb.2061:
	v_cmp_lt_i16_e32 vcc, 28, v2
	s_cbranch_vccz .LBB30_2077
; %bb.2062:
	v_cmp_lt_i16_e32 vcc, 43, v2
	;; [unrolled: 3-line block ×3, first 2 shown]
	s_cbranch_vccz .LBB30_2067
; %bb.2064:
	v_cmp_eq_u16_e32 vcc, 46, v2
	s_mov_b64 s[0:1], -1
	s_cbranch_vccz .LBB30_2066
; %bb.2065:
	v_bfe_u32 v3, v4, 16, 1
	s_movk_i32 s0, 0x7fff
	v_add3_u32 v3, v4, v3, s0
	v_lshrrev_b32_e32 v3, 16, v3
	v_mov_b32_e32 v5, 0x7fc0
	v_cmp_o_f32_e32 vcc, v4, v4
	v_cndmask_b32_e32 v3, v5, v3, vcc
	global_store_dword v[0:1], v3, off
	s_mov_b64 s[0:1], 0
.LBB30_2066:
	s_mov_b64 s[4:5], 0
.LBB30_2067:
	s_and_b64 vcc, exec, s[4:5]
	s_cbranch_vccz .LBB30_2072
; %bb.2068:
	v_cmp_eq_u16_e32 vcc, 44, v2
	s_mov_b64 s[0:1], -1
	s_cbranch_vccz .LBB30_2072
; %bb.2069:
	v_bfe_u32 v3, v4, 23, 8
	s_movk_i32 s0, 0xff
	v_cmp_ne_u32_e32 vcc, s0, v3
	v_mov_b32_e32 v5, 0xff
	s_and_saveexec_b64 s[4:5], vcc
; %bb.2070:
	s_mov_b32 s0, 0x3fffff
	v_and_b32_e32 v6, 0x400000, v4
	v_and_or_b32 v3, v4, s0, v3
	v_cmp_ne_u32_e32 vcc, 0, v6
	v_cmp_ne_u32_e64 s[0:1], 0, v3
	s_and_b64 s[0:1], vcc, s[0:1]
	v_lshrrev_b32_e32 v5, 23, v4
	v_cndmask_b32_e64 v3, 0, 1, s[0:1]
	v_add_u32_e32 v5, v5, v3
; %bb.2071:
	s_or_b64 exec, exec, s[4:5]
	s_mov_b64 s[0:1], 0
	global_store_byte v[0:1], v5, off
.LBB30_2072:
	s_mov_b64 s[4:5], 0
.LBB30_2073:
	s_and_b64 vcc, exec, s[4:5]
	s_cbranch_vccz .LBB30_2076
; %bb.2074:
	v_cmp_eq_u16_e32 vcc, 29, v2
	s_mov_b64 s[0:1], -1
	s_cbranch_vccz .LBB30_2076
; %bb.2075:
	v_trunc_f32_e32 v3, v4
	v_mul_f32_e32 v5, 0x2f800000, v3
	v_floor_f32_e32 v5, v5
	v_fmac_f32_e32 v3, 0xcf800000, v5
	v_cvt_u32_f32_e32 v7, v5
	v_cvt_u32_f32_e32 v6, v3
	s_mov_b64 s[0:1], 0
	global_store_dwordx2 v[0:1], v[6:7], off
.LBB30_2076:
	s_mov_b64 s[4:5], 0
.LBB30_2077:
	s_and_b64 vcc, exec, s[4:5]
	s_cbranch_vccz .LBB30_2092
; %bb.2078:
	v_cmp_gt_i16_e32 vcc, 27, v2
	s_mov_b64 s[4:5], -1
	s_cbranch_vccnz .LBB30_2084
; %bb.2079:
	v_cvt_u32_f32_e32 v3, v4
	v_cmp_lt_i16_e32 vcc, 27, v2
	s_cbranch_vccz .LBB30_2081
; %bb.2080:
	global_store_dword v[0:1], v3, off
	s_mov_b64 s[4:5], 0
.LBB30_2081:
	s_andn2_b64 vcc, exec, s[4:5]
	s_cbranch_vccnz .LBB30_2083
; %bb.2082:
	global_store_short v[0:1], v3, off
.LBB30_2083:
	s_mov_b64 s[4:5], 0
.LBB30_2084:
	s_andn2_b64 vcc, exec, s[4:5]
	s_cbranch_vccnz .LBB30_2092
; %bb.2085:
	v_and_b32_e32 v3, 0x7fffffff, v4
	s_mov_b32 s4, 0x43800000
	v_cmp_gt_u32_e32 vcc, s4, v3
	v_mov_b32_e32 v5, 0x80
	s_and_saveexec_b64 s[4:5], vcc
	s_cbranch_execz .LBB30_2091
; %bb.2086:
	s_mov_b32 s8, 0x3bffffff
	v_cmp_lt_u32_e32 vcc, s8, v3
	s_mov_b64 s[8:9], 0
                                        ; implicit-def: $vgpr3
	s_and_saveexec_b64 s[10:11], vcc
	s_xor_b64 s[10:11], exec, s[10:11]
	s_cbranch_execz .LBB30_2142
; %bb.2087:
	v_bfe_u32 v3, v4, 20, 1
	s_mov_b32 s12, 0x487ffff
	v_add3_u32 v3, v4, v3, s12
	s_mov_b64 s[8:9], exec
	v_lshrrev_b32_e32 v3, 20, v3
	s_or_saveexec_b64 s[10:11], s[10:11]
                                        ; implicit-def: $sgpr12
	s_xor_b64 exec, exec, s[10:11]
	s_cbranch_execnz .LBB30_2143
.LBB30_2088:
	s_or_b64 exec, exec, s[10:11]
	v_mov_b32_e32 v5, s12
	s_and_saveexec_b64 s[10:11], s[8:9]
.LBB30_2089:
	v_lshrrev_b32_e32 v5, 24, v4
	s_movk_i32 s8, 0x80
	v_and_or_b32 v5, v5, s8, v3
.LBB30_2090:
	s_or_b64 exec, exec, s[10:11]
.LBB30_2091:
	s_or_b64 exec, exec, s[4:5]
	global_store_byte v[0:1], v5, off
.LBB30_2092:
	s_mov_b64 s[4:5], 0
.LBB30_2093:
	s_and_b64 vcc, exec, s[4:5]
	s_cbranch_vccz .LBB30_2133
; %bb.2094:
	v_cmp_lt_i16_e32 vcc, 22, v2
	s_mov_b64 s[2:3], -1
	s_cbranch_vccz .LBB30_2126
; %bb.2095:
	v_cmp_gt_i16_e32 vcc, 24, v2
	s_cbranch_vccnz .LBB30_2115
; %bb.2096:
	v_cmp_lt_i16_e32 vcc, 24, v2
	s_cbranch_vccz .LBB30_2104
; %bb.2097:
	v_and_b32_e32 v3, 0x7fffffff, v4
	s_mov_b32 s2, 0x47800000
	v_cmp_gt_u32_e32 vcc, s2, v3
	v_mov_b32_e32 v5, 0x80
	s_and_saveexec_b64 s[2:3], vcc
	s_cbranch_execz .LBB30_2103
; %bb.2098:
	s_mov_b32 s4, 0x37ffffff
	v_cmp_lt_u32_e32 vcc, s4, v3
	s_mov_b64 s[4:5], 0
                                        ; implicit-def: $vgpr3
	s_and_saveexec_b64 s[8:9], vcc
	s_xor_b64 s[8:9], exec, s[8:9]
	s_cbranch_execz .LBB30_2145
; %bb.2099:
	v_bfe_u32 v3, v4, 21, 1
	s_mov_b32 s10, 0x88fffff
	v_add3_u32 v3, v4, v3, s10
	s_mov_b64 s[4:5], exec
	v_lshrrev_b32_e32 v3, 21, v3
	s_or_saveexec_b64 s[8:9], s[8:9]
                                        ; implicit-def: $sgpr10
	s_xor_b64 exec, exec, s[8:9]
	s_cbranch_execnz .LBB30_2146
.LBB30_2100:
	s_or_b64 exec, exec, s[8:9]
	v_mov_b32_e32 v5, s10
	s_and_saveexec_b64 s[8:9], s[4:5]
.LBB30_2101:
	v_lshrrev_b32_e32 v5, 24, v4
	s_movk_i32 s4, 0x80
	v_and_or_b32 v5, v5, s4, v3
.LBB30_2102:
	s_or_b64 exec, exec, s[8:9]
.LBB30_2103:
	s_or_b64 exec, exec, s[2:3]
	s_mov_b64 s[2:3], 0
	global_store_byte v[0:1], v5, off
.LBB30_2104:
	s_and_b64 vcc, exec, s[2:3]
	s_cbranch_vccz .LBB30_2114
; %bb.2105:
	v_and_b32_e32 v5, 0x7fffffff, v4
	s_mov_b32 s2, 0x43f00000
	v_cmp_gt_u32_e32 vcc, s2, v5
                                        ; implicit-def: $vgpr3
	s_and_saveexec_b64 s[2:3], vcc
	s_xor_b64 s[2:3], exec, s[2:3]
	s_cbranch_execz .LBB30_2111
; %bb.2106:
	s_mov_b32 s4, 0x3c7fffff
	v_cmp_lt_u32_e32 vcc, s4, v5
                                        ; implicit-def: $vgpr3
	s_and_saveexec_b64 s[4:5], vcc
	s_xor_b64 s[4:5], exec, s[4:5]
; %bb.2107:
	v_bfe_u32 v3, v4, 20, 1
	s_mov_b32 s8, 0x407ffff
	v_add3_u32 v3, v4, v3, s8
	v_lshrrev_b32_e32 v5, 20, v3
	v_and_b32_e32 v3, 0xff00000, v3
	s_mov_b32 s8, 0x7f00000
	v_mov_b32_e32 v6, 0x7e
	v_cmp_ne_u32_e32 vcc, s8, v3
	v_cndmask_b32_e32 v3, v6, v5, vcc
; %bb.2108:
	s_andn2_saveexec_b64 s[4:5], s[4:5]
; %bb.2109:
	s_mov_b32 s8, 0x46800000
	v_add_f32_e64 v3, |v4|, s8
; %bb.2110:
	s_or_b64 exec, exec, s[4:5]
                                        ; implicit-def: $vgpr5
.LBB30_2111:
	s_andn2_saveexec_b64 s[2:3], s[2:3]
; %bb.2112:
	s_mov_b32 s4, 0x7f800000
	v_mov_b32_e32 v3, 0x7e
	v_mov_b32_e32 v6, 0x7f
	v_cmp_lt_u32_e32 vcc, s4, v5
	v_cndmask_b32_e32 v3, v3, v6, vcc
; %bb.2113:
	s_or_b64 exec, exec, s[2:3]
	v_lshrrev_b32_e32 v5, 24, v4
	s_movk_i32 s2, 0x80
	v_and_or_b32 v3, v5, s2, v3
	global_store_byte v[0:1], v3, off
.LBB30_2114:
	s_mov_b64 s[2:3], 0
.LBB30_2115:
	s_andn2_b64 vcc, exec, s[2:3]
	s_cbranch_vccnz .LBB30_2125
; %bb.2116:
	v_and_b32_e32 v5, 0x7fffffff, v4
	s_mov_b32 s2, 0x47800000
	v_cmp_gt_u32_e32 vcc, s2, v5
                                        ; implicit-def: $vgpr3
	s_and_saveexec_b64 s[2:3], vcc
	s_xor_b64 s[2:3], exec, s[2:3]
	s_cbranch_execz .LBB30_2122
; %bb.2117:
	s_mov_b32 s4, 0x387fffff
	v_cmp_lt_u32_e32 vcc, s4, v5
                                        ; implicit-def: $vgpr3
	s_and_saveexec_b64 s[4:5], vcc
	s_xor_b64 s[4:5], exec, s[4:5]
; %bb.2118:
	v_bfe_u32 v3, v4, 21, 1
	s_mov_b32 s8, 0x80fffff
	v_add3_u32 v3, v4, v3, s8
	v_lshrrev_b32_e32 v3, 21, v3
; %bb.2119:
	s_andn2_saveexec_b64 s[4:5], s[4:5]
; %bb.2120:
	s_mov_b32 s8, 0x43000000
	v_add_f32_e64 v3, |v4|, s8
; %bb.2121:
	s_or_b64 exec, exec, s[4:5]
                                        ; implicit-def: $vgpr5
.LBB30_2122:
	s_andn2_saveexec_b64 s[2:3], s[2:3]
; %bb.2123:
	s_mov_b32 s4, 0x7f800000
	v_mov_b32_e32 v3, 0x7c
	v_mov_b32_e32 v6, 0x7f
	v_cmp_lt_u32_e32 vcc, s4, v5
	v_cndmask_b32_e32 v3, v3, v6, vcc
; %bb.2124:
	s_or_b64 exec, exec, s[2:3]
	v_lshrrev_b32_e32 v5, 24, v4
	s_movk_i32 s2, 0x80
	v_and_or_b32 v3, v5, s2, v3
	global_store_byte v[0:1], v3, off
.LBB30_2125:
	s_mov_b64 s[2:3], 0
.LBB30_2126:
	s_andn2_b64 vcc, exec, s[2:3]
	s_mov_b64 s[2:3], 0
	s_cbranch_vccnz .LBB30_2133
; %bb.2127:
	v_cmp_lt_i16_e32 vcc, 14, v2
	s_mov_b64 s[4:5], -1
	s_cbranch_vccz .LBB30_2131
; %bb.2128:
	v_cmp_eq_u16_e32 vcc, 15, v2
	s_mov_b64 s[0:1], -1
	s_cbranch_vccz .LBB30_2130
; %bb.2129:
	v_bfe_u32 v3, v4, 16, 1
	s_movk_i32 s0, 0x7fff
	v_add3_u32 v3, v4, v3, s0
	v_lshrrev_b32_e32 v3, 16, v3
	v_mov_b32_e32 v5, 0x7fc0
	v_cmp_o_f32_e32 vcc, v4, v4
	v_cndmask_b32_e32 v3, v5, v3, vcc
	global_store_short v[0:1], v3, off
	s_mov_b64 s[0:1], 0
.LBB30_2130:
	s_mov_b64 s[4:5], 0
.LBB30_2131:
	s_and_b64 vcc, exec, s[4:5]
	s_cbranch_vccz .LBB30_2133
; %bb.2132:
	v_cmp_ne_u16_e64 s[0:1], 11, v2
	s_mov_b64 s[2:3], -1
.LBB30_2133:
	s_and_b64 vcc, exec, s[0:1]
	s_cbranch_vccnz .LBB30_2144
.LBB30_2134:
	s_mov_b64 s[0:1], 0
	s_branch .LBB30_1645
.LBB30_2135:
	s_mov_b64 s[0:1], 0
                                        ; implicit-def: $vgpr2
                                        ; implicit-def: $vgpr0_vgpr1
	s_branch .LBB30_1644
.LBB30_2136:
	s_mov_b64 s[2:3], 0
	s_mov_b64 s[0:1], -1
	s_branch .LBB30_1645
.LBB30_2137:
	s_or_saveexec_b64 s[18:19], s[18:19]
                                        ; implicit-def: $sgpr20
	s_xor_b64 exec, exec, s[18:19]
	s_cbranch_execz .LBB30_1969
.LBB30_2138:
	s_mov_b32 s20, 0x46000000
	v_add_f32_e64 v3, |v6|, s20
	v_and_b32_e32 v3, 0xff, v3
	v_cmp_ne_u32_e32 vcc, 0, v3
	s_andn2_b64 s[12:13], s[12:13], exec
	s_and_b64 s[22:23], vcc, exec
	s_mov_b32 s20, 0
	s_or_b64 s[12:13], s[12:13], s[22:23]
	s_or_b64 exec, exec, s[18:19]
	v_mov_b32_e32 v5, s20
	s_and_saveexec_b64 s[18:19], s[12:13]
	s_cbranch_execnz .LBB30_1970
	s_branch .LBB30_1971
.LBB30_2139:
	s_trap 2
	s_or_b64 s[16:17], s[16:17], exec
	s_cbranch_execz .LBB30_2017
	s_branch .LBB30_2018
.LBB30_2140:
	s_or_saveexec_b64 s[12:13], s[12:13]
                                        ; implicit-def: $sgpr18
	s_xor_b64 exec, exec, s[12:13]
	s_cbranch_execz .LBB30_1982
.LBB30_2141:
	s_mov_b32 s18, 0x42800000
	v_add_f32_e64 v3, |v6|, s18
	v_and_b32_e32 v3, 0xff, v3
	v_cmp_ne_u32_e32 vcc, 0, v3
	s_andn2_b64 s[10:11], s[10:11], exec
	s_and_b64 s[20:21], vcc, exec
	s_mov_b32 s18, 0
	s_or_b64 s[10:11], s[10:11], s[20:21]
	s_or_b64 exec, exec, s[12:13]
	v_mov_b32_e32 v5, s18
	s_and_saveexec_b64 s[12:13], s[10:11]
	s_cbranch_execnz .LBB30_1983
	s_branch .LBB30_1984
.LBB30_2142:
	s_or_saveexec_b64 s[10:11], s[10:11]
                                        ; implicit-def: $sgpr12
	s_xor_b64 exec, exec, s[10:11]
	s_cbranch_execz .LBB30_2088
.LBB30_2143:
	s_mov_b32 s12, 0x46000000
	v_add_f32_e64 v3, |v4|, s12
	v_and_b32_e32 v3, 0xff, v3
	v_cmp_ne_u32_e32 vcc, 0, v3
	s_andn2_b64 s[8:9], s[8:9], exec
	s_and_b64 s[18:19], vcc, exec
	s_mov_b32 s12, 0
	s_or_b64 s[8:9], s[8:9], s[18:19]
	s_or_b64 exec, exec, s[10:11]
	v_mov_b32_e32 v5, s12
	s_and_saveexec_b64 s[10:11], s[8:9]
	s_cbranch_execnz .LBB30_2089
	s_branch .LBB30_2090
.LBB30_2144:
	s_mov_b64 s[2:3], 0
	s_or_b64 s[16:17], s[16:17], exec
	s_trap 2
	s_branch .LBB30_2134
.LBB30_2145:
	s_or_saveexec_b64 s[8:9], s[8:9]
                                        ; implicit-def: $sgpr10
	s_xor_b64 exec, exec, s[8:9]
	s_cbranch_execz .LBB30_2100
.LBB30_2146:
	s_mov_b32 s10, 0x42800000
	v_add_f32_e64 v3, |v4|, s10
	v_and_b32_e32 v3, 0xff, v3
	v_cmp_ne_u32_e32 vcc, 0, v3
	s_andn2_b64 s[4:5], s[4:5], exec
	s_and_b64 s[12:13], vcc, exec
	s_mov_b32 s10, 0
	s_or_b64 s[4:5], s[4:5], s[12:13]
	s_or_b64 exec, exec, s[8:9]
	v_mov_b32_e32 v5, s10
	s_and_saveexec_b64 s[8:9], s[4:5]
	s_cbranch_execnz .LBB30_2101
	s_branch .LBB30_2102
	.section	.rodata,"a",@progbits
	.p2align	6, 0x0
	.amdhsa_kernel _ZN2at6native32elementwise_kernel_manual_unrollILi128ELi4EZNS0_15gpu_kernel_implINS0_13AUnaryFunctorIfffZZZNS0_12_GLOBAL__N_133hermite_polynomial_he_kernel_cudaERNS_18TensorIteratorBaseEENKUlvE_clEvENKUlvE0_clEvEUlffE_EEEEvS6_RKT_EUlibE_EEviT1_
		.amdhsa_group_segment_fixed_size 0
		.amdhsa_private_segment_fixed_size 0
		.amdhsa_kernarg_size 48
		.amdhsa_user_sgpr_count 6
		.amdhsa_user_sgpr_private_segment_buffer 1
		.amdhsa_user_sgpr_dispatch_ptr 0
		.amdhsa_user_sgpr_queue_ptr 0
		.amdhsa_user_sgpr_kernarg_segment_ptr 1
		.amdhsa_user_sgpr_dispatch_id 0
		.amdhsa_user_sgpr_flat_scratch_init 0
		.amdhsa_user_sgpr_kernarg_preload_length 0
		.amdhsa_user_sgpr_kernarg_preload_offset 0
		.amdhsa_user_sgpr_private_segment_size 0
		.amdhsa_uses_dynamic_stack 0
		.amdhsa_system_sgpr_private_segment_wavefront_offset 0
		.amdhsa_system_sgpr_workgroup_id_x 1
		.amdhsa_system_sgpr_workgroup_id_y 0
		.amdhsa_system_sgpr_workgroup_id_z 0
		.amdhsa_system_sgpr_workgroup_info 0
		.amdhsa_system_vgpr_workitem_id 0
		.amdhsa_next_free_vgpr 14
		.amdhsa_next_free_sgpr 45
		.amdhsa_accum_offset 16
		.amdhsa_reserve_vcc 1
		.amdhsa_reserve_flat_scratch 0
		.amdhsa_float_round_mode_32 0
		.amdhsa_float_round_mode_16_64 0
		.amdhsa_float_denorm_mode_32 3
		.amdhsa_float_denorm_mode_16_64 3
		.amdhsa_dx10_clamp 1
		.amdhsa_ieee_mode 1
		.amdhsa_fp16_overflow 0
		.amdhsa_tg_split 0
		.amdhsa_exception_fp_ieee_invalid_op 0
		.amdhsa_exception_fp_denorm_src 0
		.amdhsa_exception_fp_ieee_div_zero 0
		.amdhsa_exception_fp_ieee_overflow 0
		.amdhsa_exception_fp_ieee_underflow 0
		.amdhsa_exception_fp_ieee_inexact 0
		.amdhsa_exception_int_div_zero 0
	.end_amdhsa_kernel
	.section	.text._ZN2at6native32elementwise_kernel_manual_unrollILi128ELi4EZNS0_15gpu_kernel_implINS0_13AUnaryFunctorIfffZZZNS0_12_GLOBAL__N_133hermite_polynomial_he_kernel_cudaERNS_18TensorIteratorBaseEENKUlvE_clEvENKUlvE0_clEvEUlffE_EEEEvS6_RKT_EUlibE_EEviT1_,"axG",@progbits,_ZN2at6native32elementwise_kernel_manual_unrollILi128ELi4EZNS0_15gpu_kernel_implINS0_13AUnaryFunctorIfffZZZNS0_12_GLOBAL__N_133hermite_polynomial_he_kernel_cudaERNS_18TensorIteratorBaseEENKUlvE_clEvENKUlvE0_clEvEUlffE_EEEEvS6_RKT_EUlibE_EEviT1_,comdat
.Lfunc_end30:
	.size	_ZN2at6native32elementwise_kernel_manual_unrollILi128ELi4EZNS0_15gpu_kernel_implINS0_13AUnaryFunctorIfffZZZNS0_12_GLOBAL__N_133hermite_polynomial_he_kernel_cudaERNS_18TensorIteratorBaseEENKUlvE_clEvENKUlvE0_clEvEUlffE_EEEEvS6_RKT_EUlibE_EEviT1_, .Lfunc_end30-_ZN2at6native32elementwise_kernel_manual_unrollILi128ELi4EZNS0_15gpu_kernel_implINS0_13AUnaryFunctorIfffZZZNS0_12_GLOBAL__N_133hermite_polynomial_he_kernel_cudaERNS_18TensorIteratorBaseEENKUlvE_clEvENKUlvE0_clEvEUlffE_EEEEvS6_RKT_EUlibE_EEviT1_
                                        ; -- End function
	.section	.AMDGPU.csdata,"",@progbits
; Kernel info:
; codeLenInByte = 36116
; NumSgprs: 49
; NumVgprs: 14
; NumAgprs: 0
; TotalNumVgprs: 14
; ScratchSize: 0
; MemoryBound: 1
; FloatMode: 240
; IeeeMode: 1
; LDSByteSize: 0 bytes/workgroup (compile time only)
; SGPRBlocks: 6
; VGPRBlocks: 1
; NumSGPRsForWavesPerEU: 49
; NumVGPRsForWavesPerEU: 14
; AccumOffset: 16
; Occupancy: 8
; WaveLimiterHint : 0
; COMPUTE_PGM_RSRC2:SCRATCH_EN: 0
; COMPUTE_PGM_RSRC2:USER_SGPR: 6
; COMPUTE_PGM_RSRC2:TRAP_HANDLER: 0
; COMPUTE_PGM_RSRC2:TGID_X_EN: 1
; COMPUTE_PGM_RSRC2:TGID_Y_EN: 0
; COMPUTE_PGM_RSRC2:TGID_Z_EN: 0
; COMPUTE_PGM_RSRC2:TIDIG_COMP_CNT: 0
; COMPUTE_PGM_RSRC3_GFX90A:ACCUM_OFFSET: 3
; COMPUTE_PGM_RSRC3_GFX90A:TG_SPLIT: 0
	.section	.text._ZN2at6native32elementwise_kernel_manual_unrollILi128ELi4EZNS0_15gpu_kernel_implINS0_13AUnaryFunctorIfffZZZNS0_12_GLOBAL__N_133hermite_polynomial_he_kernel_cudaERNS_18TensorIteratorBaseEENKUlvE_clEvENKUlvE0_clEvEUlffE_EEEEvS6_RKT_EUlibE0_EEviT1_,"axG",@progbits,_ZN2at6native32elementwise_kernel_manual_unrollILi128ELi4EZNS0_15gpu_kernel_implINS0_13AUnaryFunctorIfffZZZNS0_12_GLOBAL__N_133hermite_polynomial_he_kernel_cudaERNS_18TensorIteratorBaseEENKUlvE_clEvENKUlvE0_clEvEUlffE_EEEEvS6_RKT_EUlibE0_EEviT1_,comdat
	.globl	_ZN2at6native32elementwise_kernel_manual_unrollILi128ELi4EZNS0_15gpu_kernel_implINS0_13AUnaryFunctorIfffZZZNS0_12_GLOBAL__N_133hermite_polynomial_he_kernel_cudaERNS_18TensorIteratorBaseEENKUlvE_clEvENKUlvE0_clEvEUlffE_EEEEvS6_RKT_EUlibE0_EEviT1_ ; -- Begin function _ZN2at6native32elementwise_kernel_manual_unrollILi128ELi4EZNS0_15gpu_kernel_implINS0_13AUnaryFunctorIfffZZZNS0_12_GLOBAL__N_133hermite_polynomial_he_kernel_cudaERNS_18TensorIteratorBaseEENKUlvE_clEvENKUlvE0_clEvEUlffE_EEEEvS6_RKT_EUlibE0_EEviT1_
	.p2align	8
	.type	_ZN2at6native32elementwise_kernel_manual_unrollILi128ELi4EZNS0_15gpu_kernel_implINS0_13AUnaryFunctorIfffZZZNS0_12_GLOBAL__N_133hermite_polynomial_he_kernel_cudaERNS_18TensorIteratorBaseEENKUlvE_clEvENKUlvE0_clEvEUlffE_EEEEvS6_RKT_EUlibE0_EEviT1_,@function
_ZN2at6native32elementwise_kernel_manual_unrollILi128ELi4EZNS0_15gpu_kernel_implINS0_13AUnaryFunctorIfffZZZNS0_12_GLOBAL__N_133hermite_polynomial_he_kernel_cudaERNS_18TensorIteratorBaseEENKUlvE_clEvENKUlvE0_clEvEUlffE_EEEEvS6_RKT_EUlibE0_EEviT1_: ; @_ZN2at6native32elementwise_kernel_manual_unrollILi128ELi4EZNS0_15gpu_kernel_implINS0_13AUnaryFunctorIfffZZZNS0_12_GLOBAL__N_133hermite_polynomial_he_kernel_cudaERNS_18TensorIteratorBaseEENKUlvE_clEvENKUlvE0_clEvEUlffE_EEEEvS6_RKT_EUlibE0_EEviT1_
; %bb.0:
	s_load_dword s74, s[4:5], 0x0
	s_load_dword s33, s[4:5], 0x8
	s_or_b32 s34, s4, 8
	v_lshl_or_b32 v12, s6, 9, v0
	v_or_b32_e32 v15, 0x180, v12
	s_mov_b32 s35, s5
	s_waitcnt lgkmcnt(0)
	s_add_i32 s76, s33, -1
	s_cmp_gt_u32 s76, 1
	v_cmp_le_i32_e32 vcc, s74, v15
	s_cselect_b64 s[40:41], -1, 0
	s_mov_b64 s[6:7], 0
	s_mov_b64 s[28:29], 0
	s_and_saveexec_b64 s[0:1], vcc
	s_xor_b64 s[42:43], exec, s[0:1]
	s_cbranch_execz .LBB31_1138
; %bb.1:
	s_load_dwordx4 s[28:31], s[34:35], 0x4
	s_load_dwordx2 s[46:47], s[34:35], 0x14
	s_load_dwordx2 s[44:45], s[34:35], 0x15c
	s_cmp_lg_u32 s33, 0
	s_load_dwordx4 s[36:39], s[34:35], 0xc4
	s_load_dwordx4 s[24:27], s[34:35], 0x148
	s_cselect_b64 s[52:53], -1, 0
	s_add_u32 s50, s34, 0xc4
	s_addc_u32 s51, s35, 0
	s_min_u32 s75, s76, 15
	s_cmp_gt_u32 s33, 1
	s_cselect_b64 s[48:49], -1, 0
	s_waitcnt lgkmcnt(0)
	v_lshrrev_b16_e64 v6, 8, s45
	v_cmp_gt_i32_e32 vcc, s74, v12
	s_mov_b64 s[2:3], -1
	s_mov_b64 s[62:63], 0
	s_mov_b64 s[56:57], 0
	;; [unrolled: 1-line block ×3, first 2 shown]
	s_and_saveexec_b64 s[58:59], vcc
	s_cbranch_execz .LBB31_279
; %bb.2:
	s_andn2_b64 vcc, exec, s[40:41]
	s_cbranch_vccnz .LBB31_8
; %bb.3:
	s_mov_b32 s54, 0
	s_andn2_b64 vcc, exec, s[52:53]
	v_mov_b32_e32 v2, 0
	v_mov_b32_e32 v0, 0
	s_cbranch_vccnz .LBB31_14
; %bb.4:
	s_add_i32 s64, s75, 1
	s_cmp_eq_u32 s76, 2
	s_cbranch_scc1 .LBB31_9
; %bb.5:
	s_and_b32 s54, s64, 28
	s_mov_b32 s55, 0
	v_mov_b32_e32 v0, 0
	s_mov_b64 s[56:57], s[34:35]
	s_mov_b64 s[60:61], s[50:51]
	v_mov_b32_e32 v3, v12
	v_mov_b32_e32 v2, 0
.LBB31_6:                               ; =>This Inner Loop Header: Depth=1
	s_load_dwordx8 s[16:23], s[56:57], 0x4
	s_load_dwordx4 s[0:3], s[56:57], 0x24
	s_load_dwordx8 s[8:15], s[60:61], 0x0
	s_add_u32 s56, s56, 48
	s_addc_u32 s57, s57, 0
	s_waitcnt lgkmcnt(0)
	v_mul_hi_u32 v1, s17, v3
	v_add_u32_e32 v1, v3, v1
	v_lshrrev_b32_e32 v1, s18, v1
	v_mul_lo_u32 v4, v1, s16
	v_mul_hi_u32 v5, s20, v1
	v_sub_u32_e32 v3, v3, v4
	v_add_u32_e32 v4, v1, v5
	v_lshrrev_b32_e32 v4, s21, v4
	v_mul_lo_u32 v7, v4, s19
	v_mul_hi_u32 v8, s23, v4
	v_sub_u32_e32 v1, v1, v7
	v_add_u32_e32 v7, v4, v8
	v_mul_lo_u32 v5, v3, s9
	v_mul_lo_u32 v3, v3, s8
	;; [unrolled: 1-line block ×4, first 2 shown]
	v_lshrrev_b32_e32 v7, s0, v7
	v_add3_u32 v0, v3, v0, v1
	v_mul_hi_u32 v3, s2, v7
	v_add_u32_e32 v3, v7, v3
	v_lshrrev_b32_e32 v3, s3, v3
	s_add_i32 s55, s55, 4
	v_add3_u32 v1, v5, v2, v8
	v_mul_lo_u32 v2, v7, s22
	v_mul_lo_u32 v5, v3, s1
	s_add_u32 s60, s60, 32
	v_sub_u32_e32 v2, v4, v2
	v_sub_u32_e32 v5, v7, v5
	s_addc_u32 s61, s61, 0
	v_mul_lo_u32 v4, v2, s12
	v_mul_lo_u32 v2, v2, s13
	v_mul_lo_u32 v7, v5, s14
	v_mul_lo_u32 v5, v5, s15
	s_cmp_lg_u32 s54, s55
	v_add3_u32 v2, v2, v1, v5
	v_add3_u32 v0, v4, v0, v7
	s_cbranch_scc1 .LBB31_6
; %bb.7:
	v_mov_b32_e32 v1, v2
	s_branch .LBB31_10
.LBB31_8:
                                        ; implicit-def: $vgpr2
                                        ; implicit-def: $vgpr0
	s_branch .LBB31_15
.LBB31_9:
	s_mov_b32 s55, s54
	v_pk_mov_b32 v[0:1], s[54:55], s[54:55] op_sel:[0,1]
                                        ; implicit-def: $vgpr2
	v_mov_b32_e32 v3, v12
.LBB31_10:
	s_and_b32 s8, s64, 3
	s_cmp_eq_u32 s8, 0
	s_cbranch_scc1 .LBB31_14
; %bb.11:
	s_lshl_b32 s0, s54, 3
	s_add_u32 s0, s0, s34
	s_addc_u32 s1, s35, 0
	s_add_u32 s0, s0, 0xc4
	s_addc_u32 s1, s1, 0
	s_mul_i32 s2, s54, 12
	s_add_u32 s2, s34, s2
	s_addc_u32 s3, s35, 0
.LBB31_12:                              ; =>This Inner Loop Header: Depth=1
	s_load_dwordx2 s[10:11], s[2:3], 0x4
	s_load_dword s9, s[2:3], 0xc
	s_load_dwordx2 s[12:13], s[0:1], 0x0
	v_mov_b32_e32 v2, v1
	s_add_u32 s2, s2, 12
	s_waitcnt lgkmcnt(0)
	v_mul_hi_u32 v1, s11, v3
	v_add_u32_e32 v1, v3, v1
	v_lshrrev_b32_e32 v1, s9, v1
	s_addc_u32 s3, s3, 0
	v_mul_lo_u32 v4, v1, s10
	s_add_u32 s0, s0, 8
	v_sub_u32_e32 v7, v3, v4
	v_mov_b32_e32 v3, v1
	s_addc_u32 s1, s1, 0
	s_add_i32 s8, s8, -1
	v_mad_u64_u32 v[4:5], s[10:11], v7, s13, v[2:3]
	v_mad_u64_u32 v[0:1], s[10:11], v7, s12, v[0:1]
	s_cmp_lg_u32 s8, 0
	v_mov_b32_e32 v1, v4
	s_cbranch_scc1 .LBB31_12
; %bb.13:
	v_mov_b32_e32 v2, v1
.LBB31_14:
	s_cbranch_execnz .LBB31_17
.LBB31_15:
	v_mul_hi_u32 v0, s29, v12
	v_add_u32_e32 v0, v12, v0
	v_lshrrev_b32_e32 v1, s30, v0
	v_mul_lo_u32 v0, v1, s28
	v_sub_u32_e32 v0, v12, v0
	v_mul_lo_u32 v2, v0, s37
	s_andn2_b64 vcc, exec, s[48:49]
	v_mul_lo_u32 v0, v0, s36
	s_cbranch_vccnz .LBB31_17
; %bb.16:
	v_mul_hi_u32 v3, s46, v1
	v_add_u32_e32 v3, v1, v3
	v_lshrrev_b32_e32 v3, s47, v3
	v_mul_lo_u32 v3, v3, s31
	v_sub_u32_e32 v3, v1, v3
	v_mad_u64_u32 v[0:1], s[0:1], v3, s38, v[0:1]
	v_mad_u64_u32 v[2:3], s[0:1], v3, s39, v[2:3]
.LBB31_17:
	v_mov_b32_e32 v1, s27
	v_add_co_u32_e32 v2, vcc, s26, v2
	v_addc_co_u32_e32 v3, vcc, 0, v1, vcc
	v_cmp_gt_i16_e32 vcc, 11, v6
	s_cbranch_vccnz .LBB31_24
; %bb.18:
	v_cmp_lt_i16_e32 vcc, 25, v6
	s_cbranch_vccz .LBB31_45
; %bb.19:
	v_cmp_lt_i16_e32 vcc, 28, v6
	s_cbranch_vccz .LBB31_48
	;; [unrolled: 3-line block ×4, first 2 shown]
; %bb.22:
	v_cmp_eq_u16_e32 vcc, 46, v6
	s_mov_b64 s[8:9], 0
	s_cbranch_vccz .LBB31_54
; %bb.23:
	global_load_dword v1, v[2:3], off
	s_mov_b64 s[0:1], -1
	s_mov_b64 s[2:3], 0
	s_waitcnt vmcnt(0)
	v_lshlrev_b32_e32 v1, 16, v1
	s_branch .LBB31_56
.LBB31_24:
	s_mov_b64 s[2:3], 0
                                        ; implicit-def: $vgpr1
	s_mov_b64 s[0:1], 0
	s_cbranch_execnz .LBB31_229
.LBB31_25:
	s_andn2_b64 vcc, exec, s[0:1]
	s_cbranch_vccnz .LBB31_276
.LBB31_26:
	s_waitcnt vmcnt(0)
	v_trunc_f32_e32 v1, v1
	s_mov_b32 s0, 0x2f800000
	v_mul_f32_e64 v2, |v1|, s0
	v_floor_f32_e32 v2, v2
	s_mov_b32 s0, 0xcf800000
	v_cvt_u32_f32_e32 v3, v2
	v_fma_f32 v2, v2, s0, |v1|
	v_cvt_u32_f32_e32 v2, v2
	v_ashrrev_i32_e32 v1, 31, v1
	v_xor_b32_e32 v3, v3, v1
	v_xor_b32_e32 v2, v2, v1
	v_sub_co_u32_e32 v4, vcc, v2, v1
	v_subb_co_u32_e32 v5, vcc, v3, v1, vcc
	v_cmp_lt_i64_e32 vcc, -1, v[4:5]
	v_mov_b32_e32 v2, 0
	s_and_saveexec_b64 s[0:1], vcc
	s_cbranch_execz .LBB31_38
; %bb.27:
	v_cmp_lt_i64_e32 vcc, 0, v[4:5]
	v_mov_b32_e32 v2, 1.0
	s_and_saveexec_b64 s[8:9], vcc
	s_cbranch_execz .LBB31_37
; %bb.28:
	v_cmp_ne_u64_e32 vcc, 1, v[4:5]
                                        ; implicit-def: $vgpr2
	s_and_saveexec_b64 s[10:11], vcc
	s_xor_b64 s[10:11], exec, s[10:11]
	s_cbranch_execz .LBB31_34
; %bb.29:
	s_mov_b64 s[12:13], 0x81
	v_cmp_gt_u64_e32 vcc, s[12:13], v[4:5]
	v_mov_b32_e32 v2, 0x7fc00000
	s_and_saveexec_b64 s[12:13], vcc
	s_cbranch_execz .LBB31_33
; %bb.30:
	s_mov_b64 s[16:17], 1
	s_mov_b64 s[14:15], 0
	v_mov_b32_e32 v2, s44
	v_mov_b32_e32 v1, 1.0
.LBB31_31:                              ; =>This Inner Loop Header: Depth=1
	s_flbit_i32_b32 s18, s17
	s_min_u32 s20, s18, 32
	s_lshl_b64 s[18:19], s[16:17], s20
	s_min_u32 s18, s18, 1
	s_or_b32 s18, s19, s18
	v_cvt_f32_u32_e32 v3, s18
	s_sub_i32 s20, 32, s20
	s_add_u32 s16, s16, 1
	s_addc_u32 s17, s17, 0
	v_ldexp_f32 v3, v3, s20
	v_cmp_eq_u64_e32 vcc, s[16:17], v[4:5]
	v_mul_f32_e32 v3, v1, v3
	s_or_b64 s[14:15], vcc, s[14:15]
	v_mov_b32_e32 v1, v2
	v_fma_f32 v2, s44, v2, -v3
	s_andn2_b64 exec, exec, s[14:15]
	s_cbranch_execnz .LBB31_31
; %bb.32:
	s_or_b64 exec, exec, s[14:15]
.LBB31_33:
	s_or_b64 exec, exec, s[12:13]
.LBB31_34:
	s_andn2_saveexec_b64 s[10:11], s[10:11]
; %bb.35:
	v_mov_b32_e32 v2, s44
; %bb.36:
	s_or_b64 exec, exec, s[10:11]
.LBB31_37:
	s_or_b64 exec, exec, s[8:9]
.LBB31_38:
	s_or_b64 exec, exec, s[0:1]
	v_mov_b32_e32 v1, s25
	v_add_co_u32_e32 v0, vcc, s24, v0
	v_mov_b32_e32 v3, 11
	v_addc_co_u32_e32 v1, vcc, 0, v1, vcc
	v_cmp_lt_i16_sdwa s[0:1], s45, v3 src0_sel:BYTE_0 src1_sel:DWORD
	s_and_b64 vcc, exec, s[0:1]
	s_cbranch_vccnz .LBB31_46
; %bb.39:
	v_mov_b32_e32 v3, 25
	v_cmp_gt_i16_sdwa s[0:1], s45, v3 src0_sel:BYTE_0 src1_sel:DWORD
	s_and_b64 vcc, exec, s[0:1]
	s_cbranch_vccz .LBB31_49
; %bb.40:
	v_mov_b32_e32 v3, 28
	v_cmp_gt_i16_sdwa s[0:1], s45, v3 src0_sel:BYTE_0 src1_sel:DWORD
	s_and_b64 vcc, exec, s[0:1]
	s_cbranch_vccz .LBB31_51
	;; [unrolled: 5-line block ×4, first 2 shown]
; %bb.43:
	v_mov_b32_e32 v3, 46
	v_cmp_eq_u16_sdwa s[8:9], s45, v3 src0_sel:BYTE_0 src1_sel:DWORD
	s_mov_b64 s[10:11], 0
	s_mov_b64 s[0:1], -1
	s_and_b64 vcc, exec, s[8:9]
	s_mov_b64 s[8:9], 0
	s_cbranch_vccz .LBB31_60
; %bb.44:
	v_bfe_u32 v3, v2, 16, 1
	s_movk_i32 s0, 0x7fff
	v_add3_u32 v3, v2, v3, s0
	v_lshrrev_b32_e32 v3, 16, v3
	v_mov_b32_e32 v4, 0x7fc0
	v_cmp_o_f32_e32 vcc, v2, v2
	v_cndmask_b32_e32 v3, v4, v3, vcc
	global_store_dword v[0:1], v3, off
	s_mov_b64 s[8:9], -1
	s_mov_b64 s[0:1], 0
	s_branch .LBB31_60
.LBB31_45:
	s_mov_b64 s[2:3], 0
	s_mov_b64 s[0:1], 0
                                        ; implicit-def: $vgpr1
	s_cbranch_execnz .LBB31_194
	s_branch .LBB31_228
.LBB31_46:
	s_mov_b64 s[0:1], 0
	s_mov_b64 s[8:9], 0
	s_cbranch_execnz .LBB31_129
.LBB31_47:
	s_andn2_b64 vcc, exec, s[8:9]
	s_cbranch_vccnz .LBB31_277
	s_branch .LBB31_167
.LBB31_48:
	s_mov_b64 s[8:9], -1
	s_mov_b64 s[2:3], 0
	s_mov_b64 s[0:1], 0
                                        ; implicit-def: $vgpr1
	s_branch .LBB31_175
.LBB31_49:
	s_mov_b64 s[10:11], -1
	s_mov_b64 s[0:1], 0
	s_mov_b64 s[8:9], 0
	s_branch .LBB31_87
.LBB31_50:
	s_mov_b64 s[8:9], -1
	s_mov_b64 s[2:3], 0
	s_mov_b64 s[0:1], 0
                                        ; implicit-def: $vgpr1
	s_branch .LBB31_170
.LBB31_51:
	s_mov_b64 s[10:11], -1
	s_mov_b64 s[0:1], 0
	s_mov_b64 s[8:9], 0
	s_branch .LBB31_70
.LBB31_52:
	s_mov_b64 s[8:9], -1
	s_mov_b64 s[2:3], 0
	s_branch .LBB31_55
.LBB31_53:
	s_mov_b64 s[10:11], -1
	s_mov_b64 s[0:1], 0
	s_mov_b64 s[8:9], 0
	s_branch .LBB31_66
.LBB31_54:
	s_mov_b64 s[2:3], -1
.LBB31_55:
	s_mov_b64 s[0:1], 0
                                        ; implicit-def: $vgpr1
.LBB31_56:
	s_and_b64 vcc, exec, s[8:9]
	s_cbranch_vccz .LBB31_169
; %bb.57:
	v_cmp_eq_u16_e32 vcc, 44, v6
	s_cbranch_vccz .LBB31_168
; %bb.58:
	global_load_ubyte v1, v[2:3], off
	s_movk_i32 s2, 0xff
	v_mov_b32_e32 v4, 0x7f800001
	v_mov_b32_e32 v5, 0x400000
	s_mov_b64 s[0:1], -1
	s_waitcnt vmcnt(0)
	v_lshlrev_b32_e32 v7, 23, v1
	v_cmp_ne_u32_e32 vcc, s2, v1
	v_cndmask_b32_e32 v4, v4, v7, vcc
	v_cmp_ne_u32_e32 vcc, 0, v1
	v_cndmask_b32_e32 v1, v5, v4, vcc
	s_mov_b64 s[2:3], 0
	s_branch .LBB31_169
.LBB31_59:
	s_mov_b64 s[10:11], -1
	s_mov_b64 s[0:1], 0
	s_mov_b64 s[8:9], 0
.LBB31_60:
	s_and_b64 vcc, exec, s[10:11]
	s_cbranch_vccz .LBB31_65
; %bb.61:
	v_mov_b32_e32 v3, 44
	v_cmp_eq_u16_sdwa s[10:11], s45, v3 src0_sel:BYTE_0 src1_sel:DWORD
	s_mov_b64 s[0:1], -1
	s_and_b64 vcc, exec, s[10:11]
	s_cbranch_vccz .LBB31_65
; %bb.62:
	v_bfe_u32 v3, v2, 23, 8
	s_movk_i32 s0, 0xff
	v_cmp_ne_u32_e32 vcc, s0, v3
	v_mov_b32_e32 v4, 0xff
	s_and_saveexec_b64 s[8:9], vcc
; %bb.63:
	s_mov_b32 s0, 0x3fffff
	v_and_b32_e32 v5, 0x400000, v2
	v_and_or_b32 v3, v2, s0, v3
	v_cmp_ne_u32_e32 vcc, 0, v5
	v_cmp_ne_u32_e64 s[0:1], 0, v3
	s_and_b64 s[0:1], vcc, s[0:1]
	v_lshrrev_b32_e32 v4, 23, v2
	v_cndmask_b32_e64 v3, 0, 1, s[0:1]
	v_add_u32_e32 v4, v4, v3
; %bb.64:
	s_or_b64 exec, exec, s[8:9]
	s_mov_b64 s[8:9], -1
	s_mov_b64 s[0:1], 0
	global_store_byte v[0:1], v4, off
.LBB31_65:
	s_mov_b64 s[10:11], 0
.LBB31_66:
	s_and_b64 vcc, exec, s[10:11]
	s_cbranch_vccz .LBB31_69
; %bb.67:
	v_mov_b32_e32 v3, 29
	v_cmp_eq_u16_sdwa s[10:11], s45, v3 src0_sel:BYTE_0 src1_sel:DWORD
	s_mov_b64 s[0:1], -1
	s_and_b64 vcc, exec, s[10:11]
	s_cbranch_vccz .LBB31_69
; %bb.68:
	v_trunc_f32_e32 v3, v2
	v_mul_f32_e32 v4, 0x2f800000, v3
	v_floor_f32_e32 v4, v4
	v_fmac_f32_e32 v3, 0xcf800000, v4
	v_cvt_u32_f32_e32 v5, v4
	v_cvt_u32_f32_e32 v4, v3
	s_mov_b64 s[8:9], -1
	s_mov_b64 s[0:1], 0
	s_mov_b64 s[10:11], 0
	global_store_dwordx2 v[0:1], v[4:5], off
	s_branch .LBB31_70
.LBB31_69:
	s_mov_b64 s[10:11], 0
.LBB31_70:
	s_and_b64 vcc, exec, s[10:11]
	s_cbranch_vccz .LBB31_86
; %bb.71:
	v_mov_b32_e32 v3, 27
	v_cmp_lt_i16_sdwa s[10:11], s45, v3 src0_sel:BYTE_0 src1_sel:DWORD
	s_mov_b64 s[8:9], -1
	s_and_b64 vcc, exec, s[10:11]
	s_cbranch_vccnz .LBB31_77
; %bb.72:
	v_cmp_gt_i16_sdwa s[10:11], s45, v3 src0_sel:BYTE_0 src1_sel:DWORD
	v_cvt_u32_f32_e32 v3, v2
	s_and_b64 vcc, exec, s[10:11]
	s_cbranch_vccz .LBB31_74
; %bb.73:
	s_mov_b64 s[8:9], 0
	global_store_dword v[0:1], v3, off
.LBB31_74:
	s_andn2_b64 vcc, exec, s[8:9]
	s_cbranch_vccnz .LBB31_76
; %bb.75:
	global_store_short v[0:1], v3, off
.LBB31_76:
	s_mov_b64 s[8:9], 0
.LBB31_77:
	s_andn2_b64 vcc, exec, s[8:9]
	s_cbranch_vccnz .LBB31_85
; %bb.78:
	v_and_b32_e32 v3, 0x7fffffff, v2
	s_mov_b32 s8, 0x43800000
	v_cmp_gt_u32_e32 vcc, s8, v3
	v_mov_b32_e32 v4, 0x80
	s_and_saveexec_b64 s[8:9], vcc
	s_cbranch_execz .LBB31_84
; %bb.79:
	s_mov_b32 s10, 0x3bffffff
	v_cmp_lt_u32_e32 vcc, s10, v3
	s_mov_b64 s[10:11], 0
                                        ; implicit-def: $vgpr3
	s_and_saveexec_b64 s[12:13], vcc
	s_xor_b64 s[12:13], exec, s[12:13]
	s_cbranch_execz .LBB31_333
; %bb.80:
	v_bfe_u32 v3, v2, 20, 1
	s_mov_b32 s14, 0x487ffff
	v_add3_u32 v3, v2, v3, s14
	s_mov_b64 s[10:11], exec
	v_lshrrev_b32_e32 v3, 20, v3
	s_or_saveexec_b64 s[12:13], s[12:13]
                                        ; implicit-def: $sgpr14
	s_xor_b64 exec, exec, s[12:13]
	s_cbranch_execnz .LBB31_334
.LBB31_81:
	s_or_b64 exec, exec, s[12:13]
	v_mov_b32_e32 v4, s14
	s_and_saveexec_b64 s[12:13], s[10:11]
.LBB31_82:
	v_lshrrev_b32_e32 v4, 24, v2
	s_movk_i32 s10, 0x80
	v_and_or_b32 v4, v4, s10, v3
.LBB31_83:
	s_or_b64 exec, exec, s[12:13]
.LBB31_84:
	s_or_b64 exec, exec, s[8:9]
	global_store_byte v[0:1], v4, off
.LBB31_85:
	s_mov_b64 s[8:9], -1
.LBB31_86:
	s_mov_b64 s[10:11], 0
.LBB31_87:
	s_and_b64 vcc, exec, s[10:11]
	s_cbranch_vccz .LBB31_128
; %bb.88:
	v_mov_b32_e32 v3, 22
	v_cmp_gt_i16_sdwa s[12:13], s45, v3 src0_sel:BYTE_0 src1_sel:DWORD
	s_mov_b64 s[10:11], -1
	s_and_b64 vcc, exec, s[12:13]
	s_cbranch_vccz .LBB31_120
; %bb.89:
	v_mov_b32_e32 v3, 24
	v_cmp_lt_i16_sdwa s[10:11], s45, v3 src0_sel:BYTE_0 src1_sel:DWORD
	s_mov_b64 s[8:9], -1
	s_and_b64 vcc, exec, s[10:11]
	s_cbranch_vccnz .LBB31_109
; %bb.90:
	v_cmp_gt_i16_sdwa s[10:11], s45, v3 src0_sel:BYTE_0 src1_sel:DWORD
	s_and_b64 vcc, exec, s[10:11]
	s_cbranch_vccz .LBB31_98
; %bb.91:
	v_and_b32_e32 v3, 0x7fffffff, v2
	s_mov_b32 s8, 0x47800000
	v_cmp_gt_u32_e32 vcc, s8, v3
	v_mov_b32_e32 v4, 0x80
	s_and_saveexec_b64 s[8:9], vcc
	s_cbranch_execz .LBB31_97
; %bb.92:
	s_mov_b32 s10, 0x37ffffff
	v_cmp_lt_u32_e32 vcc, s10, v3
	s_mov_b64 s[10:11], 0
                                        ; implicit-def: $vgpr3
	s_and_saveexec_b64 s[12:13], vcc
	s_xor_b64 s[12:13], exec, s[12:13]
	s_cbranch_execz .LBB31_337
; %bb.93:
	v_bfe_u32 v3, v2, 21, 1
	s_mov_b32 s14, 0x88fffff
	v_add3_u32 v3, v2, v3, s14
	s_mov_b64 s[10:11], exec
	v_lshrrev_b32_e32 v3, 21, v3
	s_or_saveexec_b64 s[12:13], s[12:13]
                                        ; implicit-def: $sgpr14
	s_xor_b64 exec, exec, s[12:13]
	s_cbranch_execnz .LBB31_338
.LBB31_94:
	s_or_b64 exec, exec, s[12:13]
	v_mov_b32_e32 v4, s14
	s_and_saveexec_b64 s[12:13], s[10:11]
.LBB31_95:
	v_lshrrev_b32_e32 v4, 24, v2
	s_movk_i32 s10, 0x80
	v_and_or_b32 v4, v4, s10, v3
.LBB31_96:
	s_or_b64 exec, exec, s[12:13]
.LBB31_97:
	s_or_b64 exec, exec, s[8:9]
	s_mov_b64 s[8:9], 0
	global_store_byte v[0:1], v4, off
.LBB31_98:
	s_and_b64 vcc, exec, s[8:9]
	s_cbranch_vccz .LBB31_108
; %bb.99:
	v_and_b32_e32 v4, 0x7fffffff, v2
	s_mov_b32 s8, 0x43f00000
	v_cmp_gt_u32_e32 vcc, s8, v4
                                        ; implicit-def: $vgpr3
	s_and_saveexec_b64 s[8:9], vcc
	s_xor_b64 s[8:9], exec, s[8:9]
	s_cbranch_execz .LBB31_105
; %bb.100:
	s_mov_b32 s10, 0x3c7fffff
	v_cmp_lt_u32_e32 vcc, s10, v4
                                        ; implicit-def: $vgpr3
	s_and_saveexec_b64 s[10:11], vcc
	s_xor_b64 s[10:11], exec, s[10:11]
; %bb.101:
	v_bfe_u32 v3, v2, 20, 1
	s_mov_b32 s12, 0x407ffff
	v_add3_u32 v3, v2, v3, s12
	v_lshrrev_b32_e32 v4, 20, v3
	v_and_b32_e32 v3, 0xff00000, v3
	s_mov_b32 s12, 0x7f00000
	v_mov_b32_e32 v5, 0x7e
	v_cmp_ne_u32_e32 vcc, s12, v3
	v_cndmask_b32_e32 v3, v5, v4, vcc
; %bb.102:
	s_andn2_saveexec_b64 s[10:11], s[10:11]
; %bb.103:
	s_mov_b32 s12, 0x46800000
	v_add_f32_e64 v3, |v2|, s12
; %bb.104:
	s_or_b64 exec, exec, s[10:11]
                                        ; implicit-def: $vgpr4
.LBB31_105:
	s_andn2_saveexec_b64 s[8:9], s[8:9]
; %bb.106:
	s_mov_b32 s10, 0x7f800000
	v_mov_b32_e32 v3, 0x7e
	v_mov_b32_e32 v5, 0x7f
	v_cmp_lt_u32_e32 vcc, s10, v4
	v_cndmask_b32_e32 v3, v3, v5, vcc
; %bb.107:
	s_or_b64 exec, exec, s[8:9]
	v_lshrrev_b32_e32 v4, 24, v2
	s_movk_i32 s8, 0x80
	v_and_or_b32 v3, v4, s8, v3
	global_store_byte v[0:1], v3, off
.LBB31_108:
	s_mov_b64 s[8:9], 0
.LBB31_109:
	s_andn2_b64 vcc, exec, s[8:9]
	s_cbranch_vccnz .LBB31_119
; %bb.110:
	v_and_b32_e32 v4, 0x7fffffff, v2
	s_mov_b32 s8, 0x47800000
	v_cmp_gt_u32_e32 vcc, s8, v4
                                        ; implicit-def: $vgpr3
	s_and_saveexec_b64 s[8:9], vcc
	s_xor_b64 s[8:9], exec, s[8:9]
	s_cbranch_execz .LBB31_116
; %bb.111:
	s_mov_b32 s10, 0x387fffff
	v_cmp_lt_u32_e32 vcc, s10, v4
                                        ; implicit-def: $vgpr3
	s_and_saveexec_b64 s[10:11], vcc
	s_xor_b64 s[10:11], exec, s[10:11]
; %bb.112:
	v_bfe_u32 v3, v2, 21, 1
	s_mov_b32 s12, 0x80fffff
	v_add3_u32 v3, v2, v3, s12
	v_lshrrev_b32_e32 v3, 21, v3
; %bb.113:
	s_andn2_saveexec_b64 s[10:11], s[10:11]
; %bb.114:
	s_mov_b32 s12, 0x43000000
	v_add_f32_e64 v3, |v2|, s12
; %bb.115:
	s_or_b64 exec, exec, s[10:11]
                                        ; implicit-def: $vgpr4
.LBB31_116:
	s_andn2_saveexec_b64 s[8:9], s[8:9]
; %bb.117:
	s_mov_b32 s10, 0x7f800000
	v_mov_b32_e32 v3, 0x7c
	v_mov_b32_e32 v5, 0x7f
	v_cmp_lt_u32_e32 vcc, s10, v4
	v_cndmask_b32_e32 v3, v3, v5, vcc
; %bb.118:
	s_or_b64 exec, exec, s[8:9]
	v_lshrrev_b32_e32 v4, 24, v2
	s_movk_i32 s8, 0x80
	v_and_or_b32 v3, v4, s8, v3
	global_store_byte v[0:1], v3, off
.LBB31_119:
	s_mov_b64 s[10:11], 0
	s_mov_b64 s[8:9], -1
.LBB31_120:
	s_andn2_b64 vcc, exec, s[10:11]
	s_cbranch_vccnz .LBB31_128
; %bb.121:
	v_mov_b32_e32 v3, 14
	v_cmp_gt_i16_sdwa s[12:13], s45, v3 src0_sel:BYTE_0 src1_sel:DWORD
	s_mov_b64 s[10:11], -1
	s_and_b64 vcc, exec, s[12:13]
	s_cbranch_vccz .LBB31_125
; %bb.122:
	v_mov_b32_e32 v3, 15
	v_cmp_eq_u16_sdwa s[10:11], s45, v3 src0_sel:BYTE_0 src1_sel:DWORD
	s_mov_b64 s[0:1], -1
	s_and_b64 vcc, exec, s[10:11]
	s_cbranch_vccz .LBB31_124
; %bb.123:
	v_bfe_u32 v3, v2, 16, 1
	s_movk_i32 s0, 0x7fff
	v_add3_u32 v3, v2, v3, s0
	v_lshrrev_b32_e32 v3, 16, v3
	v_mov_b32_e32 v4, 0x7fc0
	v_cmp_o_f32_e32 vcc, v2, v2
	v_cndmask_b32_e32 v3, v4, v3, vcc
	global_store_short v[0:1], v3, off
	s_mov_b64 s[8:9], -1
	s_mov_b64 s[0:1], 0
.LBB31_124:
	s_mov_b64 s[10:11], 0
.LBB31_125:
	s_and_b64 vcc, exec, s[10:11]
	s_cbranch_vccz .LBB31_128
; %bb.126:
	v_mov_b32_e32 v3, 11
	v_cmp_eq_u16_sdwa s[10:11], s45, v3 src0_sel:BYTE_0 src1_sel:DWORD
	s_mov_b64 s[0:1], -1
	s_and_b64 vcc, exec, s[10:11]
	s_cbranch_vccz .LBB31_128
; %bb.127:
	v_cmp_neq_f32_e32 vcc, 0, v2
	v_cndmask_b32_e64 v3, 0, 1, vcc
	s_mov_b64 s[8:9], -1
	s_mov_b64 s[0:1], 0
	global_store_byte v[0:1], v3, off
.LBB31_128:
	s_branch .LBB31_47
.LBB31_129:
	v_mov_b32_e32 v3, 5
	v_cmp_lt_i16_sdwa s[10:11], s45, v3 src0_sel:BYTE_0 src1_sel:DWORD
	s_mov_b64 s[8:9], -1
	s_and_b64 vcc, exec, s[10:11]
	s_cbranch_vccnz .LBB31_150
; %bb.130:
	v_mov_b32_e32 v3, 8
	v_cmp_lt_i16_sdwa s[10:11], s45, v3 src0_sel:BYTE_0 src1_sel:DWORD
	s_and_b64 vcc, exec, s[10:11]
	s_cbranch_vccnz .LBB31_140
; %bb.131:
	v_mov_b32_e32 v3, 9
	v_cmp_lt_i16_sdwa s[10:11], s45, v3 src0_sel:BYTE_0 src1_sel:DWORD
	s_and_b64 vcc, exec, s[10:11]
	s_cbranch_vccnz .LBB31_137
; %bb.132:
	v_cmp_gt_i16_sdwa s[10:11], s45, v3 src0_sel:BYTE_0 src1_sel:DWORD
	s_and_b64 vcc, exec, s[10:11]
	s_cbranch_vccz .LBB31_134
; %bb.133:
	v_mov_b32_e32 v10, 0
	v_cvt_f64_f32_e32 v[8:9], v2
	v_mov_b32_e32 v11, v10
	global_store_dwordx4 v[0:1], v[8:11], off
	s_mov_b64 s[8:9], 0
.LBB31_134:
	s_andn2_b64 vcc, exec, s[8:9]
	s_cbranch_vccnz .LBB31_136
; %bb.135:
	v_mov_b32_e32 v3, 0
	global_store_dwordx2 v[0:1], v[2:3], off
.LBB31_136:
	s_mov_b64 s[8:9], 0
.LBB31_137:
	s_andn2_b64 vcc, exec, s[8:9]
	s_cbranch_vccnz .LBB31_139
; %bb.138:
	v_cvt_f16_f32_e32 v3, v2
	global_store_dword v[0:1], v3, off
.LBB31_139:
	s_mov_b64 s[8:9], 0
.LBB31_140:
	s_andn2_b64 vcc, exec, s[8:9]
	s_cbranch_vccnz .LBB31_149
; %bb.141:
	v_mov_b32_e32 v3, 6
	v_cmp_lt_i16_sdwa s[10:11], s45, v3 src0_sel:BYTE_0 src1_sel:DWORD
	s_mov_b64 s[8:9], -1
	s_and_b64 vcc, exec, s[10:11]
	s_cbranch_vccnz .LBB31_147
; %bb.142:
	v_cmp_gt_i16_sdwa s[10:11], s45, v3 src0_sel:BYTE_0 src1_sel:DWORD
	s_and_b64 vcc, exec, s[10:11]
	s_cbranch_vccz .LBB31_144
; %bb.143:
	v_cvt_f64_f32_e32 v[4:5], v2
	global_store_dwordx2 v[0:1], v[4:5], off
	s_mov_b64 s[8:9], 0
.LBB31_144:
	s_andn2_b64 vcc, exec, s[8:9]
	s_cbranch_vccnz .LBB31_146
; %bb.145:
	global_store_dword v[0:1], v2, off
.LBB31_146:
	s_mov_b64 s[8:9], 0
.LBB31_147:
	s_andn2_b64 vcc, exec, s[8:9]
	s_cbranch_vccnz .LBB31_149
; %bb.148:
	v_cvt_f16_f32_e32 v3, v2
	global_store_short v[0:1], v3, off
.LBB31_149:
	s_mov_b64 s[8:9], 0
.LBB31_150:
	s_andn2_b64 vcc, exec, s[8:9]
	s_cbranch_vccnz .LBB31_166
; %bb.151:
	v_mov_b32_e32 v3, 2
	v_cmp_lt_i16_sdwa s[10:11], s45, v3 src0_sel:BYTE_0 src1_sel:DWORD
	s_mov_b64 s[8:9], -1
	s_and_b64 vcc, exec, s[10:11]
	s_cbranch_vccnz .LBB31_161
; %bb.152:
	v_mov_b32_e32 v3, 3
	v_cmp_lt_i16_sdwa s[10:11], s45, v3 src0_sel:BYTE_0 src1_sel:DWORD
	s_and_b64 vcc, exec, s[10:11]
	s_cbranch_vccnz .LBB31_158
; %bb.153:
	v_cmp_gt_i16_sdwa s[10:11], s45, v3 src0_sel:BYTE_0 src1_sel:DWORD
	s_and_b64 vcc, exec, s[10:11]
	s_cbranch_vccz .LBB31_155
; %bb.154:
	v_trunc_f32_e32 v3, v2
	s_mov_b32 s8, 0x2f800000
	v_mul_f32_e64 v4, |v3|, s8
	v_floor_f32_e32 v4, v4
	s_mov_b32 s8, 0xcf800000
	v_cvt_u32_f32_e32 v5, v4
	v_fma_f32 v4, v4, s8, |v3|
	v_cvt_u32_f32_e32 v4, v4
	v_ashrrev_i32_e32 v3, 31, v3
	v_xor_b32_e32 v5, v5, v3
	s_mov_b64 s[8:9], 0
	v_xor_b32_e32 v4, v4, v3
	v_sub_co_u32_e32 v4, vcc, v4, v3
	v_subb_co_u32_e32 v5, vcc, v5, v3, vcc
	global_store_dwordx2 v[0:1], v[4:5], off
.LBB31_155:
	s_andn2_b64 vcc, exec, s[8:9]
	s_cbranch_vccnz .LBB31_157
; %bb.156:
	v_cvt_i32_f32_e32 v3, v2
	global_store_dword v[0:1], v3, off
.LBB31_157:
	s_mov_b64 s[8:9], 0
.LBB31_158:
	s_andn2_b64 vcc, exec, s[8:9]
	s_cbranch_vccnz .LBB31_160
; %bb.159:
	v_cvt_i32_f32_e32 v3, v2
	global_store_short v[0:1], v3, off
.LBB31_160:
	s_mov_b64 s[8:9], 0
.LBB31_161:
	s_andn2_b64 vcc, exec, s[8:9]
	s_cbranch_vccnz .LBB31_166
; %bb.162:
	v_mov_b32_e32 v3, 0
	v_cmp_gt_i16_sdwa s[10:11], s45, v3 src0_sel:BYTE_0 src1_sel:DWORD
	s_mov_b64 s[8:9], -1
	s_and_b64 vcc, exec, s[10:11]
	s_cbranch_vccz .LBB31_164
; %bb.163:
	v_cvt_i32_f32_e32 v3, v2
	s_mov_b64 s[8:9], 0
	global_store_byte v[0:1], v3, off
.LBB31_164:
	s_andn2_b64 vcc, exec, s[8:9]
	s_cbranch_vccnz .LBB31_166
; %bb.165:
	v_trunc_f32_e32 v2, v2
	s_mov_b32 s8, 0x2f800000
	v_mul_f32_e64 v3, |v2|, s8
	v_floor_f32_e32 v3, v3
	s_mov_b32 s8, 0xcf800000
	v_fma_f32 v3, v3, s8, |v2|
	v_cvt_u32_f32_e32 v3, v3
	v_ashrrev_i32_e32 v2, 31, v2
	v_xor_b32_e32 v3, v3, v2
	v_sub_u32_e32 v2, v3, v2
	global_store_byte v[0:1], v2, off
.LBB31_166:
.LBB31_167:
	v_add_u32_e32 v12, 0x80, v12
	s_mov_b64 s[8:9], -1
	s_branch .LBB31_278
.LBB31_168:
	s_mov_b64 s[2:3], -1
                                        ; implicit-def: $vgpr1
.LBB31_169:
	s_mov_b64 s[8:9], 0
.LBB31_170:
	s_and_b64 vcc, exec, s[8:9]
	s_cbranch_vccz .LBB31_174
; %bb.171:
	v_cmp_eq_u16_e32 vcc, 29, v6
	s_cbranch_vccz .LBB31_173
; %bb.172:
	global_load_dwordx2 v[4:5], v[2:3], off
	s_mov_b64 s[0:1], -1
	s_mov_b64 s[2:3], 0
	s_mov_b64 s[8:9], 0
	s_waitcnt vmcnt(0)
	v_ffbh_u32_e32 v1, v5
	v_min_u32_e32 v1, 32, v1
	v_lshlrev_b64 v[4:5], v1, v[4:5]
	v_min_u32_e32 v4, 1, v4
	v_or_b32_e32 v4, v5, v4
	v_cvt_f32_u32_e32 v4, v4
	v_sub_u32_e32 v1, 32, v1
	v_ldexp_f32 v1, v4, v1
	s_branch .LBB31_175
.LBB31_173:
	s_mov_b64 s[2:3], -1
                                        ; implicit-def: $vgpr1
.LBB31_174:
	s_mov_b64 s[8:9], 0
.LBB31_175:
	s_and_b64 vcc, exec, s[8:9]
	s_cbranch_vccz .LBB31_193
; %bb.176:
	v_cmp_gt_i16_e32 vcc, 27, v6
	s_cbranch_vccnz .LBB31_179
; %bb.177:
	v_cmp_lt_i16_e32 vcc, 27, v6
	s_cbranch_vccz .LBB31_180
; %bb.178:
	global_load_dword v1, v[2:3], off
	s_mov_b64 s[0:1], 0
	s_waitcnt vmcnt(0)
	v_cvt_f32_u32_e32 v1, v1
	s_branch .LBB31_181
.LBB31_179:
	s_mov_b64 s[0:1], -1
                                        ; implicit-def: $vgpr1
	s_branch .LBB31_184
.LBB31_180:
	s_mov_b64 s[0:1], -1
                                        ; implicit-def: $vgpr1
.LBB31_181:
	s_andn2_b64 vcc, exec, s[0:1]
	s_cbranch_vccnz .LBB31_183
; %bb.182:
	global_load_ushort v1, v[2:3], off
	s_waitcnt vmcnt(0)
	v_cvt_f32_u32_e32 v1, v1
.LBB31_183:
	s_mov_b64 s[0:1], 0
.LBB31_184:
	s_andn2_b64 vcc, exec, s[0:1]
	s_cbranch_vccnz .LBB31_192
; %bb.185:
	global_load_ubyte v4, v[2:3], off
	s_movk_i32 s0, 0x7f
                                        ; implicit-def: $sgpr12
	s_waitcnt vmcnt(0)
	v_cmp_lt_i16_e32 vcc, s0, v4
	s_mov_b64 s[0:1], 0
	s_and_saveexec_b64 s[8:9], vcc
	s_xor_b64 s[8:9], exec, s[8:9]
	s_cbranch_execz .LBB31_205
; %bb.186:
	s_movk_i32 s0, 0x80
	v_cmp_eq_u16_e32 vcc, s0, v4
	s_mov_b64 s[0:1], -1
                                        ; implicit-def: $sgpr12
	s_and_saveexec_b64 s[10:11], vcc
; %bb.187:
	s_mov_b32 s12, 0x7f800001
	s_xor_b64 s[0:1], exec, -1
; %bb.188:
	s_or_b64 exec, exec, s[10:11]
	s_and_b64 s[0:1], s[0:1], exec
	s_or_saveexec_b64 s[8:9], s[8:9]
	v_mov_b32_e32 v1, s12
	s_xor_b64 exec, exec, s[8:9]
	s_cbranch_execnz .LBB31_206
.LBB31_189:
	s_or_b64 exec, exec, s[8:9]
	s_and_saveexec_b64 s[8:9], s[0:1]
	s_cbranch_execz .LBB31_191
.LBB31_190:
	v_lshlrev_b32_e32 v1, 24, v4
	v_and_b32_e32 v4, 0xffff, v4
	v_and_b32_e32 v5, 7, v4
	v_ffbh_u32_e32 v8, v5
	v_min_u32_e32 v8, 32, v8
	v_subrev_u32_e32 v9, 28, v8
	v_bfe_u32 v7, v4, 3, 4
	v_lshlrev_b32_e32 v4, v9, v4
	v_sub_u32_e32 v8, 29, v8
	v_and_b32_e32 v4, 7, v4
	v_cmp_eq_u32_e32 vcc, 0, v7
	v_cndmask_b32_e32 v7, v7, v8, vcc
	v_cndmask_b32_e32 v4, v5, v4, vcc
	v_mov_b32_e32 v5, 0x3b800000
	v_lshlrev_b32_e32 v4, 20, v4
	v_and_b32_e32 v1, 0x80000000, v1
	v_lshl_add_u32 v5, v7, 23, v5
	v_or3_b32 v1, v1, v5, v4
.LBB31_191:
	s_or_b64 exec, exec, s[8:9]
.LBB31_192:
	s_mov_b64 s[0:1], -1
.LBB31_193:
	s_branch .LBB31_228
.LBB31_194:
	v_cmp_lt_i16_e32 vcc, 22, v6
	s_cbranch_vccz .LBB31_204
; %bb.195:
	v_cmp_gt_i16_e32 vcc, 24, v6
	s_cbranch_vccnz .LBB31_207
; %bb.196:
	v_cmp_lt_i16_e32 vcc, 24, v6
	s_cbranch_vccz .LBB31_208
; %bb.197:
	global_load_ubyte v4, v[2:3], off
	s_movk_i32 s0, 0x7f
                                        ; implicit-def: $sgpr12
	s_waitcnt vmcnt(0)
	v_cmp_lt_i16_e32 vcc, s0, v4
	s_mov_b64 s[0:1], 0
	s_and_saveexec_b64 s[8:9], vcc
	s_xor_b64 s[8:9], exec, s[8:9]
	s_cbranch_execz .LBB31_220
; %bb.198:
	s_movk_i32 s0, 0x80
	v_cmp_eq_u16_e32 vcc, s0, v4
	s_mov_b64 s[0:1], -1
                                        ; implicit-def: $sgpr12
	s_and_saveexec_b64 s[10:11], vcc
; %bb.199:
	s_mov_b32 s12, 0x7f800001
	s_xor_b64 s[0:1], exec, -1
; %bb.200:
	s_or_b64 exec, exec, s[10:11]
	s_and_b64 s[0:1], s[0:1], exec
	s_or_saveexec_b64 s[8:9], s[8:9]
	v_mov_b32_e32 v1, s12
	s_xor_b64 exec, exec, s[8:9]
	s_cbranch_execnz .LBB31_221
.LBB31_201:
	s_or_b64 exec, exec, s[8:9]
	s_and_saveexec_b64 s[8:9], s[0:1]
	s_cbranch_execz .LBB31_203
.LBB31_202:
	v_lshlrev_b32_e32 v1, 24, v4
	v_and_b32_e32 v4, 0xffff, v4
	v_and_b32_e32 v5, 3, v4
	v_ffbh_u32_e32 v8, v5
	v_min_u32_e32 v8, 32, v8
	v_subrev_u32_e32 v9, 29, v8
	v_bfe_u32 v7, v4, 2, 5
	v_lshlrev_b32_e32 v4, v9, v4
	v_sub_u32_e32 v8, 30, v8
	v_and_b32_e32 v4, 3, v4
	v_cmp_eq_u32_e32 vcc, 0, v7
	v_cndmask_b32_e32 v7, v7, v8, vcc
	v_cndmask_b32_e32 v4, v5, v4, vcc
	v_mov_b32_e32 v5, 0x37800000
	v_lshlrev_b32_e32 v4, 21, v4
	v_and_b32_e32 v1, 0x80000000, v1
	v_lshl_add_u32 v5, v7, 23, v5
	v_or3_b32 v1, v1, v5, v4
.LBB31_203:
	s_or_b64 exec, exec, s[8:9]
	s_mov_b64 s[0:1], 0
	s_branch .LBB31_209
.LBB31_204:
	s_mov_b64 s[8:9], -1
                                        ; implicit-def: $vgpr1
	s_branch .LBB31_215
.LBB31_205:
	s_or_saveexec_b64 s[8:9], s[8:9]
	v_mov_b32_e32 v1, s12
	s_xor_b64 exec, exec, s[8:9]
	s_cbranch_execz .LBB31_189
.LBB31_206:
	v_cmp_ne_u16_e32 vcc, 0, v4
	s_andn2_b64 s[0:1], s[0:1], exec
	s_and_b64 s[10:11], vcc, exec
	v_mov_b32_e32 v1, 0
	s_or_b64 s[0:1], s[0:1], s[10:11]
	s_or_b64 exec, exec, s[8:9]
	s_and_saveexec_b64 s[8:9], s[0:1]
	s_cbranch_execnz .LBB31_190
	s_branch .LBB31_191
.LBB31_207:
	s_mov_b64 s[0:1], -1
                                        ; implicit-def: $vgpr1
	s_branch .LBB31_212
.LBB31_208:
	s_mov_b64 s[0:1], -1
                                        ; implicit-def: $vgpr1
.LBB31_209:
	s_and_b64 vcc, exec, s[0:1]
	s_cbranch_vccz .LBB31_211
; %bb.210:
	global_load_ubyte v1, v[2:3], off
	s_mov_b32 s0, 0x7f800000
	s_waitcnt vmcnt(0)
	v_lshlrev_b32_e32 v1, 24, v1
	v_and_b32_e32 v4, 0x7f000000, v1
	v_ffbh_u32_e32 v5, v4
	v_min_u32_e32 v5, 32, v5
	v_sub_u32_e64 v5, v5, 4 clamp
	v_lshlrev_b32_e32 v8, v5, v4
	v_lshlrev_b32_e32 v5, 23, v5
	v_lshrrev_b32_e32 v8, 4, v8
	v_add_u32_e32 v7, 0x1000000, v4
	v_sub_u32_e32 v5, v8, v5
	v_ashrrev_i32_e32 v7, 8, v7
	v_add_u32_e32 v5, 0x3c000000, v5
	v_and_or_b32 v5, v7, s0, v5
	v_cmp_ne_u32_e32 vcc, 0, v4
	v_cndmask_b32_e32 v4, 0, v5, vcc
	s_brev_b32 s0, 1
	v_and_or_b32 v1, v1, s0, v4
.LBB31_211:
	s_mov_b64 s[0:1], 0
.LBB31_212:
	s_andn2_b64 vcc, exec, s[0:1]
	s_cbranch_vccnz .LBB31_214
; %bb.213:
	global_load_ubyte v1, v[2:3], off
	s_movk_i32 s0, 0x7f00
	s_brev_b32 s1, 16
	s_waitcnt vmcnt(0)
	v_lshlrev_b16_e32 v4, 8, v1
	v_lshlrev_b32_e32 v1, 25, v1
	v_lshrrev_b32_e32 v5, 4, v1
	v_and_or_b32 v7, v4, s0, 0.5
	v_or_b32_e32 v5, 0x70000000, v5
	v_add_f32_e32 v7, -0.5, v7
	v_mul_f32_e32 v5, 0x7800000, v5
	v_cmp_gt_u32_e32 vcc, s1, v1
	v_bfe_i32 v4, v4, 0, 16
	v_cndmask_b32_e32 v1, v5, v7, vcc
	s_brev_b32 s0, 1
	v_and_or_b32 v1, v4, s0, v1
.LBB31_214:
	s_mov_b64 s[8:9], 0
	s_mov_b64 s[0:1], -1
.LBB31_215:
	s_andn2_b64 vcc, exec, s[8:9]
	s_cbranch_vccnz .LBB31_228
; %bb.216:
	v_cmp_lt_i16_e32 vcc, 14, v6
	s_cbranch_vccz .LBB31_219
; %bb.217:
	v_cmp_eq_u16_e32 vcc, 15, v6
	s_cbranch_vccz .LBB31_222
; %bb.218:
	global_load_ushort v1, v[2:3], off
	s_mov_b64 s[0:1], -1
	s_mov_b64 s[2:3], 0
	s_waitcnt vmcnt(0)
	v_lshlrev_b32_e32 v1, 16, v1
	s_branch .LBB31_223
.LBB31_219:
	s_mov_b64 s[8:9], -1
                                        ; implicit-def: $vgpr1
	s_branch .LBB31_224
.LBB31_220:
	s_or_saveexec_b64 s[8:9], s[8:9]
	v_mov_b32_e32 v1, s12
	s_xor_b64 exec, exec, s[8:9]
	s_cbranch_execz .LBB31_201
.LBB31_221:
	v_cmp_ne_u16_e32 vcc, 0, v4
	s_andn2_b64 s[0:1], s[0:1], exec
	s_and_b64 s[10:11], vcc, exec
	v_mov_b32_e32 v1, 0
	s_or_b64 s[0:1], s[0:1], s[10:11]
	s_or_b64 exec, exec, s[8:9]
	s_and_saveexec_b64 s[8:9], s[0:1]
	s_cbranch_execnz .LBB31_202
	s_branch .LBB31_203
.LBB31_222:
	s_mov_b64 s[2:3], -1
                                        ; implicit-def: $vgpr1
.LBB31_223:
	s_mov_b64 s[8:9], 0
.LBB31_224:
	s_and_b64 vcc, exec, s[8:9]
	s_cbranch_vccz .LBB31_228
; %bb.225:
	v_cmp_eq_u16_e32 vcc, 11, v6
	s_cbranch_vccz .LBB31_227
; %bb.226:
	global_load_ubyte v1, v[2:3], off
	s_mov_b64 s[0:1], -1
	s_mov_b64 s[2:3], 0
	s_waitcnt vmcnt(0)
	v_cmp_ne_u16_e32 vcc, 0, v1
	v_cndmask_b32_e64 v1, 0, 1.0, vcc
	s_branch .LBB31_228
.LBB31_227:
	s_mov_b64 s[2:3], -1
                                        ; implicit-def: $vgpr1
.LBB31_228:
	s_branch .LBB31_25
.LBB31_229:
	v_cmp_gt_i16_e32 vcc, 5, v6
	s_cbranch_vccnz .LBB31_234
; %bb.230:
	v_cmp_gt_i16_e32 vcc, 8, v6
	s_cbranch_vccnz .LBB31_235
; %bb.231:
	;; [unrolled: 3-line block ×3, first 2 shown]
	v_cmp_lt_i16_e32 vcc, 9, v6
	s_cbranch_vccz .LBB31_237
; %bb.233:
	global_load_dwordx2 v[4:5], v[2:3], off
	s_mov_b64 s[0:1], 0
	s_waitcnt vmcnt(0)
	v_cvt_f32_f64_e32 v1, v[4:5]
	s_branch .LBB31_238
.LBB31_234:
                                        ; implicit-def: $vgpr1
	s_branch .LBB31_256
.LBB31_235:
	s_mov_b64 s[0:1], -1
                                        ; implicit-def: $vgpr1
	s_branch .LBB31_244
.LBB31_236:
	s_mov_b64 s[0:1], -1
                                        ; implicit-def: $vgpr1
	s_branch .LBB31_241
.LBB31_237:
	s_mov_b64 s[0:1], -1
                                        ; implicit-def: $vgpr1
.LBB31_238:
	s_andn2_b64 vcc, exec, s[0:1]
	s_cbranch_vccnz .LBB31_240
; %bb.239:
	global_load_dword v1, v[2:3], off
.LBB31_240:
	s_mov_b64 s[0:1], 0
.LBB31_241:
	s_andn2_b64 vcc, exec, s[0:1]
	s_cbranch_vccnz .LBB31_243
; %bb.242:
	global_load_dword v1, v[2:3], off
	s_waitcnt vmcnt(0)
	v_cvt_f32_f16_e32 v1, v1
.LBB31_243:
	s_mov_b64 s[0:1], 0
.LBB31_244:
	s_andn2_b64 vcc, exec, s[0:1]
	s_cbranch_vccnz .LBB31_255
; %bb.245:
	v_cmp_gt_i16_e32 vcc, 6, v6
	s_cbranch_vccnz .LBB31_248
; %bb.246:
	v_cmp_lt_i16_e32 vcc, 6, v6
	s_cbranch_vccz .LBB31_249
; %bb.247:
	global_load_dwordx2 v[4:5], v[2:3], off
	s_mov_b64 s[0:1], 0
	s_waitcnt vmcnt(0)
	v_cvt_f32_f64_e32 v1, v[4:5]
	s_branch .LBB31_250
.LBB31_248:
	s_mov_b64 s[0:1], -1
                                        ; implicit-def: $vgpr1
	s_branch .LBB31_253
.LBB31_249:
	s_mov_b64 s[0:1], -1
                                        ; implicit-def: $vgpr1
.LBB31_250:
	s_andn2_b64 vcc, exec, s[0:1]
	s_cbranch_vccnz .LBB31_252
; %bb.251:
	global_load_dword v1, v[2:3], off
.LBB31_252:
	s_mov_b64 s[0:1], 0
.LBB31_253:
	s_andn2_b64 vcc, exec, s[0:1]
	s_cbranch_vccnz .LBB31_255
; %bb.254:
	global_load_ushort v1, v[2:3], off
	s_waitcnt vmcnt(0)
	v_cvt_f32_f16_e32 v1, v1
.LBB31_255:
	s_cbranch_execnz .LBB31_275
.LBB31_256:
	v_cmp_gt_i16_e32 vcc, 2, v6
	s_cbranch_vccnz .LBB31_260
; %bb.257:
	v_cmp_gt_i16_e32 vcc, 3, v6
	s_cbranch_vccnz .LBB31_261
; %bb.258:
	v_cmp_lt_i16_e32 vcc, 3, v6
	s_cbranch_vccz .LBB31_262
; %bb.259:
	global_load_dwordx2 v[4:5], v[2:3], off
	s_mov_b64 s[0:1], 0
	s_waitcnt vmcnt(0)
	v_xor_b32_e32 v7, v4, v5
	v_ffbh_i32_e32 v1, v5
	v_ashrrev_i32_e32 v7, 31, v7
	v_add_u32_e32 v1, -1, v1
	v_add_u32_e32 v7, 32, v7
	v_min_u32_e32 v1, v1, v7
	v_lshlrev_b64 v[4:5], v1, v[4:5]
	v_min_u32_e32 v4, 1, v4
	v_or_b32_e32 v4, v5, v4
	v_cvt_f32_i32_e32 v4, v4
	v_sub_u32_e32 v1, 32, v1
	v_ldexp_f32 v1, v4, v1
	s_branch .LBB31_263
.LBB31_260:
	s_mov_b64 s[0:1], -1
                                        ; implicit-def: $vgpr1
	s_branch .LBB31_269
.LBB31_261:
	s_mov_b64 s[0:1], -1
                                        ; implicit-def: $vgpr1
	s_branch .LBB31_266
.LBB31_262:
	s_mov_b64 s[0:1], -1
                                        ; implicit-def: $vgpr1
.LBB31_263:
	s_andn2_b64 vcc, exec, s[0:1]
	s_cbranch_vccnz .LBB31_265
; %bb.264:
	global_load_dword v1, v[2:3], off
	s_waitcnt vmcnt(0)
	v_cvt_f32_i32_e32 v1, v1
.LBB31_265:
	s_mov_b64 s[0:1], 0
.LBB31_266:
	s_andn2_b64 vcc, exec, s[0:1]
	s_cbranch_vccnz .LBB31_268
; %bb.267:
	global_load_sshort v1, v[2:3], off
	s_waitcnt vmcnt(0)
	v_cvt_f32_i32_e32 v1, v1
.LBB31_268:
	s_mov_b64 s[0:1], 0
.LBB31_269:
	s_andn2_b64 vcc, exec, s[0:1]
	s_cbranch_vccnz .LBB31_275
; %bb.270:
	v_cmp_lt_i16_e32 vcc, 0, v6
	s_cbranch_vccz .LBB31_272
; %bb.271:
	global_load_sbyte v1, v[2:3], off
	s_mov_b64 s[0:1], 0
	s_waitcnt vmcnt(0)
	v_cvt_f32_i32_e32 v1, v1
	s_branch .LBB31_273
.LBB31_272:
	s_mov_b64 s[0:1], -1
                                        ; implicit-def: $vgpr1
.LBB31_273:
	s_andn2_b64 vcc, exec, s[0:1]
	s_cbranch_vccnz .LBB31_275
; %bb.274:
	global_load_ubyte v1, v[2:3], off
	s_waitcnt vmcnt(0)
	v_cvt_f32_ubyte0_e32 v1, v1
.LBB31_275:
	s_branch .LBB31_26
.LBB31_276:
	s_mov_b64 s[0:1], 0
.LBB31_277:
	s_mov_b64 s[8:9], 0
                                        ; implicit-def: $vgpr12
.LBB31_278:
	s_and_b64 s[54:55], s[0:1], exec
	s_and_b64 s[56:57], s[2:3], exec
	s_orn2_b64 s[2:3], s[8:9], exec
.LBB31_279:
	s_or_b64 exec, exec, s[58:59]
	s_mov_b64 s[10:11], 0
	s_mov_b64 s[0:1], 0
                                        ; implicit-def: $vgpr2_vgpr3
                                        ; implicit-def: $vgpr0
                                        ; implicit-def: $vgpr7
	s_and_saveexec_b64 s[58:59], s[2:3]
	s_cbranch_execz .LBB31_287
; %bb.280:
	v_cmp_gt_i32_e32 vcc, s74, v12
	s_mov_b64 s[0:1], -1
	s_mov_b64 s[60:61], s[56:57]
	s_mov_b64 s[62:63], s[54:55]
	s_and_saveexec_b64 s[64:65], vcc
	s_cbranch_execz .LBB31_568
; %bb.281:
	s_andn2_b64 vcc, exec, s[40:41]
	s_cbranch_vccnz .LBB31_290
; %bb.282:
	s_mov_b32 s60, 0
	s_andn2_b64 vcc, exec, s[52:53]
	v_mov_b32_e32 v2, 0
	v_mov_b32_e32 v0, 0
	s_cbranch_vccnz .LBB31_296
; %bb.283:
	s_add_i32 s68, s75, 1
	s_cmp_eq_u32 s76, 2
	s_cbranch_scc1 .LBB31_291
; %bb.284:
	s_and_b32 s60, s68, 28
	s_mov_b32 s61, 0
	v_mov_b32_e32 v0, 0
	s_mov_b64 s[62:63], s[34:35]
	s_mov_b64 s[66:67], s[50:51]
	v_mov_b32_e32 v3, v12
	v_mov_b32_e32 v2, 0
.LBB31_285:                             ; =>This Inner Loop Header: Depth=1
	s_load_dwordx8 s[16:23], s[62:63], 0x4
	s_load_dwordx4 s[0:3], s[62:63], 0x24
	s_load_dwordx8 s[8:15], s[66:67], 0x0
	s_add_u32 s62, s62, 48
	s_addc_u32 s63, s63, 0
	s_waitcnt vmcnt(0) lgkmcnt(0)
	v_mul_hi_u32 v1, s17, v3
	v_add_u32_e32 v1, v3, v1
	v_lshrrev_b32_e32 v1, s18, v1
	v_mul_lo_u32 v4, v1, s16
	v_mul_hi_u32 v5, s20, v1
	v_sub_u32_e32 v3, v3, v4
	v_add_u32_e32 v4, v1, v5
	v_lshrrev_b32_e32 v4, s21, v4
	v_mul_lo_u32 v7, v4, s19
	v_mul_hi_u32 v8, s23, v4
	v_sub_u32_e32 v1, v1, v7
	v_add_u32_e32 v7, v4, v8
	v_mul_lo_u32 v5, v3, s9
	v_mul_lo_u32 v3, v3, s8
	;; [unrolled: 1-line block ×4, first 2 shown]
	v_lshrrev_b32_e32 v7, s0, v7
	v_add3_u32 v0, v3, v0, v1
	v_mul_hi_u32 v3, s2, v7
	v_add_u32_e32 v3, v7, v3
	v_lshrrev_b32_e32 v3, s3, v3
	s_add_i32 s61, s61, 4
	v_add3_u32 v1, v5, v2, v8
	v_mul_lo_u32 v2, v7, s22
	v_mul_lo_u32 v5, v3, s1
	s_add_u32 s66, s66, 32
	v_sub_u32_e32 v2, v4, v2
	v_sub_u32_e32 v5, v7, v5
	s_addc_u32 s67, s67, 0
	v_mul_lo_u32 v4, v2, s12
	v_mul_lo_u32 v2, v2, s13
	;; [unrolled: 1-line block ×4, first 2 shown]
	s_cmp_eq_u32 s60, s61
	v_add3_u32 v2, v2, v1, v5
	v_add3_u32 v0, v4, v0, v7
	s_cbranch_scc0 .LBB31_285
; %bb.286:
	v_mov_b32_e32 v1, v2
	s_branch .LBB31_292
.LBB31_287:
	s_or_b64 exec, exec, s[58:59]
	s_mov_b64 s[2:3], 0
	s_and_saveexec_b64 s[8:9], s[56:57]
	s_cbranch_execnz .LBB31_958
.LBB31_288:
	s_or_b64 exec, exec, s[8:9]
	s_and_saveexec_b64 s[8:9], s[62:63]
	s_xor_b64 s[8:9], exec, s[8:9]
	s_cbranch_execz .LBB31_959
.LBB31_289:
	global_load_ubyte v1, v[2:3], off
	s_or_b64 s[0:1], s[0:1], exec
	s_waitcnt vmcnt(0)
	v_cmp_ne_u16_e32 vcc, 0, v1
	v_cndmask_b32_e64 v7, 0, 1.0, vcc
	s_or_b64 exec, exec, s[8:9]
	s_and_saveexec_b64 s[8:9], s[10:11]
	s_cbranch_execz .LBB31_1005
	s_branch .LBB31_960
.LBB31_290:
                                        ; implicit-def: $vgpr2
                                        ; implicit-def: $vgpr0
	s_andn2_b64 vcc, exec, s[0:1]
	s_cbranch_vccz .LBB31_297
	s_branch .LBB31_299
.LBB31_291:
	s_mov_b32 s61, s60
	s_waitcnt vmcnt(0)
	v_pk_mov_b32 v[0:1], s[60:61], s[60:61] op_sel:[0,1]
                                        ; implicit-def: $vgpr2
	v_mov_b32_e32 v3, v12
.LBB31_292:
	s_and_b32 s8, s68, 3
	s_cmp_eq_u32 s8, 0
	s_cbranch_scc1 .LBB31_296
; %bb.293:
	s_lshl_b32 s0, s60, 3
	s_add_u32 s0, s0, s34
	s_addc_u32 s1, s35, 0
	s_add_u32 s0, s0, 0xc4
	s_addc_u32 s1, s1, 0
	s_mul_i32 s2, s60, 12
	s_add_u32 s2, s34, s2
	s_addc_u32 s3, s35, 0
.LBB31_294:                             ; =>This Inner Loop Header: Depth=1
	s_load_dwordx2 s[10:11], s[2:3], 0x4
	s_load_dword s9, s[2:3], 0xc
	s_load_dwordx2 s[12:13], s[0:1], 0x0
	v_mov_b32_e32 v2, v1
	s_add_u32 s2, s2, 12
	s_waitcnt lgkmcnt(0)
	v_mul_hi_u32 v1, s11, v3
	v_add_u32_e32 v1, v3, v1
	v_lshrrev_b32_e32 v1, s9, v1
	s_addc_u32 s3, s3, 0
	v_mul_lo_u32 v4, v1, s10
	s_add_u32 s0, s0, 8
	v_sub_u32_e32 v7, v3, v4
	v_mov_b32_e32 v3, v1
	s_addc_u32 s1, s1, 0
	s_add_i32 s8, s8, -1
	v_mad_u64_u32 v[4:5], s[10:11], v7, s13, v[2:3]
	v_mad_u64_u32 v[0:1], s[10:11], v7, s12, v[0:1]
	s_cmp_lg_u32 s8, 0
	v_mov_b32_e32 v1, v4
	s_cbranch_scc1 .LBB31_294
; %bb.295:
	v_mov_b32_e32 v2, v1
.LBB31_296:
	s_cbranch_execnz .LBB31_299
.LBB31_297:
	v_mul_hi_u32 v0, s29, v12
	v_add_u32_e32 v0, v12, v0
	s_waitcnt vmcnt(0)
	v_lshrrev_b32_e32 v1, s30, v0
	v_mul_lo_u32 v0, v1, s28
	v_sub_u32_e32 v0, v12, v0
	v_mul_lo_u32 v2, v0, s37
	s_andn2_b64 vcc, exec, s[48:49]
	v_mul_lo_u32 v0, v0, s36
	s_cbranch_vccnz .LBB31_299
; %bb.298:
	v_mul_hi_u32 v3, s46, v1
	v_add_u32_e32 v3, v1, v3
	v_lshrrev_b32_e32 v3, s47, v3
	v_mul_lo_u32 v3, v3, s31
	v_sub_u32_e32 v3, v1, v3
	v_mad_u64_u32 v[0:1], s[0:1], v3, s38, v[0:1]
	v_mad_u64_u32 v[2:3], s[0:1], v3, s39, v[2:3]
.LBB31_299:
	s_waitcnt vmcnt(0)
	v_mov_b32_e32 v1, s27
	v_add_co_u32_e32 v2, vcc, s26, v2
	v_addc_co_u32_e32 v3, vcc, 0, v1, vcc
	v_cmp_gt_i16_e32 vcc, 11, v6
	s_cbranch_vccnz .LBB31_306
; %bb.300:
	v_cmp_lt_i16_e32 vcc, 25, v6
	s_cbranch_vccz .LBB31_327
; %bb.301:
	v_cmp_lt_i16_e32 vcc, 28, v6
	s_cbranch_vccz .LBB31_329
	;; [unrolled: 3-line block ×4, first 2 shown]
; %bb.304:
	v_cmp_eq_u16_e32 vcc, 46, v6
	s_mov_b64 s[8:9], 0
	s_cbranch_vccz .LBB31_339
; %bb.305:
	global_load_dword v1, v[2:3], off
	s_mov_b64 s[0:1], -1
	s_mov_b64 s[2:3], 0
	s_waitcnt vmcnt(0)
	v_lshlrev_b32_e32 v1, 16, v1
	s_branch .LBB31_340
.LBB31_306:
	s_mov_b64 s[0:1], 0
                                        ; implicit-def: $vgpr1
	s_mov_b64 s[2:3], s[56:57]
	s_cbranch_execnz .LBB31_517
.LBB31_307:
	s_andn2_b64 vcc, exec, s[0:1]
	s_cbranch_vccnz .LBB31_565
.LBB31_308:
	s_waitcnt vmcnt(0)
	v_trunc_f32_e32 v1, v1
	s_mov_b32 s0, 0x2f800000
	v_mul_f32_e64 v2, |v1|, s0
	v_floor_f32_e32 v2, v2
	s_mov_b32 s0, 0xcf800000
	v_cvt_u32_f32_e32 v3, v2
	v_fma_f32 v2, v2, s0, |v1|
	v_cvt_u32_f32_e32 v2, v2
	v_ashrrev_i32_e32 v1, 31, v1
	v_xor_b32_e32 v3, v3, v1
	v_xor_b32_e32 v2, v2, v1
	v_sub_co_u32_e32 v4, vcc, v2, v1
	v_subb_co_u32_e32 v5, vcc, v3, v1, vcc
	v_cmp_lt_i64_e32 vcc, -1, v[4:5]
	v_mov_b32_e32 v2, 0
	s_and_saveexec_b64 s[0:1], vcc
	s_cbranch_execz .LBB31_320
; %bb.309:
	v_cmp_lt_i64_e32 vcc, 0, v[4:5]
	v_mov_b32_e32 v2, 1.0
	s_and_saveexec_b64 s[8:9], vcc
	s_cbranch_execz .LBB31_319
; %bb.310:
	v_cmp_ne_u64_e32 vcc, 1, v[4:5]
                                        ; implicit-def: $vgpr2
	s_and_saveexec_b64 s[10:11], vcc
	s_xor_b64 s[10:11], exec, s[10:11]
	s_cbranch_execz .LBB31_316
; %bb.311:
	s_mov_b64 s[12:13], 0x81
	v_cmp_gt_u64_e32 vcc, s[12:13], v[4:5]
	v_mov_b32_e32 v2, 0x7fc00000
	s_and_saveexec_b64 s[12:13], vcc
	s_cbranch_execz .LBB31_315
; %bb.312:
	s_mov_b64 s[16:17], 1
	s_mov_b64 s[14:15], 0
	v_mov_b32_e32 v2, s44
	v_mov_b32_e32 v1, 1.0
.LBB31_313:                             ; =>This Inner Loop Header: Depth=1
	s_flbit_i32_b32 s18, s17
	s_min_u32 s20, s18, 32
	s_lshl_b64 s[18:19], s[16:17], s20
	s_min_u32 s18, s18, 1
	s_or_b32 s18, s19, s18
	v_cvt_f32_u32_e32 v3, s18
	s_sub_i32 s20, 32, s20
	s_add_u32 s16, s16, 1
	s_addc_u32 s17, s17, 0
	v_ldexp_f32 v3, v3, s20
	v_cmp_eq_u64_e32 vcc, s[16:17], v[4:5]
	v_mul_f32_e32 v3, v1, v3
	s_or_b64 s[14:15], vcc, s[14:15]
	v_mov_b32_e32 v1, v2
	v_fma_f32 v2, s44, v2, -v3
	s_andn2_b64 exec, exec, s[14:15]
	s_cbranch_execnz .LBB31_313
; %bb.314:
	s_or_b64 exec, exec, s[14:15]
.LBB31_315:
	s_or_b64 exec, exec, s[12:13]
.LBB31_316:
	s_andn2_saveexec_b64 s[10:11], s[10:11]
; %bb.317:
	v_mov_b32_e32 v2, s44
; %bb.318:
	s_or_b64 exec, exec, s[10:11]
.LBB31_319:
	s_or_b64 exec, exec, s[8:9]
.LBB31_320:
	s_or_b64 exec, exec, s[0:1]
	v_mov_b32_e32 v1, s25
	v_add_co_u32_e32 v0, vcc, s24, v0
	v_mov_b32_e32 v3, 11
	v_addc_co_u32_e32 v1, vcc, 0, v1, vcc
	v_cmp_lt_i16_sdwa s[0:1], s45, v3 src0_sel:BYTE_0 src1_sel:DWORD
	s_and_b64 vcc, exec, s[0:1]
	s_cbranch_vccnz .LBB31_328
; %bb.321:
	v_mov_b32_e32 v3, 25
	v_cmp_gt_i16_sdwa s[0:1], s45, v3 src0_sel:BYTE_0 src1_sel:DWORD
	s_and_b64 vcc, exec, s[0:1]
	s_cbranch_vccz .LBB31_330
; %bb.322:
	v_mov_b32_e32 v3, 28
	v_cmp_gt_i16_sdwa s[0:1], s45, v3 src0_sel:BYTE_0 src1_sel:DWORD
	s_and_b64 vcc, exec, s[0:1]
	s_cbranch_vccz .LBB31_332
	;; [unrolled: 5-line block ×4, first 2 shown]
; %bb.325:
	v_mov_b32_e32 v3, 46
	v_cmp_eq_u16_sdwa s[8:9], s45, v3 src0_sel:BYTE_0 src1_sel:DWORD
	s_mov_b64 s[10:11], 0
	s_mov_b64 s[0:1], -1
	s_and_b64 vcc, exec, s[8:9]
	s_mov_b64 s[8:9], 0
	s_cbranch_vccz .LBB31_344
; %bb.326:
	v_bfe_u32 v3, v2, 16, 1
	s_movk_i32 s0, 0x7fff
	v_add3_u32 v3, v2, v3, s0
	v_lshrrev_b32_e32 v3, 16, v3
	v_mov_b32_e32 v4, 0x7fc0
	v_cmp_o_f32_e32 vcc, v2, v2
	v_cndmask_b32_e32 v3, v4, v3, vcc
	global_store_dword v[0:1], v3, off
	s_mov_b64 s[8:9], -1
	s_mov_b64 s[0:1], 0
	s_branch .LBB31_344
.LBB31_327:
	s_mov_b64 s[8:9], -1
	s_mov_b64 s[0:1], 0
	s_mov_b64 s[2:3], s[56:57]
                                        ; implicit-def: $vgpr1
	s_branch .LBB31_481
.LBB31_328:
	s_mov_b64 s[10:11], -1
	s_mov_b64 s[8:9], 0
	s_mov_b64 s[0:1], s[54:55]
	s_branch .LBB31_413
.LBB31_329:
	s_mov_b64 s[8:9], -1
	s_mov_b64 s[0:1], 0
	s_mov_b64 s[2:3], s[56:57]
                                        ; implicit-def: $vgpr1
	s_branch .LBB31_462
.LBB31_330:
	s_mov_b64 s[10:11], -1
	s_mov_b64 s[8:9], 0
	s_mov_b64 s[0:1], s[54:55]
	s_branch .LBB31_371
.LBB31_331:
	s_mov_b64 s[8:9], -1
	s_mov_b64 s[0:1], 0
	s_mov_b64 s[2:3], s[56:57]
                                        ; implicit-def: $vgpr1
	s_branch .LBB31_457
.LBB31_332:
	s_mov_b64 s[10:11], -1
	s_mov_b64 s[8:9], 0
	s_mov_b64 s[0:1], s[54:55]
	s_branch .LBB31_354
.LBB31_333:
	s_or_saveexec_b64 s[12:13], s[12:13]
                                        ; implicit-def: $sgpr14
	s_xor_b64 exec, exec, s[12:13]
	s_cbranch_execz .LBB31_81
.LBB31_334:
	s_mov_b32 s14, 0x46000000
	v_add_f32_e64 v3, |v2|, s14
	v_and_b32_e32 v3, 0xff, v3
	v_cmp_ne_u32_e32 vcc, 0, v3
	s_andn2_b64 s[10:11], s[10:11], exec
	s_and_b64 s[16:17], vcc, exec
	s_mov_b32 s14, 0
	s_or_b64 s[10:11], s[10:11], s[16:17]
	s_or_b64 exec, exec, s[12:13]
	v_mov_b32_e32 v4, s14
	s_and_saveexec_b64 s[12:13], s[10:11]
	s_cbranch_execnz .LBB31_82
	s_branch .LBB31_83
.LBB31_335:
	s_mov_b64 s[8:9], -1
	s_mov_b64 s[0:1], 0
	s_mov_b64 s[2:3], s[56:57]
                                        ; implicit-def: $vgpr1
	s_branch .LBB31_340
.LBB31_336:
	s_mov_b64 s[10:11], -1
	s_mov_b64 s[8:9], 0
	s_mov_b64 s[0:1], s[54:55]
	s_branch .LBB31_350
.LBB31_337:
	s_or_saveexec_b64 s[12:13], s[12:13]
                                        ; implicit-def: $sgpr14
	s_xor_b64 exec, exec, s[12:13]
	s_cbranch_execz .LBB31_94
.LBB31_338:
	s_mov_b32 s14, 0x42800000
	v_add_f32_e64 v3, |v2|, s14
	v_and_b32_e32 v3, 0xff, v3
	v_cmp_ne_u32_e32 vcc, 0, v3
	s_andn2_b64 s[10:11], s[10:11], exec
	s_and_b64 s[16:17], vcc, exec
	s_mov_b32 s14, 0
	s_or_b64 s[10:11], s[10:11], s[16:17]
	s_or_b64 exec, exec, s[12:13]
	v_mov_b32_e32 v4, s14
	s_and_saveexec_b64 s[12:13], s[10:11]
	s_cbranch_execnz .LBB31_95
	s_branch .LBB31_96
.LBB31_339:
	s_mov_b64 s[2:3], -1
                                        ; implicit-def: $vgpr1
	s_mov_b64 s[0:1], 0
.LBB31_340:
	s_and_b64 vcc, exec, s[8:9]
	s_cbranch_vccz .LBB31_456
; %bb.341:
	v_cmp_eq_u16_e32 vcc, 44, v6
	s_cbranch_vccz .LBB31_455
; %bb.342:
	global_load_ubyte v1, v[2:3], off
	s_movk_i32 s2, 0xff
	v_mov_b32_e32 v4, 0x7f800001
	v_mov_b32_e32 v5, 0x400000
	s_mov_b64 s[0:1], -1
	s_waitcnt vmcnt(0)
	v_lshlrev_b32_e32 v7, 23, v1
	v_cmp_ne_u32_e32 vcc, s2, v1
	v_cndmask_b32_e32 v4, v4, v7, vcc
	v_cmp_ne_u32_e32 vcc, 0, v1
	v_cndmask_b32_e32 v1, v5, v4, vcc
	s_mov_b64 s[2:3], 0
	s_branch .LBB31_456
.LBB31_343:
	s_mov_b64 s[10:11], -1
	s_mov_b64 s[8:9], 0
	s_mov_b64 s[0:1], s[54:55]
.LBB31_344:
	s_and_b64 vcc, exec, s[10:11]
	s_cbranch_vccz .LBB31_349
; %bb.345:
	v_mov_b32_e32 v3, 44
	v_cmp_eq_u16_sdwa s[10:11], s45, v3 src0_sel:BYTE_0 src1_sel:DWORD
	s_mov_b64 s[0:1], -1
	s_and_b64 vcc, exec, s[10:11]
	s_cbranch_vccz .LBB31_349
; %bb.346:
	v_bfe_u32 v3, v2, 23, 8
	s_movk_i32 s0, 0xff
	v_cmp_ne_u32_e32 vcc, s0, v3
	v_mov_b32_e32 v4, 0xff
	s_and_saveexec_b64 s[8:9], vcc
; %bb.347:
	s_mov_b32 s0, 0x3fffff
	v_and_b32_e32 v5, 0x400000, v2
	v_and_or_b32 v3, v2, s0, v3
	v_cmp_ne_u32_e32 vcc, 0, v5
	v_cmp_ne_u32_e64 s[0:1], 0, v3
	s_and_b64 s[0:1], vcc, s[0:1]
	v_lshrrev_b32_e32 v4, 23, v2
	v_cndmask_b32_e64 v3, 0, 1, s[0:1]
	v_add_u32_e32 v4, v4, v3
; %bb.348:
	s_or_b64 exec, exec, s[8:9]
	s_mov_b64 s[8:9], -1
	s_mov_b64 s[0:1], 0
	global_store_byte v[0:1], v4, off
.LBB31_349:
	s_mov_b64 s[10:11], 0
.LBB31_350:
	s_and_b64 vcc, exec, s[10:11]
	s_cbranch_vccz .LBB31_353
; %bb.351:
	v_mov_b32_e32 v3, 29
	v_cmp_eq_u16_sdwa s[10:11], s45, v3 src0_sel:BYTE_0 src1_sel:DWORD
	s_mov_b64 s[0:1], -1
	s_and_b64 vcc, exec, s[10:11]
	s_cbranch_vccz .LBB31_353
; %bb.352:
	v_trunc_f32_e32 v3, v2
	v_mul_f32_e32 v4, 0x2f800000, v3
	v_floor_f32_e32 v4, v4
	v_fmac_f32_e32 v3, 0xcf800000, v4
	v_cvt_u32_f32_e32 v5, v4
	v_cvt_u32_f32_e32 v4, v3
	s_mov_b64 s[8:9], -1
	s_mov_b64 s[0:1], 0
	s_mov_b64 s[10:11], 0
	global_store_dwordx2 v[0:1], v[4:5], off
	s_branch .LBB31_354
.LBB31_353:
	s_mov_b64 s[10:11], 0
.LBB31_354:
	s_and_b64 vcc, exec, s[10:11]
	s_cbranch_vccz .LBB31_370
; %bb.355:
	v_mov_b32_e32 v3, 27
	v_cmp_lt_i16_sdwa s[10:11], s45, v3 src0_sel:BYTE_0 src1_sel:DWORD
	s_mov_b64 s[8:9], -1
	s_and_b64 vcc, exec, s[10:11]
	s_cbranch_vccnz .LBB31_361
; %bb.356:
	v_cmp_gt_i16_sdwa s[10:11], s45, v3 src0_sel:BYTE_0 src1_sel:DWORD
	v_cvt_u32_f32_e32 v3, v2
	s_and_b64 vcc, exec, s[10:11]
	s_cbranch_vccz .LBB31_358
; %bb.357:
	s_mov_b64 s[8:9], 0
	global_store_dword v[0:1], v3, off
.LBB31_358:
	s_andn2_b64 vcc, exec, s[8:9]
	s_cbranch_vccnz .LBB31_360
; %bb.359:
	global_store_short v[0:1], v3, off
.LBB31_360:
	s_mov_b64 s[8:9], 0
.LBB31_361:
	s_andn2_b64 vcc, exec, s[8:9]
	s_cbranch_vccnz .LBB31_369
; %bb.362:
	v_and_b32_e32 v3, 0x7fffffff, v2
	s_mov_b32 s8, 0x43800000
	v_cmp_gt_u32_e32 vcc, s8, v3
	v_mov_b32_e32 v4, 0x80
	s_and_saveexec_b64 s[8:9], vcc
	s_cbranch_execz .LBB31_368
; %bb.363:
	s_mov_b32 s10, 0x3bffffff
	v_cmp_lt_u32_e32 vcc, s10, v3
	s_mov_b64 s[10:11], 0
                                        ; implicit-def: $vgpr3
	s_and_saveexec_b64 s[12:13], vcc
	s_xor_b64 s[12:13], exec, s[12:13]
	s_cbranch_execz .LBB31_597
; %bb.364:
	v_bfe_u32 v3, v2, 20, 1
	s_mov_b32 s14, 0x487ffff
	v_add3_u32 v3, v2, v3, s14
	s_mov_b64 s[10:11], exec
	v_lshrrev_b32_e32 v3, 20, v3
	s_or_saveexec_b64 s[12:13], s[12:13]
                                        ; implicit-def: $sgpr14
	s_xor_b64 exec, exec, s[12:13]
	s_cbranch_execnz .LBB31_598
.LBB31_365:
	s_or_b64 exec, exec, s[12:13]
	v_mov_b32_e32 v4, s14
	s_and_saveexec_b64 s[12:13], s[10:11]
.LBB31_366:
	v_lshrrev_b32_e32 v4, 24, v2
	s_movk_i32 s10, 0x80
	v_and_or_b32 v4, v4, s10, v3
.LBB31_367:
	s_or_b64 exec, exec, s[12:13]
.LBB31_368:
	s_or_b64 exec, exec, s[8:9]
	global_store_byte v[0:1], v4, off
.LBB31_369:
	s_mov_b64 s[8:9], -1
.LBB31_370:
	s_mov_b64 s[10:11], 0
.LBB31_371:
	s_and_b64 vcc, exec, s[10:11]
	s_cbranch_vccz .LBB31_412
; %bb.372:
	v_mov_b32_e32 v3, 22
	v_cmp_gt_i16_sdwa s[12:13], s45, v3 src0_sel:BYTE_0 src1_sel:DWORD
	s_mov_b64 s[10:11], -1
	s_and_b64 vcc, exec, s[12:13]
	s_cbranch_vccz .LBB31_404
; %bb.373:
	v_mov_b32_e32 v3, 24
	v_cmp_lt_i16_sdwa s[10:11], s45, v3 src0_sel:BYTE_0 src1_sel:DWORD
	s_mov_b64 s[8:9], -1
	s_and_b64 vcc, exec, s[10:11]
	s_cbranch_vccnz .LBB31_393
; %bb.374:
	v_cmp_gt_i16_sdwa s[10:11], s45, v3 src0_sel:BYTE_0 src1_sel:DWORD
	s_and_b64 vcc, exec, s[10:11]
	s_cbranch_vccz .LBB31_382
; %bb.375:
	v_and_b32_e32 v3, 0x7fffffff, v2
	s_mov_b32 s8, 0x47800000
	v_cmp_gt_u32_e32 vcc, s8, v3
	v_mov_b32_e32 v4, 0x80
	s_and_saveexec_b64 s[8:9], vcc
	s_cbranch_execz .LBB31_381
; %bb.376:
	s_mov_b32 s10, 0x37ffffff
	v_cmp_lt_u32_e32 vcc, s10, v3
	s_mov_b64 s[10:11], 0
                                        ; implicit-def: $vgpr3
	s_and_saveexec_b64 s[12:13], vcc
	s_xor_b64 s[12:13], exec, s[12:13]
	s_cbranch_execz .LBB31_600
; %bb.377:
	v_bfe_u32 v3, v2, 21, 1
	s_mov_b32 s14, 0x88fffff
	v_add3_u32 v3, v2, v3, s14
	s_mov_b64 s[10:11], exec
	v_lshrrev_b32_e32 v3, 21, v3
	s_or_saveexec_b64 s[12:13], s[12:13]
                                        ; implicit-def: $sgpr14
	s_xor_b64 exec, exec, s[12:13]
	s_cbranch_execnz .LBB31_601
.LBB31_378:
	s_or_b64 exec, exec, s[12:13]
	v_mov_b32_e32 v4, s14
	s_and_saveexec_b64 s[12:13], s[10:11]
.LBB31_379:
	v_lshrrev_b32_e32 v4, 24, v2
	s_movk_i32 s10, 0x80
	v_and_or_b32 v4, v4, s10, v3
.LBB31_380:
	s_or_b64 exec, exec, s[12:13]
.LBB31_381:
	s_or_b64 exec, exec, s[8:9]
	s_mov_b64 s[8:9], 0
	global_store_byte v[0:1], v4, off
.LBB31_382:
	s_and_b64 vcc, exec, s[8:9]
	s_cbranch_vccz .LBB31_392
; %bb.383:
	v_and_b32_e32 v4, 0x7fffffff, v2
	s_mov_b32 s8, 0x43f00000
	v_cmp_gt_u32_e32 vcc, s8, v4
                                        ; implicit-def: $vgpr3
	s_and_saveexec_b64 s[8:9], vcc
	s_xor_b64 s[8:9], exec, s[8:9]
	s_cbranch_execz .LBB31_389
; %bb.384:
	s_mov_b32 s10, 0x3c7fffff
	v_cmp_lt_u32_e32 vcc, s10, v4
                                        ; implicit-def: $vgpr3
	s_and_saveexec_b64 s[10:11], vcc
	s_xor_b64 s[10:11], exec, s[10:11]
; %bb.385:
	v_bfe_u32 v3, v2, 20, 1
	s_mov_b32 s12, 0x407ffff
	v_add3_u32 v3, v2, v3, s12
	v_lshrrev_b32_e32 v4, 20, v3
	v_and_b32_e32 v3, 0xff00000, v3
	s_mov_b32 s12, 0x7f00000
	v_mov_b32_e32 v5, 0x7e
	v_cmp_ne_u32_e32 vcc, s12, v3
	v_cndmask_b32_e32 v3, v5, v4, vcc
; %bb.386:
	s_andn2_saveexec_b64 s[10:11], s[10:11]
; %bb.387:
	s_mov_b32 s12, 0x46800000
	v_add_f32_e64 v3, |v2|, s12
; %bb.388:
	s_or_b64 exec, exec, s[10:11]
                                        ; implicit-def: $vgpr4
.LBB31_389:
	s_andn2_saveexec_b64 s[8:9], s[8:9]
; %bb.390:
	s_mov_b32 s10, 0x7f800000
	v_mov_b32_e32 v3, 0x7e
	v_mov_b32_e32 v5, 0x7f
	v_cmp_lt_u32_e32 vcc, s10, v4
	v_cndmask_b32_e32 v3, v3, v5, vcc
; %bb.391:
	s_or_b64 exec, exec, s[8:9]
	v_lshrrev_b32_e32 v4, 24, v2
	s_movk_i32 s8, 0x80
	v_and_or_b32 v3, v4, s8, v3
	global_store_byte v[0:1], v3, off
.LBB31_392:
	s_mov_b64 s[8:9], 0
.LBB31_393:
	s_andn2_b64 vcc, exec, s[8:9]
	s_cbranch_vccnz .LBB31_403
; %bb.394:
	v_and_b32_e32 v4, 0x7fffffff, v2
	s_mov_b32 s8, 0x47800000
	v_cmp_gt_u32_e32 vcc, s8, v4
                                        ; implicit-def: $vgpr3
	s_and_saveexec_b64 s[8:9], vcc
	s_xor_b64 s[8:9], exec, s[8:9]
	s_cbranch_execz .LBB31_400
; %bb.395:
	s_mov_b32 s10, 0x387fffff
	v_cmp_lt_u32_e32 vcc, s10, v4
                                        ; implicit-def: $vgpr3
	s_and_saveexec_b64 s[10:11], vcc
	s_xor_b64 s[10:11], exec, s[10:11]
; %bb.396:
	v_bfe_u32 v3, v2, 21, 1
	s_mov_b32 s12, 0x80fffff
	v_add3_u32 v3, v2, v3, s12
	v_lshrrev_b32_e32 v3, 21, v3
; %bb.397:
	s_andn2_saveexec_b64 s[10:11], s[10:11]
; %bb.398:
	s_mov_b32 s12, 0x43000000
	v_add_f32_e64 v3, |v2|, s12
; %bb.399:
	s_or_b64 exec, exec, s[10:11]
                                        ; implicit-def: $vgpr4
.LBB31_400:
	s_andn2_saveexec_b64 s[8:9], s[8:9]
; %bb.401:
	s_mov_b32 s10, 0x7f800000
	v_mov_b32_e32 v3, 0x7c
	v_mov_b32_e32 v5, 0x7f
	v_cmp_lt_u32_e32 vcc, s10, v4
	v_cndmask_b32_e32 v3, v3, v5, vcc
; %bb.402:
	s_or_b64 exec, exec, s[8:9]
	v_lshrrev_b32_e32 v4, 24, v2
	s_movk_i32 s8, 0x80
	v_and_or_b32 v3, v4, s8, v3
	global_store_byte v[0:1], v3, off
.LBB31_403:
	s_mov_b64 s[10:11], 0
	s_mov_b64 s[8:9], -1
.LBB31_404:
	s_andn2_b64 vcc, exec, s[10:11]
	s_cbranch_vccnz .LBB31_412
; %bb.405:
	v_mov_b32_e32 v3, 14
	v_cmp_gt_i16_sdwa s[12:13], s45, v3 src0_sel:BYTE_0 src1_sel:DWORD
	s_mov_b64 s[10:11], -1
	s_and_b64 vcc, exec, s[12:13]
	s_cbranch_vccz .LBB31_409
; %bb.406:
	v_mov_b32_e32 v3, 15
	v_cmp_eq_u16_sdwa s[10:11], s45, v3 src0_sel:BYTE_0 src1_sel:DWORD
	s_mov_b64 s[0:1], -1
	s_and_b64 vcc, exec, s[10:11]
	s_cbranch_vccz .LBB31_408
; %bb.407:
	v_bfe_u32 v3, v2, 16, 1
	s_movk_i32 s0, 0x7fff
	v_add3_u32 v3, v2, v3, s0
	v_lshrrev_b32_e32 v3, 16, v3
	v_mov_b32_e32 v4, 0x7fc0
	v_cmp_o_f32_e32 vcc, v2, v2
	v_cndmask_b32_e32 v3, v4, v3, vcc
	global_store_short v[0:1], v3, off
	s_mov_b64 s[8:9], -1
	s_mov_b64 s[0:1], 0
.LBB31_408:
	s_mov_b64 s[10:11], 0
.LBB31_409:
	s_and_b64 vcc, exec, s[10:11]
	s_cbranch_vccz .LBB31_412
; %bb.410:
	v_mov_b32_e32 v3, 11
	v_cmp_eq_u16_sdwa s[10:11], s45, v3 src0_sel:BYTE_0 src1_sel:DWORD
	s_mov_b64 s[0:1], -1
	s_and_b64 vcc, exec, s[10:11]
	s_cbranch_vccz .LBB31_412
; %bb.411:
	v_cmp_neq_f32_e32 vcc, 0, v2
	v_cndmask_b32_e64 v3, 0, 1, vcc
	s_mov_b64 s[8:9], -1
	s_mov_b64 s[0:1], 0
	global_store_byte v[0:1], v3, off
.LBB31_412:
	s_mov_b64 s[10:11], 0
.LBB31_413:
	s_and_b64 vcc, exec, s[10:11]
	s_cbranch_vccz .LBB31_452
; %bb.414:
	v_mov_b32_e32 v3, 5
	v_cmp_lt_i16_sdwa s[10:11], s45, v3 src0_sel:BYTE_0 src1_sel:DWORD
	s_mov_b64 s[8:9], -1
	s_and_b64 vcc, exec, s[10:11]
	s_cbranch_vccnz .LBB31_435
; %bb.415:
	v_mov_b32_e32 v3, 8
	v_cmp_lt_i16_sdwa s[10:11], s45, v3 src0_sel:BYTE_0 src1_sel:DWORD
	s_and_b64 vcc, exec, s[10:11]
	s_cbranch_vccnz .LBB31_425
; %bb.416:
	v_mov_b32_e32 v3, 9
	v_cmp_lt_i16_sdwa s[10:11], s45, v3 src0_sel:BYTE_0 src1_sel:DWORD
	s_and_b64 vcc, exec, s[10:11]
	s_cbranch_vccnz .LBB31_422
; %bb.417:
	v_cmp_gt_i16_sdwa s[10:11], s45, v3 src0_sel:BYTE_0 src1_sel:DWORD
	s_and_b64 vcc, exec, s[10:11]
	s_cbranch_vccz .LBB31_419
; %bb.418:
	v_mov_b32_e32 v10, 0
	v_cvt_f64_f32_e32 v[8:9], v2
	v_mov_b32_e32 v11, v10
	s_mov_b64 s[8:9], 0
	global_store_dwordx4 v[0:1], v[8:11], off
.LBB31_419:
	s_andn2_b64 vcc, exec, s[8:9]
	s_cbranch_vccnz .LBB31_421
; %bb.420:
	v_mov_b32_e32 v3, 0
	global_store_dwordx2 v[0:1], v[2:3], off
.LBB31_421:
	s_mov_b64 s[8:9], 0
.LBB31_422:
	s_andn2_b64 vcc, exec, s[8:9]
	s_cbranch_vccnz .LBB31_424
; %bb.423:
	v_cvt_f16_f32_e32 v3, v2
	global_store_dword v[0:1], v3, off
.LBB31_424:
	s_mov_b64 s[8:9], 0
.LBB31_425:
	s_andn2_b64 vcc, exec, s[8:9]
	s_cbranch_vccnz .LBB31_434
; %bb.426:
	v_mov_b32_e32 v3, 6
	v_cmp_lt_i16_sdwa s[10:11], s45, v3 src0_sel:BYTE_0 src1_sel:DWORD
	s_mov_b64 s[8:9], -1
	s_and_b64 vcc, exec, s[10:11]
	s_cbranch_vccnz .LBB31_432
; %bb.427:
	v_cmp_gt_i16_sdwa s[10:11], s45, v3 src0_sel:BYTE_0 src1_sel:DWORD
	s_and_b64 vcc, exec, s[10:11]
	s_cbranch_vccz .LBB31_429
; %bb.428:
	v_cvt_f64_f32_e32 v[4:5], v2
	s_mov_b64 s[8:9], 0
	global_store_dwordx2 v[0:1], v[4:5], off
.LBB31_429:
	s_andn2_b64 vcc, exec, s[8:9]
	s_cbranch_vccnz .LBB31_431
; %bb.430:
	global_store_dword v[0:1], v2, off
.LBB31_431:
	s_mov_b64 s[8:9], 0
.LBB31_432:
	s_andn2_b64 vcc, exec, s[8:9]
	s_cbranch_vccnz .LBB31_434
; %bb.433:
	v_cvt_f16_f32_e32 v3, v2
	global_store_short v[0:1], v3, off
.LBB31_434:
	s_mov_b64 s[8:9], 0
.LBB31_435:
	s_andn2_b64 vcc, exec, s[8:9]
	s_cbranch_vccnz .LBB31_451
; %bb.436:
	v_mov_b32_e32 v3, 2
	v_cmp_lt_i16_sdwa s[10:11], s45, v3 src0_sel:BYTE_0 src1_sel:DWORD
	s_mov_b64 s[8:9], -1
	s_and_b64 vcc, exec, s[10:11]
	s_cbranch_vccnz .LBB31_446
; %bb.437:
	v_mov_b32_e32 v3, 3
	v_cmp_lt_i16_sdwa s[10:11], s45, v3 src0_sel:BYTE_0 src1_sel:DWORD
	s_and_b64 vcc, exec, s[10:11]
	s_cbranch_vccnz .LBB31_443
; %bb.438:
	v_cmp_gt_i16_sdwa s[10:11], s45, v3 src0_sel:BYTE_0 src1_sel:DWORD
	s_and_b64 vcc, exec, s[10:11]
	s_cbranch_vccz .LBB31_440
; %bb.439:
	v_trunc_f32_e32 v3, v2
	s_mov_b32 s8, 0x2f800000
	v_mul_f32_e64 v4, |v3|, s8
	v_floor_f32_e32 v4, v4
	s_mov_b32 s8, 0xcf800000
	v_cvt_u32_f32_e32 v5, v4
	v_fma_f32 v4, v4, s8, |v3|
	v_cvt_u32_f32_e32 v4, v4
	v_ashrrev_i32_e32 v3, 31, v3
	v_xor_b32_e32 v5, v5, v3
	s_mov_b64 s[8:9], 0
	v_xor_b32_e32 v4, v4, v3
	v_sub_co_u32_e32 v4, vcc, v4, v3
	v_subb_co_u32_e32 v5, vcc, v5, v3, vcc
	global_store_dwordx2 v[0:1], v[4:5], off
.LBB31_440:
	s_andn2_b64 vcc, exec, s[8:9]
	s_cbranch_vccnz .LBB31_442
; %bb.441:
	v_cvt_i32_f32_e32 v3, v2
	global_store_dword v[0:1], v3, off
.LBB31_442:
	s_mov_b64 s[8:9], 0
.LBB31_443:
	s_andn2_b64 vcc, exec, s[8:9]
	s_cbranch_vccnz .LBB31_445
; %bb.444:
	v_cvt_i32_f32_e32 v3, v2
	global_store_short v[0:1], v3, off
.LBB31_445:
	s_mov_b64 s[8:9], 0
.LBB31_446:
	s_andn2_b64 vcc, exec, s[8:9]
	s_cbranch_vccnz .LBB31_451
; %bb.447:
	v_mov_b32_e32 v3, 0
	v_cmp_gt_i16_sdwa s[10:11], s45, v3 src0_sel:BYTE_0 src1_sel:DWORD
	s_mov_b64 s[8:9], -1
	s_and_b64 vcc, exec, s[10:11]
	s_cbranch_vccz .LBB31_449
; %bb.448:
	v_cvt_i32_f32_e32 v3, v2
	s_mov_b64 s[8:9], 0
	global_store_byte v[0:1], v3, off
.LBB31_449:
	s_andn2_b64 vcc, exec, s[8:9]
	s_cbranch_vccnz .LBB31_451
; %bb.450:
	v_trunc_f32_e32 v2, v2
	s_mov_b32 s8, 0x2f800000
	v_mul_f32_e64 v3, |v2|, s8
	v_floor_f32_e32 v3, v3
	s_mov_b32 s8, 0xcf800000
	v_fma_f32 v3, v3, s8, |v2|
	v_cvt_u32_f32_e32 v3, v3
	v_ashrrev_i32_e32 v2, 31, v2
	v_xor_b32_e32 v3, v3, v2
	v_sub_u32_e32 v2, v3, v2
	global_store_byte v[0:1], v2, off
.LBB31_451:
	s_mov_b64 s[8:9], -1
.LBB31_452:
	s_andn2_b64 vcc, exec, s[8:9]
	s_cbranch_vccnz .LBB31_454
; %bb.453:
	v_add_u32_e32 v12, 0x80, v12
	s_mov_b64 s[8:9], -1
	s_branch .LBB31_567
.LBB31_454:
	s_mov_b64 s[8:9], 0
	s_branch .LBB31_566
.LBB31_455:
	s_mov_b64 s[2:3], -1
                                        ; implicit-def: $vgpr1
.LBB31_456:
	s_mov_b64 s[8:9], 0
.LBB31_457:
	s_and_b64 vcc, exec, s[8:9]
	s_cbranch_vccz .LBB31_461
; %bb.458:
	v_cmp_eq_u16_e32 vcc, 29, v6
	s_cbranch_vccz .LBB31_460
; %bb.459:
	global_load_dwordx2 v[4:5], v[2:3], off
	s_mov_b64 s[0:1], -1
	s_mov_b64 s[2:3], 0
	s_mov_b64 s[8:9], 0
	s_waitcnt vmcnt(0)
	v_ffbh_u32_e32 v1, v5
	v_min_u32_e32 v1, 32, v1
	v_lshlrev_b64 v[4:5], v1, v[4:5]
	v_min_u32_e32 v4, 1, v4
	v_or_b32_e32 v4, v5, v4
	v_cvt_f32_u32_e32 v4, v4
	v_sub_u32_e32 v1, 32, v1
	v_ldexp_f32 v1, v4, v1
	s_branch .LBB31_462
.LBB31_460:
	s_mov_b64 s[2:3], -1
                                        ; implicit-def: $vgpr1
.LBB31_461:
	s_mov_b64 s[8:9], 0
.LBB31_462:
	s_and_b64 vcc, exec, s[8:9]
	s_cbranch_vccz .LBB31_480
; %bb.463:
	v_cmp_gt_i16_e32 vcc, 27, v6
	s_cbranch_vccnz .LBB31_466
; %bb.464:
	v_cmp_lt_i16_e32 vcc, 27, v6
	s_cbranch_vccz .LBB31_467
; %bb.465:
	global_load_dword v1, v[2:3], off
	s_mov_b64 s[0:1], 0
	s_waitcnt vmcnt(0)
	v_cvt_f32_u32_e32 v1, v1
	s_branch .LBB31_468
.LBB31_466:
	s_mov_b64 s[0:1], -1
                                        ; implicit-def: $vgpr1
	s_branch .LBB31_471
.LBB31_467:
	s_mov_b64 s[0:1], -1
                                        ; implicit-def: $vgpr1
.LBB31_468:
	s_andn2_b64 vcc, exec, s[0:1]
	s_cbranch_vccnz .LBB31_470
; %bb.469:
	global_load_ushort v1, v[2:3], off
	s_waitcnt vmcnt(0)
	v_cvt_f32_u32_e32 v1, v1
.LBB31_470:
	s_mov_b64 s[0:1], 0
.LBB31_471:
	s_andn2_b64 vcc, exec, s[0:1]
	s_cbranch_vccnz .LBB31_479
; %bb.472:
	global_load_ubyte v4, v[2:3], off
	s_movk_i32 s0, 0x7f
                                        ; implicit-def: $sgpr12
	s_waitcnt vmcnt(0)
	v_cmp_lt_i16_e32 vcc, s0, v4
	s_mov_b64 s[0:1], 0
	s_and_saveexec_b64 s[8:9], vcc
	s_xor_b64 s[8:9], exec, s[8:9]
	s_cbranch_execz .LBB31_493
; %bb.473:
	s_movk_i32 s0, 0x80
	v_cmp_eq_u16_e32 vcc, s0, v4
	s_mov_b64 s[0:1], -1
                                        ; implicit-def: $sgpr12
	s_and_saveexec_b64 s[10:11], vcc
; %bb.474:
	s_mov_b32 s12, 0x7f800001
	s_xor_b64 s[0:1], exec, -1
; %bb.475:
	s_or_b64 exec, exec, s[10:11]
	s_and_b64 s[0:1], s[0:1], exec
	s_or_saveexec_b64 s[8:9], s[8:9]
	v_mov_b32_e32 v1, s12
	s_xor_b64 exec, exec, s[8:9]
	s_cbranch_execnz .LBB31_494
.LBB31_476:
	s_or_b64 exec, exec, s[8:9]
	s_and_saveexec_b64 s[8:9], s[0:1]
	s_cbranch_execz .LBB31_478
.LBB31_477:
	v_lshlrev_b32_e32 v1, 24, v4
	v_and_b32_e32 v4, 0xffff, v4
	v_and_b32_e32 v5, 7, v4
	v_ffbh_u32_e32 v8, v5
	v_min_u32_e32 v8, 32, v8
	v_subrev_u32_e32 v9, 28, v8
	v_bfe_u32 v7, v4, 3, 4
	v_lshlrev_b32_e32 v4, v9, v4
	v_sub_u32_e32 v8, 29, v8
	v_and_b32_e32 v4, 7, v4
	v_cmp_eq_u32_e32 vcc, 0, v7
	v_cndmask_b32_e32 v7, v7, v8, vcc
	v_cndmask_b32_e32 v4, v5, v4, vcc
	v_mov_b32_e32 v5, 0x3b800000
	v_lshlrev_b32_e32 v4, 20, v4
	v_and_b32_e32 v1, 0x80000000, v1
	v_lshl_add_u32 v5, v7, 23, v5
	v_or3_b32 v1, v1, v5, v4
.LBB31_478:
	s_or_b64 exec, exec, s[8:9]
.LBB31_479:
	s_mov_b64 s[0:1], -1
.LBB31_480:
	s_mov_b64 s[8:9], 0
.LBB31_481:
	s_and_b64 vcc, exec, s[8:9]
	s_cbranch_vccz .LBB31_516
; %bb.482:
	v_cmp_lt_i16_e32 vcc, 22, v6
	s_cbranch_vccz .LBB31_492
; %bb.483:
	v_cmp_gt_i16_e32 vcc, 24, v6
	s_cbranch_vccnz .LBB31_495
; %bb.484:
	v_cmp_lt_i16_e32 vcc, 24, v6
	s_cbranch_vccz .LBB31_496
; %bb.485:
	global_load_ubyte v4, v[2:3], off
	s_movk_i32 s0, 0x7f
                                        ; implicit-def: $sgpr12
	s_waitcnt vmcnt(0)
	v_cmp_lt_i16_e32 vcc, s0, v4
	s_mov_b64 s[0:1], 0
	s_and_saveexec_b64 s[8:9], vcc
	s_xor_b64 s[8:9], exec, s[8:9]
	s_cbranch_execz .LBB31_508
; %bb.486:
	s_movk_i32 s0, 0x80
	v_cmp_eq_u16_e32 vcc, s0, v4
	s_mov_b64 s[0:1], -1
                                        ; implicit-def: $sgpr12
	s_and_saveexec_b64 s[10:11], vcc
; %bb.487:
	s_mov_b32 s12, 0x7f800001
	s_xor_b64 s[0:1], exec, -1
; %bb.488:
	s_or_b64 exec, exec, s[10:11]
	s_and_b64 s[0:1], s[0:1], exec
	s_or_saveexec_b64 s[8:9], s[8:9]
	v_mov_b32_e32 v1, s12
	s_xor_b64 exec, exec, s[8:9]
	s_cbranch_execnz .LBB31_509
.LBB31_489:
	s_or_b64 exec, exec, s[8:9]
	s_and_saveexec_b64 s[8:9], s[0:1]
	s_cbranch_execz .LBB31_491
.LBB31_490:
	v_lshlrev_b32_e32 v1, 24, v4
	v_and_b32_e32 v4, 0xffff, v4
	v_and_b32_e32 v5, 3, v4
	v_ffbh_u32_e32 v8, v5
	v_min_u32_e32 v8, 32, v8
	v_subrev_u32_e32 v9, 29, v8
	v_bfe_u32 v7, v4, 2, 5
	v_lshlrev_b32_e32 v4, v9, v4
	v_sub_u32_e32 v8, 30, v8
	v_and_b32_e32 v4, 3, v4
	v_cmp_eq_u32_e32 vcc, 0, v7
	v_cndmask_b32_e32 v7, v7, v8, vcc
	v_cndmask_b32_e32 v4, v5, v4, vcc
	v_mov_b32_e32 v5, 0x37800000
	v_lshlrev_b32_e32 v4, 21, v4
	v_and_b32_e32 v1, 0x80000000, v1
	v_lshl_add_u32 v5, v7, 23, v5
	v_or3_b32 v1, v1, v5, v4
.LBB31_491:
	s_or_b64 exec, exec, s[8:9]
	s_mov_b64 s[0:1], 0
	s_branch .LBB31_497
.LBB31_492:
	s_mov_b64 s[8:9], -1
                                        ; implicit-def: $vgpr1
	s_branch .LBB31_503
.LBB31_493:
	s_or_saveexec_b64 s[8:9], s[8:9]
	v_mov_b32_e32 v1, s12
	s_xor_b64 exec, exec, s[8:9]
	s_cbranch_execz .LBB31_476
.LBB31_494:
	v_cmp_ne_u16_e32 vcc, 0, v4
	s_andn2_b64 s[0:1], s[0:1], exec
	s_and_b64 s[10:11], vcc, exec
	v_mov_b32_e32 v1, 0
	s_or_b64 s[0:1], s[0:1], s[10:11]
	s_or_b64 exec, exec, s[8:9]
	s_and_saveexec_b64 s[8:9], s[0:1]
	s_cbranch_execnz .LBB31_477
	s_branch .LBB31_478
.LBB31_495:
	s_mov_b64 s[0:1], -1
                                        ; implicit-def: $vgpr1
	s_branch .LBB31_500
.LBB31_496:
	s_mov_b64 s[0:1], -1
                                        ; implicit-def: $vgpr1
.LBB31_497:
	s_and_b64 vcc, exec, s[0:1]
	s_cbranch_vccz .LBB31_499
; %bb.498:
	global_load_ubyte v1, v[2:3], off
	s_mov_b32 s0, 0x7f800000
	s_waitcnt vmcnt(0)
	v_lshlrev_b32_e32 v1, 24, v1
	v_and_b32_e32 v4, 0x7f000000, v1
	v_ffbh_u32_e32 v5, v4
	v_min_u32_e32 v5, 32, v5
	v_sub_u32_e64 v5, v5, 4 clamp
	v_lshlrev_b32_e32 v8, v5, v4
	v_lshlrev_b32_e32 v5, 23, v5
	v_lshrrev_b32_e32 v8, 4, v8
	v_add_u32_e32 v7, 0x1000000, v4
	v_sub_u32_e32 v5, v8, v5
	v_ashrrev_i32_e32 v7, 8, v7
	v_add_u32_e32 v5, 0x3c000000, v5
	v_and_or_b32 v5, v7, s0, v5
	v_cmp_ne_u32_e32 vcc, 0, v4
	v_cndmask_b32_e32 v4, 0, v5, vcc
	s_brev_b32 s0, 1
	v_and_or_b32 v1, v1, s0, v4
.LBB31_499:
	s_mov_b64 s[0:1], 0
.LBB31_500:
	s_andn2_b64 vcc, exec, s[0:1]
	s_cbranch_vccnz .LBB31_502
; %bb.501:
	global_load_ubyte v1, v[2:3], off
	s_movk_i32 s0, 0x7f00
	s_brev_b32 s1, 16
	s_waitcnt vmcnt(0)
	v_lshlrev_b16_e32 v4, 8, v1
	v_lshlrev_b32_e32 v1, 25, v1
	v_lshrrev_b32_e32 v5, 4, v1
	v_and_or_b32 v7, v4, s0, 0.5
	v_or_b32_e32 v5, 0x70000000, v5
	v_add_f32_e32 v7, -0.5, v7
	v_mul_f32_e32 v5, 0x7800000, v5
	v_cmp_gt_u32_e32 vcc, s1, v1
	v_bfe_i32 v4, v4, 0, 16
	v_cndmask_b32_e32 v1, v5, v7, vcc
	s_brev_b32 s0, 1
	v_and_or_b32 v1, v4, s0, v1
.LBB31_502:
	s_mov_b64 s[8:9], 0
	s_mov_b64 s[0:1], -1
.LBB31_503:
	s_andn2_b64 vcc, exec, s[8:9]
	s_cbranch_vccnz .LBB31_516
; %bb.504:
	v_cmp_lt_i16_e32 vcc, 14, v6
	s_cbranch_vccz .LBB31_507
; %bb.505:
	v_cmp_eq_u16_e32 vcc, 15, v6
	s_cbranch_vccz .LBB31_510
; %bb.506:
	global_load_ushort v1, v[2:3], off
	s_mov_b64 s[0:1], -1
	s_mov_b64 s[2:3], 0
	s_waitcnt vmcnt(0)
	v_lshlrev_b32_e32 v1, 16, v1
	s_branch .LBB31_511
.LBB31_507:
	s_mov_b64 s[8:9], -1
                                        ; implicit-def: $vgpr1
	s_branch .LBB31_512
.LBB31_508:
	s_or_saveexec_b64 s[8:9], s[8:9]
	v_mov_b32_e32 v1, s12
	s_xor_b64 exec, exec, s[8:9]
	s_cbranch_execz .LBB31_489
.LBB31_509:
	v_cmp_ne_u16_e32 vcc, 0, v4
	s_andn2_b64 s[0:1], s[0:1], exec
	s_and_b64 s[10:11], vcc, exec
	v_mov_b32_e32 v1, 0
	s_or_b64 s[0:1], s[0:1], s[10:11]
	s_or_b64 exec, exec, s[8:9]
	s_and_saveexec_b64 s[8:9], s[0:1]
	s_cbranch_execnz .LBB31_490
	s_branch .LBB31_491
.LBB31_510:
	s_mov_b64 s[2:3], -1
                                        ; implicit-def: $vgpr1
.LBB31_511:
	s_mov_b64 s[8:9], 0
.LBB31_512:
	s_and_b64 vcc, exec, s[8:9]
	s_cbranch_vccz .LBB31_516
; %bb.513:
	v_cmp_eq_u16_e32 vcc, 11, v6
	s_cbranch_vccz .LBB31_515
; %bb.514:
	global_load_ubyte v1, v[2:3], off
	s_mov_b64 s[0:1], -1
	s_mov_b64 s[2:3], 0
	s_waitcnt vmcnt(0)
	v_cmp_ne_u16_e32 vcc, 0, v1
	v_cndmask_b32_e64 v1, 0, 1.0, vcc
	s_branch .LBB31_516
.LBB31_515:
	s_mov_b64 s[2:3], -1
                                        ; implicit-def: $vgpr1
.LBB31_516:
	s_branch .LBB31_307
.LBB31_517:
	v_cmp_gt_i16_e32 vcc, 5, v6
	s_cbranch_vccnz .LBB31_522
; %bb.518:
	v_cmp_gt_i16_e32 vcc, 8, v6
	s_cbranch_vccnz .LBB31_523
; %bb.519:
	v_cmp_gt_i16_e32 vcc, 9, v6
	s_cbranch_vccnz .LBB31_524
; %bb.520:
	v_cmp_lt_i16_e32 vcc, 9, v6
	s_cbranch_vccz .LBB31_525
; %bb.521:
	global_load_dwordx2 v[4:5], v[2:3], off
	s_mov_b64 s[0:1], 0
	s_waitcnt vmcnt(0)
	v_cvt_f32_f64_e32 v1, v[4:5]
	s_branch .LBB31_526
.LBB31_522:
	s_mov_b64 s[0:1], -1
                                        ; implicit-def: $vgpr1
	s_branch .LBB31_544
.LBB31_523:
	s_mov_b64 s[0:1], -1
                                        ; implicit-def: $vgpr1
	s_branch .LBB31_532
.LBB31_524:
	s_mov_b64 s[0:1], -1
                                        ; implicit-def: $vgpr1
	s_branch .LBB31_529
.LBB31_525:
	s_mov_b64 s[0:1], -1
                                        ; implicit-def: $vgpr1
.LBB31_526:
	s_andn2_b64 vcc, exec, s[0:1]
	s_cbranch_vccnz .LBB31_528
; %bb.527:
	global_load_dword v1, v[2:3], off
.LBB31_528:
	s_mov_b64 s[0:1], 0
.LBB31_529:
	s_andn2_b64 vcc, exec, s[0:1]
	s_cbranch_vccnz .LBB31_531
; %bb.530:
	global_load_dword v1, v[2:3], off
	s_waitcnt vmcnt(0)
	v_cvt_f32_f16_e32 v1, v1
.LBB31_531:
	s_mov_b64 s[0:1], 0
.LBB31_532:
	s_andn2_b64 vcc, exec, s[0:1]
	s_cbranch_vccnz .LBB31_543
; %bb.533:
	v_cmp_gt_i16_e32 vcc, 6, v6
	s_cbranch_vccnz .LBB31_536
; %bb.534:
	v_cmp_lt_i16_e32 vcc, 6, v6
	s_cbranch_vccz .LBB31_537
; %bb.535:
	global_load_dwordx2 v[4:5], v[2:3], off
	s_mov_b64 s[0:1], 0
	s_waitcnt vmcnt(0)
	v_cvt_f32_f64_e32 v1, v[4:5]
	s_branch .LBB31_538
.LBB31_536:
	s_mov_b64 s[0:1], -1
                                        ; implicit-def: $vgpr1
	s_branch .LBB31_541
.LBB31_537:
	s_mov_b64 s[0:1], -1
                                        ; implicit-def: $vgpr1
.LBB31_538:
	s_andn2_b64 vcc, exec, s[0:1]
	s_cbranch_vccnz .LBB31_540
; %bb.539:
	global_load_dword v1, v[2:3], off
.LBB31_540:
	s_mov_b64 s[0:1], 0
.LBB31_541:
	s_andn2_b64 vcc, exec, s[0:1]
	s_cbranch_vccnz .LBB31_543
; %bb.542:
	global_load_ushort v1, v[2:3], off
	s_waitcnt vmcnt(0)
	v_cvt_f32_f16_e32 v1, v1
.LBB31_543:
	s_mov_b64 s[0:1], 0
.LBB31_544:
	s_andn2_b64 vcc, exec, s[0:1]
	s_cbranch_vccnz .LBB31_564
; %bb.545:
	v_cmp_gt_i16_e32 vcc, 2, v6
	s_cbranch_vccnz .LBB31_549
; %bb.546:
	v_cmp_gt_i16_e32 vcc, 3, v6
	s_cbranch_vccnz .LBB31_550
; %bb.547:
	v_cmp_lt_i16_e32 vcc, 3, v6
	s_cbranch_vccz .LBB31_551
; %bb.548:
	global_load_dwordx2 v[4:5], v[2:3], off
	s_mov_b64 s[0:1], 0
	s_waitcnt vmcnt(0)
	v_xor_b32_e32 v7, v4, v5
	v_ffbh_i32_e32 v1, v5
	v_ashrrev_i32_e32 v7, 31, v7
	v_add_u32_e32 v1, -1, v1
	v_add_u32_e32 v7, 32, v7
	v_min_u32_e32 v1, v1, v7
	v_lshlrev_b64 v[4:5], v1, v[4:5]
	v_min_u32_e32 v4, 1, v4
	v_or_b32_e32 v4, v5, v4
	v_cvt_f32_i32_e32 v4, v4
	v_sub_u32_e32 v1, 32, v1
	v_ldexp_f32 v1, v4, v1
	s_branch .LBB31_552
.LBB31_549:
	s_mov_b64 s[0:1], -1
                                        ; implicit-def: $vgpr1
	s_branch .LBB31_558
.LBB31_550:
	s_mov_b64 s[0:1], -1
                                        ; implicit-def: $vgpr1
	s_branch .LBB31_555
.LBB31_551:
	s_mov_b64 s[0:1], -1
                                        ; implicit-def: $vgpr1
.LBB31_552:
	s_andn2_b64 vcc, exec, s[0:1]
	s_cbranch_vccnz .LBB31_554
; %bb.553:
	global_load_dword v1, v[2:3], off
	s_waitcnt vmcnt(0)
	v_cvt_f32_i32_e32 v1, v1
.LBB31_554:
	s_mov_b64 s[0:1], 0
.LBB31_555:
	s_andn2_b64 vcc, exec, s[0:1]
	s_cbranch_vccnz .LBB31_557
; %bb.556:
	global_load_sshort v1, v[2:3], off
	s_waitcnt vmcnt(0)
	v_cvt_f32_i32_e32 v1, v1
.LBB31_557:
	s_mov_b64 s[0:1], 0
.LBB31_558:
	s_andn2_b64 vcc, exec, s[0:1]
	s_cbranch_vccnz .LBB31_564
; %bb.559:
	v_cmp_lt_i16_e32 vcc, 0, v6
	s_cbranch_vccz .LBB31_561
; %bb.560:
	global_load_sbyte v1, v[2:3], off
	s_mov_b64 s[0:1], 0
	s_waitcnt vmcnt(0)
	v_cvt_f32_i32_e32 v1, v1
	s_branch .LBB31_562
.LBB31_561:
	s_mov_b64 s[0:1], -1
                                        ; implicit-def: $vgpr1
.LBB31_562:
	s_andn2_b64 vcc, exec, s[0:1]
	s_cbranch_vccnz .LBB31_564
; %bb.563:
	global_load_ubyte v1, v[2:3], off
	s_waitcnt vmcnt(0)
	v_cvt_f32_ubyte0_e32 v1, v1
.LBB31_564:
	s_branch .LBB31_308
.LBB31_565:
	s_mov_b64 s[8:9], 0
	s_mov_b64 s[0:1], s[54:55]
.LBB31_566:
                                        ; implicit-def: $vgpr12
.LBB31_567:
	s_andn2_b64 s[10:11], s[54:55], exec
	s_and_b64 s[0:1], s[0:1], exec
	s_or_b64 s[62:63], s[10:11], s[0:1]
	s_andn2_b64 s[0:1], s[56:57], exec
	s_and_b64 s[2:3], s[2:3], exec
	s_or_b64 s[60:61], s[0:1], s[2:3]
	s_orn2_b64 s[0:1], s[8:9], exec
.LBB31_568:
	s_or_b64 exec, exec, s[64:65]
	s_mov_b64 s[2:3], 0
	s_mov_b64 s[8:9], 0
	;; [unrolled: 1-line block ×3, first 2 shown]
                                        ; implicit-def: $vgpr2_vgpr3
                                        ; implicit-def: $vgpr0
                                        ; implicit-def: $vgpr7
	s_and_saveexec_b64 s[64:65], s[0:1]
	s_cbranch_execz .LBB31_957
; %bb.569:
	v_cmp_gt_i32_e32 vcc, s74, v12
	s_mov_b64 s[2:3], -1
	s_mov_b64 s[68:69], s[60:61]
	s_mov_b64 s[70:71], s[62:63]
	s_and_saveexec_b64 s[66:67], vcc
	s_cbranch_execz .LBB31_856
; %bb.570:
	s_andn2_b64 vcc, exec, s[40:41]
	s_cbranch_vccnz .LBB31_576
; %bb.571:
	s_mov_b32 s68, 0
	s_andn2_b64 vcc, exec, s[52:53]
	v_mov_b32_e32 v2, 0
	v_mov_b32_e32 v0, 0
	s_cbranch_vccnz .LBB31_582
; %bb.572:
	s_add_i32 s77, s75, 1
	s_cmp_eq_u32 s76, 2
	s_cbranch_scc1 .LBB31_577
; %bb.573:
	s_and_b32 s68, s77, 28
	s_mov_b32 s69, 0
	v_mov_b32_e32 v0, 0
	s_mov_b64 s[70:71], s[34:35]
	s_mov_b64 s[72:73], s[50:51]
	v_mov_b32_e32 v3, v12
	v_mov_b32_e32 v2, 0
.LBB31_574:                             ; =>This Inner Loop Header: Depth=1
	s_load_dwordx8 s[16:23], s[70:71], 0x4
	s_load_dwordx4 s[0:3], s[70:71], 0x24
	s_load_dwordx8 s[8:15], s[72:73], 0x0
	s_add_u32 s70, s70, 48
	s_addc_u32 s71, s71, 0
	s_waitcnt vmcnt(0) lgkmcnt(0)
	v_mul_hi_u32 v1, s17, v3
	v_add_u32_e32 v1, v3, v1
	v_lshrrev_b32_e32 v1, s18, v1
	v_mul_lo_u32 v4, v1, s16
	v_mul_hi_u32 v5, s20, v1
	v_sub_u32_e32 v3, v3, v4
	v_add_u32_e32 v4, v1, v5
	v_lshrrev_b32_e32 v4, s21, v4
	v_mul_lo_u32 v7, v4, s19
	v_mul_hi_u32 v8, s23, v4
	v_sub_u32_e32 v1, v1, v7
	v_add_u32_e32 v7, v4, v8
	v_mul_lo_u32 v5, v3, s9
	v_mul_lo_u32 v3, v3, s8
	;; [unrolled: 1-line block ×4, first 2 shown]
	v_lshrrev_b32_e32 v7, s0, v7
	v_add3_u32 v0, v3, v0, v1
	v_mul_hi_u32 v3, s2, v7
	v_add_u32_e32 v3, v7, v3
	v_lshrrev_b32_e32 v3, s3, v3
	s_add_i32 s69, s69, 4
	v_add3_u32 v1, v5, v2, v8
	v_mul_lo_u32 v2, v7, s22
	v_mul_lo_u32 v5, v3, s1
	s_add_u32 s72, s72, 32
	v_sub_u32_e32 v2, v4, v2
	v_sub_u32_e32 v5, v7, v5
	s_addc_u32 s73, s73, 0
	v_mul_lo_u32 v4, v2, s12
	v_mul_lo_u32 v2, v2, s13
	;; [unrolled: 1-line block ×4, first 2 shown]
	s_cmp_eq_u32 s68, s69
	v_add3_u32 v2, v2, v1, v5
	v_add3_u32 v0, v4, v0, v7
	s_cbranch_scc0 .LBB31_574
; %bb.575:
	v_mov_b32_e32 v1, v2
	s_branch .LBB31_578
.LBB31_576:
	s_mov_b64 s[0:1], -1
                                        ; implicit-def: $vgpr2
                                        ; implicit-def: $vgpr0
	s_branch .LBB31_583
.LBB31_577:
	s_mov_b32 s69, s68
	s_waitcnt vmcnt(0)
	v_pk_mov_b32 v[0:1], s[68:69], s[68:69] op_sel:[0,1]
                                        ; implicit-def: $vgpr2
	v_mov_b32_e32 v3, v12
.LBB31_578:
	s_and_b32 s8, s77, 3
	s_cmp_eq_u32 s8, 0
	s_cbranch_scc1 .LBB31_582
; %bb.579:
	s_lshl_b32 s0, s68, 3
	s_add_u32 s0, s0, s34
	s_addc_u32 s1, s35, 0
	s_add_u32 s0, s0, 0xc4
	s_addc_u32 s1, s1, 0
	s_mul_i32 s2, s68, 12
	s_add_u32 s2, s34, s2
	s_addc_u32 s3, s35, 0
.LBB31_580:                             ; =>This Inner Loop Header: Depth=1
	s_load_dwordx2 s[10:11], s[2:3], 0x4
	s_load_dword s9, s[2:3], 0xc
	s_load_dwordx2 s[12:13], s[0:1], 0x0
	v_mov_b32_e32 v2, v1
	s_add_u32 s2, s2, 12
	s_waitcnt lgkmcnt(0)
	v_mul_hi_u32 v1, s11, v3
	v_add_u32_e32 v1, v3, v1
	v_lshrrev_b32_e32 v1, s9, v1
	s_addc_u32 s3, s3, 0
	v_mul_lo_u32 v4, v1, s10
	s_add_u32 s0, s0, 8
	v_sub_u32_e32 v7, v3, v4
	v_mov_b32_e32 v3, v1
	s_addc_u32 s1, s1, 0
	s_add_i32 s8, s8, -1
	v_mad_u64_u32 v[4:5], s[10:11], v7, s13, v[2:3]
	v_mad_u64_u32 v[0:1], s[10:11], v7, s12, v[0:1]
	s_cmp_lg_u32 s8, 0
	v_mov_b32_e32 v1, v4
	s_cbranch_scc1 .LBB31_580
; %bb.581:
	v_mov_b32_e32 v2, v1
.LBB31_582:
	s_mov_b64 s[0:1], 0
.LBB31_583:
	s_andn2_b64 vcc, exec, s[0:1]
	s_cbranch_vccnz .LBB31_586
; %bb.584:
	v_mul_hi_u32 v0, s29, v12
	v_add_u32_e32 v0, v12, v0
	s_waitcnt vmcnt(0)
	v_lshrrev_b32_e32 v1, s30, v0
	v_mul_lo_u32 v0, v1, s28
	v_sub_u32_e32 v0, v12, v0
	v_mul_lo_u32 v2, v0, s37
	s_andn2_b64 vcc, exec, s[48:49]
	v_mul_lo_u32 v0, v0, s36
	s_cbranch_vccnz .LBB31_586
; %bb.585:
	v_mul_hi_u32 v3, s46, v1
	v_add_u32_e32 v3, v1, v3
	v_lshrrev_b32_e32 v3, s47, v3
	v_mul_lo_u32 v3, v3, s31
	v_sub_u32_e32 v3, v1, v3
	v_mad_u64_u32 v[0:1], s[0:1], v3, s38, v[0:1]
	v_mad_u64_u32 v[2:3], s[0:1], v3, s39, v[2:3]
.LBB31_586:
	s_waitcnt vmcnt(0)
	v_mov_b32_e32 v1, s27
	v_add_co_u32_e32 v2, vcc, s26, v2
	v_addc_co_u32_e32 v3, vcc, 0, v1, vcc
	v_cmp_gt_i16_e32 vcc, 11, v6
	s_cbranch_vccnz .LBB31_593
; %bb.587:
	v_cmp_lt_i16_e32 vcc, 25, v6
	s_cbranch_vccz .LBB31_594
; %bb.588:
	v_cmp_lt_i16_e32 vcc, 28, v6
	s_cbranch_vccz .LBB31_595
	;; [unrolled: 3-line block ×4, first 2 shown]
; %bb.591:
	v_cmp_eq_u16_e32 vcc, 46, v6
	s_mov_b64 s[8:9], 0
	s_cbranch_vccz .LBB31_602
; %bb.592:
	global_load_dword v1, v[2:3], off
	s_mov_b64 s[0:1], -1
	s_mov_b64 s[2:3], 0
	s_waitcnt vmcnt(0)
	v_lshlrev_b32_e32 v1, 16, v1
	s_branch .LBB31_603
.LBB31_593:
	s_mov_b64 s[8:9], -1
	s_mov_b64 s[0:1], 0
                                        ; implicit-def: $vgpr1
	s_mov_b64 s[2:3], s[60:61]
	s_branch .LBB31_668
.LBB31_594:
	s_mov_b64 s[8:9], -1
	s_mov_b64 s[0:1], 0
	s_mov_b64 s[2:3], s[60:61]
                                        ; implicit-def: $vgpr1
	s_branch .LBB31_632
.LBB31_595:
	s_mov_b64 s[8:9], -1
	s_mov_b64 s[0:1], 0
	s_mov_b64 s[2:3], s[60:61]
                                        ; implicit-def: $vgpr1
	s_branch .LBB31_613
.LBB31_596:
	s_mov_b64 s[8:9], -1
	s_mov_b64 s[0:1], 0
	s_mov_b64 s[2:3], s[60:61]
                                        ; implicit-def: $vgpr1
	s_branch .LBB31_608
.LBB31_597:
	s_or_saveexec_b64 s[12:13], s[12:13]
                                        ; implicit-def: $sgpr14
	s_xor_b64 exec, exec, s[12:13]
	s_cbranch_execz .LBB31_365
.LBB31_598:
	s_mov_b32 s14, 0x46000000
	v_add_f32_e64 v3, |v2|, s14
	v_and_b32_e32 v3, 0xff, v3
	v_cmp_ne_u32_e32 vcc, 0, v3
	s_andn2_b64 s[10:11], s[10:11], exec
	s_and_b64 s[16:17], vcc, exec
	s_mov_b32 s14, 0
	s_or_b64 s[10:11], s[10:11], s[16:17]
	s_or_b64 exec, exec, s[12:13]
	v_mov_b32_e32 v4, s14
	s_and_saveexec_b64 s[12:13], s[10:11]
	s_cbranch_execnz .LBB31_366
	s_branch .LBB31_367
.LBB31_599:
	s_mov_b64 s[8:9], -1
	s_mov_b64 s[0:1], 0
	s_mov_b64 s[2:3], s[60:61]
                                        ; implicit-def: $vgpr1
	s_branch .LBB31_603
.LBB31_600:
	s_or_saveexec_b64 s[12:13], s[12:13]
                                        ; implicit-def: $sgpr14
	s_xor_b64 exec, exec, s[12:13]
	s_cbranch_execz .LBB31_378
.LBB31_601:
	s_mov_b32 s14, 0x42800000
	v_add_f32_e64 v3, |v2|, s14
	v_and_b32_e32 v3, 0xff, v3
	v_cmp_ne_u32_e32 vcc, 0, v3
	s_andn2_b64 s[10:11], s[10:11], exec
	s_and_b64 s[16:17], vcc, exec
	s_mov_b32 s14, 0
	s_or_b64 s[10:11], s[10:11], s[16:17]
	s_or_b64 exec, exec, s[12:13]
	v_mov_b32_e32 v4, s14
	s_and_saveexec_b64 s[12:13], s[10:11]
	s_cbranch_execnz .LBB31_379
	s_branch .LBB31_380
.LBB31_602:
	s_mov_b64 s[2:3], -1
                                        ; implicit-def: $vgpr1
	s_mov_b64 s[0:1], 0
.LBB31_603:
	s_and_b64 vcc, exec, s[8:9]
	s_cbranch_vccz .LBB31_607
; %bb.604:
	v_cmp_eq_u16_e32 vcc, 44, v6
	s_cbranch_vccz .LBB31_606
; %bb.605:
	global_load_ubyte v1, v[2:3], off
	s_movk_i32 s2, 0xff
	v_mov_b32_e32 v4, 0x7f800001
	v_mov_b32_e32 v5, 0x400000
	s_mov_b64 s[0:1], -1
	s_waitcnt vmcnt(0)
	v_lshlrev_b32_e32 v7, 23, v1
	v_cmp_ne_u32_e32 vcc, s2, v1
	v_cndmask_b32_e32 v4, v4, v7, vcc
	v_cmp_ne_u32_e32 vcc, 0, v1
	v_cndmask_b32_e32 v1, v5, v4, vcc
	s_mov_b64 s[2:3], 0
	s_branch .LBB31_607
.LBB31_606:
	s_mov_b64 s[2:3], -1
                                        ; implicit-def: $vgpr1
.LBB31_607:
	s_mov_b64 s[8:9], 0
.LBB31_608:
	s_and_b64 vcc, exec, s[8:9]
	s_cbranch_vccz .LBB31_612
; %bb.609:
	v_cmp_eq_u16_e32 vcc, 29, v6
	s_cbranch_vccz .LBB31_611
; %bb.610:
	global_load_dwordx2 v[4:5], v[2:3], off
	s_mov_b64 s[0:1], -1
	s_mov_b64 s[2:3], 0
	s_mov_b64 s[8:9], 0
	s_waitcnt vmcnt(0)
	v_ffbh_u32_e32 v1, v5
	v_min_u32_e32 v1, 32, v1
	v_lshlrev_b64 v[4:5], v1, v[4:5]
	v_min_u32_e32 v4, 1, v4
	v_or_b32_e32 v4, v5, v4
	v_cvt_f32_u32_e32 v4, v4
	v_sub_u32_e32 v1, 32, v1
	v_ldexp_f32 v1, v4, v1
	s_branch .LBB31_613
.LBB31_611:
	s_mov_b64 s[2:3], -1
                                        ; implicit-def: $vgpr1
.LBB31_612:
	s_mov_b64 s[8:9], 0
.LBB31_613:
	s_and_b64 vcc, exec, s[8:9]
	s_cbranch_vccz .LBB31_631
; %bb.614:
	v_cmp_gt_i16_e32 vcc, 27, v6
	s_cbranch_vccnz .LBB31_617
; %bb.615:
	v_cmp_lt_i16_e32 vcc, 27, v6
	s_cbranch_vccz .LBB31_618
; %bb.616:
	global_load_dword v1, v[2:3], off
	s_mov_b64 s[0:1], 0
	s_waitcnt vmcnt(0)
	v_cvt_f32_u32_e32 v1, v1
	s_branch .LBB31_619
.LBB31_617:
	s_mov_b64 s[0:1], -1
                                        ; implicit-def: $vgpr1
	s_branch .LBB31_622
.LBB31_618:
	s_mov_b64 s[0:1], -1
                                        ; implicit-def: $vgpr1
.LBB31_619:
	s_andn2_b64 vcc, exec, s[0:1]
	s_cbranch_vccnz .LBB31_621
; %bb.620:
	global_load_ushort v1, v[2:3], off
	s_waitcnt vmcnt(0)
	v_cvt_f32_u32_e32 v1, v1
.LBB31_621:
	s_mov_b64 s[0:1], 0
.LBB31_622:
	s_andn2_b64 vcc, exec, s[0:1]
	s_cbranch_vccnz .LBB31_630
; %bb.623:
	global_load_ubyte v4, v[2:3], off
	s_movk_i32 s0, 0x7f
                                        ; implicit-def: $sgpr12
	s_waitcnt vmcnt(0)
	v_cmp_lt_i16_e32 vcc, s0, v4
	s_mov_b64 s[0:1], 0
	s_and_saveexec_b64 s[8:9], vcc
	s_xor_b64 s[8:9], exec, s[8:9]
	s_cbranch_execz .LBB31_644
; %bb.624:
	s_movk_i32 s0, 0x80
	v_cmp_eq_u16_e32 vcc, s0, v4
	s_mov_b64 s[0:1], -1
                                        ; implicit-def: $sgpr12
	s_and_saveexec_b64 s[10:11], vcc
; %bb.625:
	s_mov_b32 s12, 0x7f800001
	s_xor_b64 s[0:1], exec, -1
; %bb.626:
	s_or_b64 exec, exec, s[10:11]
	s_and_b64 s[0:1], s[0:1], exec
	s_or_saveexec_b64 s[8:9], s[8:9]
	v_mov_b32_e32 v1, s12
	s_xor_b64 exec, exec, s[8:9]
	s_cbranch_execnz .LBB31_645
.LBB31_627:
	s_or_b64 exec, exec, s[8:9]
	s_and_saveexec_b64 s[8:9], s[0:1]
	s_cbranch_execz .LBB31_629
.LBB31_628:
	v_lshlrev_b32_e32 v1, 24, v4
	v_and_b32_e32 v4, 0xffff, v4
	v_and_b32_e32 v5, 7, v4
	v_ffbh_u32_e32 v8, v5
	v_min_u32_e32 v8, 32, v8
	v_subrev_u32_e32 v9, 28, v8
	v_bfe_u32 v7, v4, 3, 4
	v_lshlrev_b32_e32 v4, v9, v4
	v_sub_u32_e32 v8, 29, v8
	v_and_b32_e32 v4, 7, v4
	v_cmp_eq_u32_e32 vcc, 0, v7
	v_cndmask_b32_e32 v7, v7, v8, vcc
	v_cndmask_b32_e32 v4, v5, v4, vcc
	v_mov_b32_e32 v5, 0x3b800000
	v_lshlrev_b32_e32 v4, 20, v4
	v_and_b32_e32 v1, 0x80000000, v1
	v_lshl_add_u32 v5, v7, 23, v5
	v_or3_b32 v1, v1, v5, v4
.LBB31_629:
	s_or_b64 exec, exec, s[8:9]
.LBB31_630:
	s_mov_b64 s[0:1], -1
.LBB31_631:
	s_mov_b64 s[8:9], 0
.LBB31_632:
	s_and_b64 vcc, exec, s[8:9]
	s_cbranch_vccz .LBB31_667
; %bb.633:
	v_cmp_lt_i16_e32 vcc, 22, v6
	s_cbranch_vccz .LBB31_643
; %bb.634:
	v_cmp_gt_i16_e32 vcc, 24, v6
	s_cbranch_vccnz .LBB31_646
; %bb.635:
	v_cmp_lt_i16_e32 vcc, 24, v6
	s_cbranch_vccz .LBB31_647
; %bb.636:
	global_load_ubyte v4, v[2:3], off
	s_movk_i32 s0, 0x7f
                                        ; implicit-def: $sgpr12
	s_waitcnt vmcnt(0)
	v_cmp_lt_i16_e32 vcc, s0, v4
	s_mov_b64 s[0:1], 0
	s_and_saveexec_b64 s[8:9], vcc
	s_xor_b64 s[8:9], exec, s[8:9]
	s_cbranch_execz .LBB31_659
; %bb.637:
	s_movk_i32 s0, 0x80
	v_cmp_eq_u16_e32 vcc, s0, v4
	s_mov_b64 s[0:1], -1
                                        ; implicit-def: $sgpr12
	s_and_saveexec_b64 s[10:11], vcc
; %bb.638:
	s_mov_b32 s12, 0x7f800001
	s_xor_b64 s[0:1], exec, -1
; %bb.639:
	s_or_b64 exec, exec, s[10:11]
	s_and_b64 s[0:1], s[0:1], exec
	s_or_saveexec_b64 s[8:9], s[8:9]
	v_mov_b32_e32 v1, s12
	s_xor_b64 exec, exec, s[8:9]
	s_cbranch_execnz .LBB31_660
.LBB31_640:
	s_or_b64 exec, exec, s[8:9]
	s_and_saveexec_b64 s[8:9], s[0:1]
	s_cbranch_execz .LBB31_642
.LBB31_641:
	v_lshlrev_b32_e32 v1, 24, v4
	v_and_b32_e32 v4, 0xffff, v4
	v_and_b32_e32 v5, 3, v4
	v_ffbh_u32_e32 v8, v5
	v_min_u32_e32 v8, 32, v8
	v_subrev_u32_e32 v9, 29, v8
	v_bfe_u32 v7, v4, 2, 5
	v_lshlrev_b32_e32 v4, v9, v4
	v_sub_u32_e32 v8, 30, v8
	v_and_b32_e32 v4, 3, v4
	v_cmp_eq_u32_e32 vcc, 0, v7
	v_cndmask_b32_e32 v7, v7, v8, vcc
	v_cndmask_b32_e32 v4, v5, v4, vcc
	v_mov_b32_e32 v5, 0x37800000
	v_lshlrev_b32_e32 v4, 21, v4
	v_and_b32_e32 v1, 0x80000000, v1
	v_lshl_add_u32 v5, v7, 23, v5
	v_or3_b32 v1, v1, v5, v4
.LBB31_642:
	s_or_b64 exec, exec, s[8:9]
	s_mov_b64 s[0:1], 0
	s_branch .LBB31_648
.LBB31_643:
	s_mov_b64 s[8:9], -1
                                        ; implicit-def: $vgpr1
	s_branch .LBB31_654
.LBB31_644:
	s_or_saveexec_b64 s[8:9], s[8:9]
	v_mov_b32_e32 v1, s12
	s_xor_b64 exec, exec, s[8:9]
	s_cbranch_execz .LBB31_627
.LBB31_645:
	v_cmp_ne_u16_e32 vcc, 0, v4
	s_andn2_b64 s[0:1], s[0:1], exec
	s_and_b64 s[10:11], vcc, exec
	v_mov_b32_e32 v1, 0
	s_or_b64 s[0:1], s[0:1], s[10:11]
	s_or_b64 exec, exec, s[8:9]
	s_and_saveexec_b64 s[8:9], s[0:1]
	s_cbranch_execnz .LBB31_628
	s_branch .LBB31_629
.LBB31_646:
	s_mov_b64 s[0:1], -1
                                        ; implicit-def: $vgpr1
	s_branch .LBB31_651
.LBB31_647:
	s_mov_b64 s[0:1], -1
                                        ; implicit-def: $vgpr1
.LBB31_648:
	s_and_b64 vcc, exec, s[0:1]
	s_cbranch_vccz .LBB31_650
; %bb.649:
	global_load_ubyte v1, v[2:3], off
	s_mov_b32 s0, 0x7f800000
	s_waitcnt vmcnt(0)
	v_lshlrev_b32_e32 v1, 24, v1
	v_and_b32_e32 v4, 0x7f000000, v1
	v_ffbh_u32_e32 v5, v4
	v_min_u32_e32 v5, 32, v5
	v_sub_u32_e64 v5, v5, 4 clamp
	v_lshlrev_b32_e32 v8, v5, v4
	v_lshlrev_b32_e32 v5, 23, v5
	v_lshrrev_b32_e32 v8, 4, v8
	v_add_u32_e32 v7, 0x1000000, v4
	v_sub_u32_e32 v5, v8, v5
	v_ashrrev_i32_e32 v7, 8, v7
	v_add_u32_e32 v5, 0x3c000000, v5
	v_and_or_b32 v5, v7, s0, v5
	v_cmp_ne_u32_e32 vcc, 0, v4
	v_cndmask_b32_e32 v4, 0, v5, vcc
	s_brev_b32 s0, 1
	v_and_or_b32 v1, v1, s0, v4
.LBB31_650:
	s_mov_b64 s[0:1], 0
.LBB31_651:
	s_andn2_b64 vcc, exec, s[0:1]
	s_cbranch_vccnz .LBB31_653
; %bb.652:
	global_load_ubyte v1, v[2:3], off
	s_movk_i32 s0, 0x7f00
	s_brev_b32 s1, 16
	s_waitcnt vmcnt(0)
	v_lshlrev_b16_e32 v4, 8, v1
	v_lshlrev_b32_e32 v1, 25, v1
	v_lshrrev_b32_e32 v5, 4, v1
	v_and_or_b32 v7, v4, s0, 0.5
	v_or_b32_e32 v5, 0x70000000, v5
	v_add_f32_e32 v7, -0.5, v7
	v_mul_f32_e32 v5, 0x7800000, v5
	v_cmp_gt_u32_e32 vcc, s1, v1
	v_bfe_i32 v4, v4, 0, 16
	v_cndmask_b32_e32 v1, v5, v7, vcc
	s_brev_b32 s0, 1
	v_and_or_b32 v1, v4, s0, v1
.LBB31_653:
	s_mov_b64 s[8:9], 0
	s_mov_b64 s[0:1], -1
.LBB31_654:
	s_andn2_b64 vcc, exec, s[8:9]
	s_cbranch_vccnz .LBB31_667
; %bb.655:
	v_cmp_lt_i16_e32 vcc, 14, v6
	s_cbranch_vccz .LBB31_658
; %bb.656:
	v_cmp_eq_u16_e32 vcc, 15, v6
	s_cbranch_vccz .LBB31_661
; %bb.657:
	global_load_ushort v1, v[2:3], off
	s_mov_b64 s[0:1], -1
	s_mov_b64 s[2:3], 0
	s_waitcnt vmcnt(0)
	v_lshlrev_b32_e32 v1, 16, v1
	s_branch .LBB31_662
.LBB31_658:
	s_mov_b64 s[8:9], -1
                                        ; implicit-def: $vgpr1
	s_branch .LBB31_663
.LBB31_659:
	s_or_saveexec_b64 s[8:9], s[8:9]
	v_mov_b32_e32 v1, s12
	s_xor_b64 exec, exec, s[8:9]
	s_cbranch_execz .LBB31_640
.LBB31_660:
	v_cmp_ne_u16_e32 vcc, 0, v4
	s_andn2_b64 s[0:1], s[0:1], exec
	s_and_b64 s[10:11], vcc, exec
	v_mov_b32_e32 v1, 0
	s_or_b64 s[0:1], s[0:1], s[10:11]
	s_or_b64 exec, exec, s[8:9]
	s_and_saveexec_b64 s[8:9], s[0:1]
	s_cbranch_execnz .LBB31_641
	s_branch .LBB31_642
.LBB31_661:
	s_mov_b64 s[2:3], -1
                                        ; implicit-def: $vgpr1
.LBB31_662:
	s_mov_b64 s[8:9], 0
.LBB31_663:
	s_and_b64 vcc, exec, s[8:9]
	s_cbranch_vccz .LBB31_667
; %bb.664:
	v_cmp_eq_u16_e32 vcc, 11, v6
	s_cbranch_vccz .LBB31_666
; %bb.665:
	global_load_ubyte v1, v[2:3], off
	s_mov_b64 s[0:1], -1
	s_mov_b64 s[2:3], 0
	s_waitcnt vmcnt(0)
	v_cmp_ne_u16_e32 vcc, 0, v1
	v_cndmask_b32_e64 v1, 0, 1.0, vcc
	s_branch .LBB31_667
.LBB31_666:
	s_mov_b64 s[2:3], -1
                                        ; implicit-def: $vgpr1
.LBB31_667:
	s_mov_b64 s[8:9], 0
.LBB31_668:
	s_and_b64 vcc, exec, s[8:9]
	s_cbranch_vccz .LBB31_717
; %bb.669:
	v_cmp_gt_i16_e32 vcc, 5, v6
	s_cbranch_vccnz .LBB31_674
; %bb.670:
	v_cmp_gt_i16_e32 vcc, 8, v6
	s_cbranch_vccnz .LBB31_675
	;; [unrolled: 3-line block ×3, first 2 shown]
; %bb.672:
	v_cmp_lt_i16_e32 vcc, 9, v6
	s_cbranch_vccz .LBB31_677
; %bb.673:
	global_load_dwordx2 v[4:5], v[2:3], off
	s_mov_b64 s[0:1], 0
	s_waitcnt vmcnt(0)
	v_cvt_f32_f64_e32 v1, v[4:5]
	s_branch .LBB31_678
.LBB31_674:
	s_mov_b64 s[0:1], -1
                                        ; implicit-def: $vgpr1
	s_branch .LBB31_696
.LBB31_675:
	s_mov_b64 s[0:1], -1
                                        ; implicit-def: $vgpr1
	s_branch .LBB31_684
.LBB31_676:
	s_mov_b64 s[0:1], -1
                                        ; implicit-def: $vgpr1
	s_branch .LBB31_681
.LBB31_677:
	s_mov_b64 s[0:1], -1
                                        ; implicit-def: $vgpr1
.LBB31_678:
	s_andn2_b64 vcc, exec, s[0:1]
	s_cbranch_vccnz .LBB31_680
; %bb.679:
	global_load_dword v1, v[2:3], off
.LBB31_680:
	s_mov_b64 s[0:1], 0
.LBB31_681:
	s_andn2_b64 vcc, exec, s[0:1]
	s_cbranch_vccnz .LBB31_683
; %bb.682:
	global_load_dword v1, v[2:3], off
	s_waitcnt vmcnt(0)
	v_cvt_f32_f16_e32 v1, v1
.LBB31_683:
	s_mov_b64 s[0:1], 0
.LBB31_684:
	s_andn2_b64 vcc, exec, s[0:1]
	s_cbranch_vccnz .LBB31_695
; %bb.685:
	v_cmp_gt_i16_e32 vcc, 6, v6
	s_cbranch_vccnz .LBB31_688
; %bb.686:
	v_cmp_lt_i16_e32 vcc, 6, v6
	s_cbranch_vccz .LBB31_689
; %bb.687:
	global_load_dwordx2 v[4:5], v[2:3], off
	s_mov_b64 s[0:1], 0
	s_waitcnt vmcnt(0)
	v_cvt_f32_f64_e32 v1, v[4:5]
	s_branch .LBB31_690
.LBB31_688:
	s_mov_b64 s[0:1], -1
                                        ; implicit-def: $vgpr1
	s_branch .LBB31_693
.LBB31_689:
	s_mov_b64 s[0:1], -1
                                        ; implicit-def: $vgpr1
.LBB31_690:
	s_andn2_b64 vcc, exec, s[0:1]
	s_cbranch_vccnz .LBB31_692
; %bb.691:
	global_load_dword v1, v[2:3], off
.LBB31_692:
	s_mov_b64 s[0:1], 0
.LBB31_693:
	s_andn2_b64 vcc, exec, s[0:1]
	s_cbranch_vccnz .LBB31_695
; %bb.694:
	global_load_ushort v1, v[2:3], off
	s_waitcnt vmcnt(0)
	v_cvt_f32_f16_e32 v1, v1
.LBB31_695:
	s_mov_b64 s[0:1], 0
.LBB31_696:
	s_andn2_b64 vcc, exec, s[0:1]
	s_cbranch_vccnz .LBB31_716
; %bb.697:
	v_cmp_gt_i16_e32 vcc, 2, v6
	s_cbranch_vccnz .LBB31_701
; %bb.698:
	v_cmp_gt_i16_e32 vcc, 3, v6
	s_cbranch_vccnz .LBB31_702
; %bb.699:
	v_cmp_lt_i16_e32 vcc, 3, v6
	s_cbranch_vccz .LBB31_703
; %bb.700:
	global_load_dwordx2 v[4:5], v[2:3], off
	s_mov_b64 s[0:1], 0
	s_waitcnt vmcnt(0)
	v_xor_b32_e32 v7, v4, v5
	v_ffbh_i32_e32 v1, v5
	v_ashrrev_i32_e32 v7, 31, v7
	v_add_u32_e32 v1, -1, v1
	v_add_u32_e32 v7, 32, v7
	v_min_u32_e32 v1, v1, v7
	v_lshlrev_b64 v[4:5], v1, v[4:5]
	v_min_u32_e32 v4, 1, v4
	v_or_b32_e32 v4, v5, v4
	v_cvt_f32_i32_e32 v4, v4
	v_sub_u32_e32 v1, 32, v1
	v_ldexp_f32 v1, v4, v1
	s_branch .LBB31_704
.LBB31_701:
	s_mov_b64 s[0:1], -1
                                        ; implicit-def: $vgpr1
	s_branch .LBB31_710
.LBB31_702:
	s_mov_b64 s[0:1], -1
                                        ; implicit-def: $vgpr1
	s_branch .LBB31_707
.LBB31_703:
	s_mov_b64 s[0:1], -1
                                        ; implicit-def: $vgpr1
.LBB31_704:
	s_andn2_b64 vcc, exec, s[0:1]
	s_cbranch_vccnz .LBB31_706
; %bb.705:
	global_load_dword v1, v[2:3], off
	s_waitcnt vmcnt(0)
	v_cvt_f32_i32_e32 v1, v1
.LBB31_706:
	s_mov_b64 s[0:1], 0
.LBB31_707:
	s_andn2_b64 vcc, exec, s[0:1]
	s_cbranch_vccnz .LBB31_709
; %bb.708:
	global_load_sshort v1, v[2:3], off
	s_waitcnt vmcnt(0)
	v_cvt_f32_i32_e32 v1, v1
.LBB31_709:
	s_mov_b64 s[0:1], 0
.LBB31_710:
	s_andn2_b64 vcc, exec, s[0:1]
	s_cbranch_vccnz .LBB31_716
; %bb.711:
	v_cmp_lt_i16_e32 vcc, 0, v6
	s_cbranch_vccz .LBB31_713
; %bb.712:
	global_load_sbyte v1, v[2:3], off
	s_mov_b64 s[0:1], 0
	s_waitcnt vmcnt(0)
	v_cvt_f32_i32_e32 v1, v1
	s_branch .LBB31_714
.LBB31_713:
	s_mov_b64 s[0:1], -1
                                        ; implicit-def: $vgpr1
.LBB31_714:
	s_andn2_b64 vcc, exec, s[0:1]
	s_cbranch_vccnz .LBB31_716
; %bb.715:
	global_load_ubyte v1, v[2:3], off
	s_waitcnt vmcnt(0)
	v_cvt_f32_ubyte0_e32 v1, v1
.LBB31_716:
	s_mov_b64 s[0:1], -1
.LBB31_717:
	s_andn2_b64 vcc, exec, s[0:1]
	s_cbranch_vccnz .LBB31_737
; %bb.718:
	s_waitcnt vmcnt(0)
	v_trunc_f32_e32 v1, v1
	s_mov_b32 s0, 0x2f800000
	v_mul_f32_e64 v2, |v1|, s0
	v_floor_f32_e32 v2, v2
	s_mov_b32 s0, 0xcf800000
	v_cvt_u32_f32_e32 v3, v2
	v_fma_f32 v2, v2, s0, |v1|
	v_cvt_u32_f32_e32 v2, v2
	v_ashrrev_i32_e32 v1, 31, v1
	v_xor_b32_e32 v3, v3, v1
	v_xor_b32_e32 v2, v2, v1
	v_sub_co_u32_e32 v4, vcc, v2, v1
	v_subb_co_u32_e32 v5, vcc, v3, v1, vcc
	v_cmp_lt_i64_e32 vcc, -1, v[4:5]
	v_mov_b32_e32 v2, 0
	s_and_saveexec_b64 s[0:1], vcc
	s_cbranch_execz .LBB31_730
; %bb.719:
	v_cmp_lt_i64_e32 vcc, 0, v[4:5]
	v_mov_b32_e32 v2, 1.0
	s_and_saveexec_b64 s[8:9], vcc
	s_cbranch_execz .LBB31_729
; %bb.720:
	v_cmp_ne_u64_e32 vcc, 1, v[4:5]
                                        ; implicit-def: $vgpr2
	s_and_saveexec_b64 s[10:11], vcc
	s_xor_b64 s[10:11], exec, s[10:11]
	s_cbranch_execz .LBB31_726
; %bb.721:
	s_mov_b64 s[12:13], 0x81
	v_cmp_gt_u64_e32 vcc, s[12:13], v[4:5]
	v_mov_b32_e32 v2, 0x7fc00000
	s_and_saveexec_b64 s[12:13], vcc
	s_cbranch_execz .LBB31_725
; %bb.722:
	s_mov_b64 s[16:17], 1
	s_mov_b64 s[14:15], 0
	v_mov_b32_e32 v2, s44
	v_mov_b32_e32 v1, 1.0
.LBB31_723:                             ; =>This Inner Loop Header: Depth=1
	s_flbit_i32_b32 s18, s17
	s_min_u32 s20, s18, 32
	s_lshl_b64 s[18:19], s[16:17], s20
	s_min_u32 s18, s18, 1
	s_or_b32 s18, s19, s18
	v_cvt_f32_u32_e32 v3, s18
	s_sub_i32 s20, 32, s20
	s_add_u32 s16, s16, 1
	s_addc_u32 s17, s17, 0
	v_ldexp_f32 v3, v3, s20
	v_cmp_eq_u64_e32 vcc, s[16:17], v[4:5]
	v_mul_f32_e32 v3, v1, v3
	s_or_b64 s[14:15], vcc, s[14:15]
	v_mov_b32_e32 v1, v2
	v_fma_f32 v2, s44, v2, -v3
	s_andn2_b64 exec, exec, s[14:15]
	s_cbranch_execnz .LBB31_723
; %bb.724:
	s_or_b64 exec, exec, s[14:15]
.LBB31_725:
	s_or_b64 exec, exec, s[12:13]
.LBB31_726:
	s_andn2_saveexec_b64 s[10:11], s[10:11]
; %bb.727:
	v_mov_b32_e32 v2, s44
; %bb.728:
	s_or_b64 exec, exec, s[10:11]
.LBB31_729:
	s_or_b64 exec, exec, s[8:9]
.LBB31_730:
	s_or_b64 exec, exec, s[0:1]
	v_mov_b32_e32 v1, s25
	v_add_co_u32_e32 v0, vcc, s24, v0
	v_mov_b32_e32 v3, 11
	v_addc_co_u32_e32 v1, vcc, 0, v1, vcc
	v_cmp_lt_i16_sdwa s[0:1], s45, v3 src0_sel:BYTE_0 src1_sel:DWORD
	s_and_b64 vcc, exec, s[0:1]
	s_cbranch_vccnz .LBB31_738
; %bb.731:
	v_mov_b32_e32 v3, 25
	v_cmp_gt_i16_sdwa s[0:1], s45, v3 src0_sel:BYTE_0 src1_sel:DWORD
	s_and_b64 vcc, exec, s[0:1]
	s_cbranch_vccz .LBB31_739
; %bb.732:
	v_mov_b32_e32 v3, 28
	v_cmp_gt_i16_sdwa s[0:1], s45, v3 src0_sel:BYTE_0 src1_sel:DWORD
	s_and_b64 vcc, exec, s[0:1]
	s_cbranch_vccz .LBB31_740
	;; [unrolled: 5-line block ×4, first 2 shown]
; %bb.735:
	v_mov_b32_e32 v3, 46
	v_cmp_eq_u16_sdwa s[8:9], s45, v3 src0_sel:BYTE_0 src1_sel:DWORD
	s_mov_b64 s[10:11], 0
	s_mov_b64 s[0:1], -1
	s_and_b64 vcc, exec, s[8:9]
	s_mov_b64 s[8:9], 0
	s_cbranch_vccz .LBB31_743
; %bb.736:
	v_bfe_u32 v3, v2, 16, 1
	s_movk_i32 s0, 0x7fff
	v_add3_u32 v3, v2, v3, s0
	v_lshrrev_b32_e32 v3, 16, v3
	v_mov_b32_e32 v4, 0x7fc0
	v_cmp_o_f32_e32 vcc, v2, v2
	v_cndmask_b32_e32 v3, v4, v3, vcc
	global_store_dword v[0:1], v3, off
	s_mov_b64 s[8:9], -1
	s_mov_b64 s[0:1], 0
	s_branch .LBB31_743
.LBB31_737:
	s_mov_b64 s[8:9], 0
	s_mov_b64 s[0:1], s[62:63]
	s_branch .LBB31_854
.LBB31_738:
	s_mov_b64 s[10:11], -1
	s_mov_b64 s[8:9], 0
	s_mov_b64 s[0:1], s[62:63]
	s_branch .LBB31_812
.LBB31_739:
	s_mov_b64 s[10:11], -1
	s_mov_b64 s[8:9], 0
	s_mov_b64 s[0:1], s[62:63]
	s_branch .LBB31_770
.LBB31_740:
	s_mov_b64 s[10:11], -1
	s_mov_b64 s[8:9], 0
	s_mov_b64 s[0:1], s[62:63]
	s_branch .LBB31_753
.LBB31_741:
	s_mov_b64 s[10:11], -1
	s_mov_b64 s[8:9], 0
	s_mov_b64 s[0:1], s[62:63]
	s_branch .LBB31_749
.LBB31_742:
	s_mov_b64 s[10:11], -1
	s_mov_b64 s[8:9], 0
	s_mov_b64 s[0:1], s[62:63]
.LBB31_743:
	s_and_b64 vcc, exec, s[10:11]
	s_cbranch_vccz .LBB31_748
; %bb.744:
	v_mov_b32_e32 v3, 44
	v_cmp_eq_u16_sdwa s[10:11], s45, v3 src0_sel:BYTE_0 src1_sel:DWORD
	s_mov_b64 s[0:1], -1
	s_and_b64 vcc, exec, s[10:11]
	s_cbranch_vccz .LBB31_748
; %bb.745:
	v_bfe_u32 v3, v2, 23, 8
	s_movk_i32 s0, 0xff
	v_cmp_ne_u32_e32 vcc, s0, v3
	v_mov_b32_e32 v4, 0xff
	s_and_saveexec_b64 s[8:9], vcc
; %bb.746:
	s_mov_b32 s0, 0x3fffff
	v_and_b32_e32 v5, 0x400000, v2
	v_and_or_b32 v3, v2, s0, v3
	v_cmp_ne_u32_e32 vcc, 0, v5
	v_cmp_ne_u32_e64 s[0:1], 0, v3
	s_and_b64 s[0:1], vcc, s[0:1]
	v_lshrrev_b32_e32 v4, 23, v2
	v_cndmask_b32_e64 v3, 0, 1, s[0:1]
	v_add_u32_e32 v4, v4, v3
; %bb.747:
	s_or_b64 exec, exec, s[8:9]
	s_mov_b64 s[8:9], -1
	s_mov_b64 s[0:1], 0
	global_store_byte v[0:1], v4, off
.LBB31_748:
	s_mov_b64 s[10:11], 0
.LBB31_749:
	s_and_b64 vcc, exec, s[10:11]
	s_cbranch_vccz .LBB31_752
; %bb.750:
	v_mov_b32_e32 v3, 29
	v_cmp_eq_u16_sdwa s[10:11], s45, v3 src0_sel:BYTE_0 src1_sel:DWORD
	s_mov_b64 s[0:1], -1
	s_and_b64 vcc, exec, s[10:11]
	s_cbranch_vccz .LBB31_752
; %bb.751:
	v_trunc_f32_e32 v3, v2
	v_mul_f32_e32 v4, 0x2f800000, v3
	v_floor_f32_e32 v4, v4
	v_fmac_f32_e32 v3, 0xcf800000, v4
	v_cvt_u32_f32_e32 v5, v4
	v_cvt_u32_f32_e32 v4, v3
	s_mov_b64 s[8:9], -1
	s_mov_b64 s[0:1], 0
	s_mov_b64 s[10:11], 0
	global_store_dwordx2 v[0:1], v[4:5], off
	s_branch .LBB31_753
.LBB31_752:
	s_mov_b64 s[10:11], 0
.LBB31_753:
	s_and_b64 vcc, exec, s[10:11]
	s_cbranch_vccz .LBB31_769
; %bb.754:
	v_mov_b32_e32 v3, 27
	v_cmp_lt_i16_sdwa s[10:11], s45, v3 src0_sel:BYTE_0 src1_sel:DWORD
	s_mov_b64 s[8:9], -1
	s_and_b64 vcc, exec, s[10:11]
	s_cbranch_vccnz .LBB31_760
; %bb.755:
	v_cmp_gt_i16_sdwa s[10:11], s45, v3 src0_sel:BYTE_0 src1_sel:DWORD
	v_cvt_u32_f32_e32 v3, v2
	s_and_b64 vcc, exec, s[10:11]
	s_cbranch_vccz .LBB31_757
; %bb.756:
	s_mov_b64 s[8:9], 0
	global_store_dword v[0:1], v3, off
.LBB31_757:
	s_andn2_b64 vcc, exec, s[8:9]
	s_cbranch_vccnz .LBB31_759
; %bb.758:
	global_store_short v[0:1], v3, off
.LBB31_759:
	s_mov_b64 s[8:9], 0
.LBB31_760:
	s_andn2_b64 vcc, exec, s[8:9]
	s_cbranch_vccnz .LBB31_768
; %bb.761:
	v_and_b32_e32 v3, 0x7fffffff, v2
	s_mov_b32 s8, 0x43800000
	v_cmp_gt_u32_e32 vcc, s8, v3
	v_mov_b32_e32 v4, 0x80
	s_and_saveexec_b64 s[8:9], vcc
	s_cbranch_execz .LBB31_767
; %bb.762:
	s_mov_b32 s10, 0x3bffffff
	v_cmp_lt_u32_e32 vcc, s10, v3
	s_mov_b64 s[10:11], 0
                                        ; implicit-def: $vgpr3
	s_and_saveexec_b64 s[12:13], vcc
	s_xor_b64 s[12:13], exec, s[12:13]
	s_cbranch_execz .LBB31_885
; %bb.763:
	v_bfe_u32 v3, v2, 20, 1
	s_mov_b32 s14, 0x487ffff
	v_add3_u32 v3, v2, v3, s14
	s_mov_b64 s[10:11], exec
	v_lshrrev_b32_e32 v3, 20, v3
	s_or_saveexec_b64 s[12:13], s[12:13]
                                        ; implicit-def: $sgpr14
	s_xor_b64 exec, exec, s[12:13]
	s_cbranch_execnz .LBB31_886
.LBB31_764:
	s_or_b64 exec, exec, s[12:13]
	v_mov_b32_e32 v4, s14
	s_and_saveexec_b64 s[12:13], s[10:11]
.LBB31_765:
	v_lshrrev_b32_e32 v4, 24, v2
	s_movk_i32 s10, 0x80
	v_and_or_b32 v4, v4, s10, v3
.LBB31_766:
	s_or_b64 exec, exec, s[12:13]
.LBB31_767:
	s_or_b64 exec, exec, s[8:9]
	global_store_byte v[0:1], v4, off
.LBB31_768:
	s_mov_b64 s[8:9], -1
.LBB31_769:
	s_mov_b64 s[10:11], 0
.LBB31_770:
	s_and_b64 vcc, exec, s[10:11]
	s_cbranch_vccz .LBB31_811
; %bb.771:
	v_mov_b32_e32 v3, 22
	v_cmp_gt_i16_sdwa s[12:13], s45, v3 src0_sel:BYTE_0 src1_sel:DWORD
	s_mov_b64 s[10:11], -1
	s_and_b64 vcc, exec, s[12:13]
	s_cbranch_vccz .LBB31_803
; %bb.772:
	v_mov_b32_e32 v3, 24
	v_cmp_lt_i16_sdwa s[10:11], s45, v3 src0_sel:BYTE_0 src1_sel:DWORD
	s_mov_b64 s[8:9], -1
	s_and_b64 vcc, exec, s[10:11]
	s_cbranch_vccnz .LBB31_792
; %bb.773:
	v_cmp_gt_i16_sdwa s[10:11], s45, v3 src0_sel:BYTE_0 src1_sel:DWORD
	s_and_b64 vcc, exec, s[10:11]
	s_cbranch_vccz .LBB31_781
; %bb.774:
	v_and_b32_e32 v3, 0x7fffffff, v2
	s_mov_b32 s8, 0x47800000
	v_cmp_gt_u32_e32 vcc, s8, v3
	v_mov_b32_e32 v4, 0x80
	s_and_saveexec_b64 s[8:9], vcc
	s_cbranch_execz .LBB31_780
; %bb.775:
	s_mov_b32 s10, 0x37ffffff
	v_cmp_lt_u32_e32 vcc, s10, v3
	s_mov_b64 s[10:11], 0
                                        ; implicit-def: $vgpr3
	s_and_saveexec_b64 s[12:13], vcc
	s_xor_b64 s[12:13], exec, s[12:13]
	s_cbranch_execz .LBB31_888
; %bb.776:
	v_bfe_u32 v3, v2, 21, 1
	s_mov_b32 s14, 0x88fffff
	v_add3_u32 v3, v2, v3, s14
	s_mov_b64 s[10:11], exec
	v_lshrrev_b32_e32 v3, 21, v3
	s_or_saveexec_b64 s[12:13], s[12:13]
                                        ; implicit-def: $sgpr14
	s_xor_b64 exec, exec, s[12:13]
	s_cbranch_execnz .LBB31_889
.LBB31_777:
	s_or_b64 exec, exec, s[12:13]
	v_mov_b32_e32 v4, s14
	s_and_saveexec_b64 s[12:13], s[10:11]
.LBB31_778:
	v_lshrrev_b32_e32 v4, 24, v2
	s_movk_i32 s10, 0x80
	v_and_or_b32 v4, v4, s10, v3
.LBB31_779:
	s_or_b64 exec, exec, s[12:13]
.LBB31_780:
	s_or_b64 exec, exec, s[8:9]
	s_mov_b64 s[8:9], 0
	global_store_byte v[0:1], v4, off
.LBB31_781:
	s_and_b64 vcc, exec, s[8:9]
	s_cbranch_vccz .LBB31_791
; %bb.782:
	v_and_b32_e32 v4, 0x7fffffff, v2
	s_mov_b32 s8, 0x43f00000
	v_cmp_gt_u32_e32 vcc, s8, v4
                                        ; implicit-def: $vgpr3
	s_and_saveexec_b64 s[8:9], vcc
	s_xor_b64 s[8:9], exec, s[8:9]
	s_cbranch_execz .LBB31_788
; %bb.783:
	s_mov_b32 s10, 0x3c7fffff
	v_cmp_lt_u32_e32 vcc, s10, v4
                                        ; implicit-def: $vgpr3
	s_and_saveexec_b64 s[10:11], vcc
	s_xor_b64 s[10:11], exec, s[10:11]
; %bb.784:
	v_bfe_u32 v3, v2, 20, 1
	s_mov_b32 s12, 0x407ffff
	v_add3_u32 v3, v2, v3, s12
	v_lshrrev_b32_e32 v4, 20, v3
	v_and_b32_e32 v3, 0xff00000, v3
	s_mov_b32 s12, 0x7f00000
	v_mov_b32_e32 v5, 0x7e
	v_cmp_ne_u32_e32 vcc, s12, v3
	v_cndmask_b32_e32 v3, v5, v4, vcc
; %bb.785:
	s_andn2_saveexec_b64 s[10:11], s[10:11]
; %bb.786:
	s_mov_b32 s12, 0x46800000
	v_add_f32_e64 v3, |v2|, s12
; %bb.787:
	s_or_b64 exec, exec, s[10:11]
                                        ; implicit-def: $vgpr4
.LBB31_788:
	s_andn2_saveexec_b64 s[8:9], s[8:9]
; %bb.789:
	s_mov_b32 s10, 0x7f800000
	v_mov_b32_e32 v3, 0x7e
	v_mov_b32_e32 v5, 0x7f
	v_cmp_lt_u32_e32 vcc, s10, v4
	v_cndmask_b32_e32 v3, v3, v5, vcc
; %bb.790:
	s_or_b64 exec, exec, s[8:9]
	v_lshrrev_b32_e32 v4, 24, v2
	s_movk_i32 s8, 0x80
	v_and_or_b32 v3, v4, s8, v3
	global_store_byte v[0:1], v3, off
.LBB31_791:
	s_mov_b64 s[8:9], 0
.LBB31_792:
	s_andn2_b64 vcc, exec, s[8:9]
	s_cbranch_vccnz .LBB31_802
; %bb.793:
	v_and_b32_e32 v4, 0x7fffffff, v2
	s_mov_b32 s8, 0x47800000
	v_cmp_gt_u32_e32 vcc, s8, v4
                                        ; implicit-def: $vgpr3
	s_and_saveexec_b64 s[8:9], vcc
	s_xor_b64 s[8:9], exec, s[8:9]
	s_cbranch_execz .LBB31_799
; %bb.794:
	s_mov_b32 s10, 0x387fffff
	v_cmp_lt_u32_e32 vcc, s10, v4
                                        ; implicit-def: $vgpr3
	s_and_saveexec_b64 s[10:11], vcc
	s_xor_b64 s[10:11], exec, s[10:11]
; %bb.795:
	v_bfe_u32 v3, v2, 21, 1
	s_mov_b32 s12, 0x80fffff
	v_add3_u32 v3, v2, v3, s12
	v_lshrrev_b32_e32 v3, 21, v3
; %bb.796:
	s_andn2_saveexec_b64 s[10:11], s[10:11]
; %bb.797:
	s_mov_b32 s12, 0x43000000
	v_add_f32_e64 v3, |v2|, s12
; %bb.798:
	s_or_b64 exec, exec, s[10:11]
                                        ; implicit-def: $vgpr4
.LBB31_799:
	s_andn2_saveexec_b64 s[8:9], s[8:9]
; %bb.800:
	s_mov_b32 s10, 0x7f800000
	v_mov_b32_e32 v3, 0x7c
	v_mov_b32_e32 v5, 0x7f
	v_cmp_lt_u32_e32 vcc, s10, v4
	v_cndmask_b32_e32 v3, v3, v5, vcc
; %bb.801:
	s_or_b64 exec, exec, s[8:9]
	v_lshrrev_b32_e32 v4, 24, v2
	s_movk_i32 s8, 0x80
	v_and_or_b32 v3, v4, s8, v3
	global_store_byte v[0:1], v3, off
.LBB31_802:
	s_mov_b64 s[10:11], 0
	s_mov_b64 s[8:9], -1
.LBB31_803:
	s_andn2_b64 vcc, exec, s[10:11]
	s_cbranch_vccnz .LBB31_811
; %bb.804:
	v_mov_b32_e32 v3, 14
	v_cmp_gt_i16_sdwa s[12:13], s45, v3 src0_sel:BYTE_0 src1_sel:DWORD
	s_mov_b64 s[10:11], -1
	s_and_b64 vcc, exec, s[12:13]
	s_cbranch_vccz .LBB31_808
; %bb.805:
	v_mov_b32_e32 v3, 15
	v_cmp_eq_u16_sdwa s[10:11], s45, v3 src0_sel:BYTE_0 src1_sel:DWORD
	s_mov_b64 s[0:1], -1
	s_and_b64 vcc, exec, s[10:11]
	s_cbranch_vccz .LBB31_807
; %bb.806:
	v_bfe_u32 v3, v2, 16, 1
	s_movk_i32 s0, 0x7fff
	v_add3_u32 v3, v2, v3, s0
	v_lshrrev_b32_e32 v3, 16, v3
	v_mov_b32_e32 v4, 0x7fc0
	v_cmp_o_f32_e32 vcc, v2, v2
	v_cndmask_b32_e32 v3, v4, v3, vcc
	global_store_short v[0:1], v3, off
	s_mov_b64 s[8:9], -1
	s_mov_b64 s[0:1], 0
.LBB31_807:
	s_mov_b64 s[10:11], 0
.LBB31_808:
	s_and_b64 vcc, exec, s[10:11]
	s_cbranch_vccz .LBB31_811
; %bb.809:
	v_mov_b32_e32 v3, 11
	v_cmp_eq_u16_sdwa s[10:11], s45, v3 src0_sel:BYTE_0 src1_sel:DWORD
	s_mov_b64 s[0:1], -1
	s_and_b64 vcc, exec, s[10:11]
	s_cbranch_vccz .LBB31_811
; %bb.810:
	v_cmp_neq_f32_e32 vcc, 0, v2
	v_cndmask_b32_e64 v3, 0, 1, vcc
	s_mov_b64 s[8:9], -1
	s_mov_b64 s[0:1], 0
	global_store_byte v[0:1], v3, off
.LBB31_811:
	s_mov_b64 s[10:11], 0
.LBB31_812:
	s_and_b64 vcc, exec, s[10:11]
	s_cbranch_vccz .LBB31_851
; %bb.813:
	v_mov_b32_e32 v3, 5
	v_cmp_lt_i16_sdwa s[10:11], s45, v3 src0_sel:BYTE_0 src1_sel:DWORD
	s_mov_b64 s[8:9], -1
	s_and_b64 vcc, exec, s[10:11]
	s_cbranch_vccnz .LBB31_834
; %bb.814:
	v_mov_b32_e32 v3, 8
	v_cmp_lt_i16_sdwa s[10:11], s45, v3 src0_sel:BYTE_0 src1_sel:DWORD
	s_and_b64 vcc, exec, s[10:11]
	s_cbranch_vccnz .LBB31_824
; %bb.815:
	v_mov_b32_e32 v3, 9
	v_cmp_lt_i16_sdwa s[10:11], s45, v3 src0_sel:BYTE_0 src1_sel:DWORD
	s_and_b64 vcc, exec, s[10:11]
	s_cbranch_vccnz .LBB31_821
; %bb.816:
	v_cmp_gt_i16_sdwa s[10:11], s45, v3 src0_sel:BYTE_0 src1_sel:DWORD
	s_and_b64 vcc, exec, s[10:11]
	s_cbranch_vccz .LBB31_818
; %bb.817:
	v_mov_b32_e32 v10, 0
	v_cvt_f64_f32_e32 v[8:9], v2
	v_mov_b32_e32 v11, v10
	s_mov_b64 s[8:9], 0
	global_store_dwordx4 v[0:1], v[8:11], off
.LBB31_818:
	s_andn2_b64 vcc, exec, s[8:9]
	s_cbranch_vccnz .LBB31_820
; %bb.819:
	v_mov_b32_e32 v3, 0
	global_store_dwordx2 v[0:1], v[2:3], off
.LBB31_820:
	s_mov_b64 s[8:9], 0
.LBB31_821:
	s_andn2_b64 vcc, exec, s[8:9]
	s_cbranch_vccnz .LBB31_823
; %bb.822:
	v_cvt_f16_f32_e32 v3, v2
	global_store_dword v[0:1], v3, off
.LBB31_823:
	s_mov_b64 s[8:9], 0
.LBB31_824:
	s_andn2_b64 vcc, exec, s[8:9]
	s_cbranch_vccnz .LBB31_833
; %bb.825:
	v_mov_b32_e32 v3, 6
	v_cmp_lt_i16_sdwa s[10:11], s45, v3 src0_sel:BYTE_0 src1_sel:DWORD
	s_mov_b64 s[8:9], -1
	s_and_b64 vcc, exec, s[10:11]
	s_cbranch_vccnz .LBB31_831
; %bb.826:
	v_cmp_gt_i16_sdwa s[10:11], s45, v3 src0_sel:BYTE_0 src1_sel:DWORD
	s_and_b64 vcc, exec, s[10:11]
	s_cbranch_vccz .LBB31_828
; %bb.827:
	v_cvt_f64_f32_e32 v[4:5], v2
	s_mov_b64 s[8:9], 0
	global_store_dwordx2 v[0:1], v[4:5], off
.LBB31_828:
	s_andn2_b64 vcc, exec, s[8:9]
	s_cbranch_vccnz .LBB31_830
; %bb.829:
	global_store_dword v[0:1], v2, off
.LBB31_830:
	s_mov_b64 s[8:9], 0
.LBB31_831:
	s_andn2_b64 vcc, exec, s[8:9]
	s_cbranch_vccnz .LBB31_833
; %bb.832:
	v_cvt_f16_f32_e32 v3, v2
	global_store_short v[0:1], v3, off
.LBB31_833:
	s_mov_b64 s[8:9], 0
.LBB31_834:
	s_andn2_b64 vcc, exec, s[8:9]
	s_cbranch_vccnz .LBB31_850
; %bb.835:
	v_mov_b32_e32 v3, 2
	v_cmp_lt_i16_sdwa s[10:11], s45, v3 src0_sel:BYTE_0 src1_sel:DWORD
	s_mov_b64 s[8:9], -1
	s_and_b64 vcc, exec, s[10:11]
	s_cbranch_vccnz .LBB31_845
; %bb.836:
	v_mov_b32_e32 v3, 3
	v_cmp_lt_i16_sdwa s[10:11], s45, v3 src0_sel:BYTE_0 src1_sel:DWORD
	s_and_b64 vcc, exec, s[10:11]
	s_cbranch_vccnz .LBB31_842
; %bb.837:
	v_cmp_gt_i16_sdwa s[10:11], s45, v3 src0_sel:BYTE_0 src1_sel:DWORD
	s_and_b64 vcc, exec, s[10:11]
	s_cbranch_vccz .LBB31_839
; %bb.838:
	v_trunc_f32_e32 v3, v2
	s_mov_b32 s8, 0x2f800000
	v_mul_f32_e64 v4, |v3|, s8
	v_floor_f32_e32 v4, v4
	s_mov_b32 s8, 0xcf800000
	v_cvt_u32_f32_e32 v5, v4
	v_fma_f32 v4, v4, s8, |v3|
	v_cvt_u32_f32_e32 v4, v4
	v_ashrrev_i32_e32 v3, 31, v3
	v_xor_b32_e32 v5, v5, v3
	s_mov_b64 s[8:9], 0
	v_xor_b32_e32 v4, v4, v3
	v_sub_co_u32_e32 v4, vcc, v4, v3
	v_subb_co_u32_e32 v5, vcc, v5, v3, vcc
	global_store_dwordx2 v[0:1], v[4:5], off
.LBB31_839:
	s_andn2_b64 vcc, exec, s[8:9]
	s_cbranch_vccnz .LBB31_841
; %bb.840:
	v_cvt_i32_f32_e32 v3, v2
	global_store_dword v[0:1], v3, off
.LBB31_841:
	s_mov_b64 s[8:9], 0
.LBB31_842:
	s_andn2_b64 vcc, exec, s[8:9]
	s_cbranch_vccnz .LBB31_844
; %bb.843:
	v_cvt_i32_f32_e32 v3, v2
	global_store_short v[0:1], v3, off
.LBB31_844:
	s_mov_b64 s[8:9], 0
.LBB31_845:
	s_andn2_b64 vcc, exec, s[8:9]
	s_cbranch_vccnz .LBB31_850
; %bb.846:
	v_mov_b32_e32 v3, 0
	v_cmp_gt_i16_sdwa s[10:11], s45, v3 src0_sel:BYTE_0 src1_sel:DWORD
	s_mov_b64 s[8:9], -1
	s_and_b64 vcc, exec, s[10:11]
	s_cbranch_vccz .LBB31_848
; %bb.847:
	v_cvt_i32_f32_e32 v3, v2
	s_mov_b64 s[8:9], 0
	global_store_byte v[0:1], v3, off
.LBB31_848:
	s_andn2_b64 vcc, exec, s[8:9]
	s_cbranch_vccnz .LBB31_850
; %bb.849:
	v_trunc_f32_e32 v2, v2
	s_mov_b32 s8, 0x2f800000
	v_mul_f32_e64 v3, |v2|, s8
	v_floor_f32_e32 v3, v3
	s_mov_b32 s8, 0xcf800000
	v_fma_f32 v3, v3, s8, |v2|
	v_cvt_u32_f32_e32 v3, v3
	v_ashrrev_i32_e32 v2, 31, v2
	v_xor_b32_e32 v3, v3, v2
	v_sub_u32_e32 v2, v3, v2
	global_store_byte v[0:1], v2, off
.LBB31_850:
	s_mov_b64 s[8:9], -1
.LBB31_851:
	s_andn2_b64 vcc, exec, s[8:9]
	s_cbranch_vccnz .LBB31_853
; %bb.852:
	v_add_u32_e32 v12, 0x80, v12
	s_mov_b64 s[8:9], -1
	s_branch .LBB31_855
.LBB31_853:
	s_mov_b64 s[8:9], 0
.LBB31_854:
                                        ; implicit-def: $vgpr12
.LBB31_855:
	s_andn2_b64 s[10:11], s[62:63], exec
	s_and_b64 s[0:1], s[0:1], exec
	s_or_b64 s[70:71], s[10:11], s[0:1]
	s_andn2_b64 s[0:1], s[60:61], exec
	s_and_b64 s[2:3], s[2:3], exec
	s_or_b64 s[68:69], s[0:1], s[2:3]
	s_orn2_b64 s[2:3], s[8:9], exec
.LBB31_856:
	s_or_b64 exec, exec, s[66:67]
	s_mov_b64 s[0:1], 0
	s_mov_b64 s[8:9], 0
	;; [unrolled: 1-line block ×3, first 2 shown]
                                        ; implicit-def: $vgpr2_vgpr3
                                        ; implicit-def: $vgpr0
                                        ; implicit-def: $vgpr7
	s_and_saveexec_b64 s[66:67], s[2:3]
	s_cbranch_execz .LBB31_956
; %bb.857:
	v_cmp_gt_i32_e32 vcc, s74, v12
	s_mov_b64 s[2:3], 0
	s_mov_b64 s[12:13], s[68:69]
                                        ; implicit-def: $vgpr2_vgpr3
                                        ; implicit-def: $vgpr0
                                        ; implicit-def: $vgpr7
	s_and_saveexec_b64 s[72:73], vcc
	s_cbranch_execz .LBB31_955
; %bb.858:
	s_andn2_b64 vcc, exec, s[40:41]
	s_cbranch_vccnz .LBB31_864
; %bb.859:
	s_mov_b32 s74, 0
	s_andn2_b64 vcc, exec, s[52:53]
	v_mov_b32_e32 v2, 0
	v_mov_b32_e32 v0, 0
	s_cbranch_vccnz .LBB31_870
; %bb.860:
	s_add_i32 s77, s75, 1
	s_cmp_eq_u32 s76, 2
	s_cbranch_scc1 .LBB31_865
; %bb.861:
	s_and_b32 s74, s77, 28
	s_mov_b32 s75, 0
	v_mov_b32_e32 v0, 0
	s_mov_b64 s[52:53], s[34:35]
	v_mov_b32_e32 v3, v12
	v_mov_b32_e32 v2, 0
.LBB31_862:                             ; =>This Inner Loop Header: Depth=1
	s_load_dwordx8 s[16:23], s[52:53], 0x4
	s_load_dwordx4 s[0:3], s[52:53], 0x24
	s_load_dwordx8 s[8:15], s[50:51], 0x0
	s_add_u32 s52, s52, 48
	s_addc_u32 s53, s53, 0
	s_waitcnt vmcnt(0) lgkmcnt(0)
	v_mul_hi_u32 v1, s17, v3
	v_add_u32_e32 v1, v3, v1
	v_lshrrev_b32_e32 v1, s18, v1
	v_mul_lo_u32 v4, v1, s16
	v_mul_hi_u32 v5, s20, v1
	v_sub_u32_e32 v3, v3, v4
	v_add_u32_e32 v4, v1, v5
	v_lshrrev_b32_e32 v4, s21, v4
	v_mul_lo_u32 v7, v4, s19
	v_mul_hi_u32 v8, s23, v4
	v_sub_u32_e32 v1, v1, v7
	v_add_u32_e32 v7, v4, v8
	v_mul_lo_u32 v5, v3, s9
	v_mul_lo_u32 v3, v3, s8
	;; [unrolled: 1-line block ×4, first 2 shown]
	v_lshrrev_b32_e32 v7, s0, v7
	v_add3_u32 v0, v3, v0, v1
	v_mul_hi_u32 v3, s2, v7
	v_add_u32_e32 v3, v7, v3
	v_lshrrev_b32_e32 v3, s3, v3
	s_add_i32 s75, s75, 4
	v_add3_u32 v1, v5, v2, v8
	v_mul_lo_u32 v2, v7, s22
	v_mul_lo_u32 v5, v3, s1
	s_add_u32 s50, s50, 32
	v_sub_u32_e32 v2, v4, v2
	v_sub_u32_e32 v5, v7, v5
	s_addc_u32 s51, s51, 0
	v_mul_lo_u32 v4, v2, s12
	v_mul_lo_u32 v2, v2, s13
	;; [unrolled: 1-line block ×4, first 2 shown]
	s_cmp_eq_u32 s74, s75
	v_add3_u32 v2, v2, v1, v5
	v_add3_u32 v0, v4, v0, v7
	s_cbranch_scc0 .LBB31_862
; %bb.863:
	v_mov_b32_e32 v1, v2
	s_branch .LBB31_866
.LBB31_864:
	s_mov_b64 s[0:1], -1
                                        ; implicit-def: $vgpr2
                                        ; implicit-def: $vgpr0
	s_branch .LBB31_871
.LBB31_865:
	s_mov_b32 s75, s74
	s_waitcnt vmcnt(0)
	v_pk_mov_b32 v[0:1], s[74:75], s[74:75] op_sel:[0,1]
                                        ; implicit-def: $vgpr2
	v_mov_b32_e32 v3, v12
.LBB31_866:
	s_and_b32 s8, s77, 3
	s_cmp_eq_u32 s8, 0
	s_cbranch_scc1 .LBB31_870
; %bb.867:
	s_lshl_b32 s0, s74, 3
	s_add_u32 s0, s0, s34
	s_addc_u32 s1, s35, 0
	s_add_u32 s0, s0, 0xc4
	s_addc_u32 s1, s1, 0
	s_mul_i32 s2, s74, 12
	s_add_u32 s2, s34, s2
	s_addc_u32 s3, s35, 0
.LBB31_868:                             ; =>This Inner Loop Header: Depth=1
	s_load_dwordx2 s[10:11], s[2:3], 0x4
	s_load_dword s9, s[2:3], 0xc
	s_load_dwordx2 s[12:13], s[0:1], 0x0
	v_mov_b32_e32 v2, v1
	s_add_u32 s2, s2, 12
	s_waitcnt lgkmcnt(0)
	v_mul_hi_u32 v1, s11, v3
	v_add_u32_e32 v1, v3, v1
	v_lshrrev_b32_e32 v1, s9, v1
	s_addc_u32 s3, s3, 0
	v_mul_lo_u32 v4, v1, s10
	s_add_u32 s0, s0, 8
	v_sub_u32_e32 v7, v3, v4
	v_mov_b32_e32 v3, v1
	s_addc_u32 s1, s1, 0
	s_add_i32 s8, s8, -1
	v_mad_u64_u32 v[4:5], s[10:11], v7, s13, v[2:3]
	v_mad_u64_u32 v[0:1], s[10:11], v7, s12, v[0:1]
	s_cmp_lg_u32 s8, 0
	v_mov_b32_e32 v1, v4
	s_cbranch_scc1 .LBB31_868
; %bb.869:
	v_mov_b32_e32 v2, v1
.LBB31_870:
	s_mov_b64 s[0:1], 0
.LBB31_871:
	s_andn2_b64 vcc, exec, s[0:1]
	s_cbranch_vccnz .LBB31_874
; %bb.872:
	v_mul_hi_u32 v0, s29, v12
	v_add_u32_e32 v0, v12, v0
	s_waitcnt vmcnt(0)
	v_lshrrev_b32_e32 v1, s30, v0
	v_mul_lo_u32 v0, v1, s28
	v_sub_u32_e32 v0, v12, v0
	v_mul_lo_u32 v2, v0, s37
	s_andn2_b64 vcc, exec, s[48:49]
	v_mul_lo_u32 v0, v0, s36
	s_cbranch_vccnz .LBB31_874
; %bb.873:
	v_mul_hi_u32 v3, s46, v1
	v_add_u32_e32 v3, v1, v3
	v_lshrrev_b32_e32 v3, s47, v3
	v_mul_lo_u32 v3, v3, s31
	v_sub_u32_e32 v3, v1, v3
	v_mad_u64_u32 v[0:1], s[0:1], v3, s38, v[0:1]
	v_mad_u64_u32 v[2:3], s[0:1], v3, s39, v[2:3]
.LBB31_874:
	s_waitcnt vmcnt(0)
	v_mov_b32_e32 v1, s27
	v_add_co_u32_e32 v2, vcc, s26, v2
	v_addc_co_u32_e32 v3, vcc, 0, v1, vcc
	v_cmp_gt_i16_e32 vcc, 11, v6
	s_cbranch_vccnz .LBB31_881
; %bb.875:
	v_cmp_lt_i16_e32 vcc, 25, v6
	s_mov_b64 s[2:3], 0
	s_cbranch_vccz .LBB31_882
; %bb.876:
	v_cmp_lt_i16_e32 vcc, 28, v6
	s_cbranch_vccz .LBB31_883
; %bb.877:
	v_cmp_lt_i16_e32 vcc, 43, v6
	;; [unrolled: 3-line block ×3, first 2 shown]
	s_cbranch_vccz .LBB31_887
; %bb.879:
	v_cmp_eq_u16_e32 vcc, 46, v6
	s_mov_b64 s[10:11], 0
	s_cbranch_vccz .LBB31_890
; %bb.880:
	global_load_dword v1, v[2:3], off
	s_mov_b64 s[0:1], 0
	s_mov_b64 s[8:9], -1
	s_waitcnt vmcnt(0)
	v_lshlrev_b32_e32 v7, 16, v1
	s_branch .LBB31_891
.LBB31_881:
	s_mov_b64 s[12:13], -1
	s_mov_b64 s[8:9], 0
	s_mov_b64 s[2:3], 0
	;; [unrolled: 1-line block ×3, first 2 shown]
                                        ; implicit-def: $vgpr7
	s_branch .LBB31_954
.LBB31_882:
	s_mov_b64 s[10:11], -1
	s_mov_b64 s[8:9], 0
	s_mov_b64 s[0:1], s[68:69]
                                        ; implicit-def: $vgpr7
	s_branch .LBB31_920
.LBB31_883:
	s_mov_b64 s[10:11], -1
	s_mov_b64 s[8:9], 0
	s_mov_b64 s[0:1], s[68:69]
                                        ; implicit-def: $vgpr7
	s_branch .LBB31_901
.LBB31_884:
	s_mov_b64 s[10:11], -1
	s_mov_b64 s[8:9], 0
	s_mov_b64 s[0:1], s[68:69]
                                        ; implicit-def: $vgpr7
	s_branch .LBB31_896
.LBB31_885:
	s_or_saveexec_b64 s[12:13], s[12:13]
                                        ; implicit-def: $sgpr14
	s_xor_b64 exec, exec, s[12:13]
	s_cbranch_execz .LBB31_764
.LBB31_886:
	s_mov_b32 s14, 0x46000000
	v_add_f32_e64 v3, |v2|, s14
	v_and_b32_e32 v3, 0xff, v3
	v_cmp_ne_u32_e32 vcc, 0, v3
	s_andn2_b64 s[10:11], s[10:11], exec
	s_and_b64 s[16:17], vcc, exec
	s_mov_b32 s14, 0
	s_or_b64 s[10:11], s[10:11], s[16:17]
	s_or_b64 exec, exec, s[12:13]
	v_mov_b32_e32 v4, s14
	s_and_saveexec_b64 s[12:13], s[10:11]
	s_cbranch_execnz .LBB31_765
	s_branch .LBB31_766
.LBB31_887:
	s_mov_b64 s[10:11], -1
	s_mov_b64 s[8:9], 0
	s_mov_b64 s[0:1], s[68:69]
                                        ; implicit-def: $vgpr7
	s_branch .LBB31_891
.LBB31_888:
	s_or_saveexec_b64 s[12:13], s[12:13]
                                        ; implicit-def: $sgpr14
	s_xor_b64 exec, exec, s[12:13]
	s_cbranch_execz .LBB31_777
.LBB31_889:
	s_mov_b32 s14, 0x42800000
	v_add_f32_e64 v3, |v2|, s14
	v_and_b32_e32 v3, 0xff, v3
	v_cmp_ne_u32_e32 vcc, 0, v3
	s_andn2_b64 s[10:11], s[10:11], exec
	s_and_b64 s[16:17], vcc, exec
	s_mov_b32 s14, 0
	s_or_b64 s[10:11], s[10:11], s[16:17]
	s_or_b64 exec, exec, s[12:13]
	v_mov_b32_e32 v4, s14
	s_and_saveexec_b64 s[12:13], s[10:11]
	s_cbranch_execnz .LBB31_778
	s_branch .LBB31_779
.LBB31_890:
	s_mov_b64 s[0:1], -1
                                        ; implicit-def: $vgpr7
	s_mov_b64 s[8:9], 0
.LBB31_891:
	s_and_b64 vcc, exec, s[10:11]
	s_cbranch_vccz .LBB31_895
; %bb.892:
	v_cmp_eq_u16_e32 vcc, 44, v6
	s_cbranch_vccz .LBB31_894
; %bb.893:
	global_load_ubyte v1, v[2:3], off
	s_movk_i32 s8, 0xff
	v_mov_b32_e32 v4, 0x7f800001
	v_mov_b32_e32 v5, 0x400000
	s_mov_b64 s[0:1], 0
	s_waitcnt vmcnt(0)
	v_lshlrev_b32_e32 v7, 23, v1
	v_cmp_ne_u32_e32 vcc, s8, v1
	v_cndmask_b32_e32 v4, v4, v7, vcc
	v_cmp_ne_u32_e32 vcc, 0, v1
	v_cndmask_b32_e32 v7, v5, v4, vcc
	s_mov_b64 s[8:9], -1
	s_branch .LBB31_895
.LBB31_894:
	s_mov_b64 s[0:1], -1
                                        ; implicit-def: $vgpr7
.LBB31_895:
	s_mov_b64 s[10:11], 0
.LBB31_896:
	s_and_b64 vcc, exec, s[10:11]
	s_cbranch_vccz .LBB31_900
; %bb.897:
	v_cmp_eq_u16_e32 vcc, 29, v6
	s_cbranch_vccz .LBB31_899
; %bb.898:
	global_load_dwordx2 v[4:5], v[2:3], off
	s_mov_b64 s[0:1], 0
	s_mov_b64 s[8:9], -1
	s_mov_b64 s[10:11], 0
	s_waitcnt vmcnt(0)
	v_ffbh_u32_e32 v1, v5
	v_min_u32_e32 v1, 32, v1
	v_lshlrev_b64 v[4:5], v1, v[4:5]
	v_min_u32_e32 v4, 1, v4
	v_or_b32_e32 v4, v5, v4
	v_cvt_f32_u32_e32 v4, v4
	v_sub_u32_e32 v1, 32, v1
	v_ldexp_f32 v7, v4, v1
	s_branch .LBB31_901
.LBB31_899:
	s_mov_b64 s[0:1], -1
                                        ; implicit-def: $vgpr7
.LBB31_900:
	s_mov_b64 s[10:11], 0
.LBB31_901:
	s_and_b64 vcc, exec, s[10:11]
	s_cbranch_vccz .LBB31_919
; %bb.902:
	v_cmp_gt_i16_e32 vcc, 27, v6
	s_cbranch_vccnz .LBB31_905
; %bb.903:
	v_cmp_lt_i16_e32 vcc, 27, v6
	s_cbranch_vccz .LBB31_906
; %bb.904:
	global_load_dword v1, v[2:3], off
	s_mov_b64 s[8:9], 0
	s_waitcnt vmcnt(0)
	v_cvt_f32_u32_e32 v7, v1
	s_branch .LBB31_907
.LBB31_905:
	s_mov_b64 s[8:9], -1
                                        ; implicit-def: $vgpr7
	s_branch .LBB31_910
.LBB31_906:
	s_mov_b64 s[8:9], -1
                                        ; implicit-def: $vgpr7
.LBB31_907:
	s_andn2_b64 vcc, exec, s[8:9]
	s_cbranch_vccnz .LBB31_909
; %bb.908:
	global_load_ushort v1, v[2:3], off
	s_waitcnt vmcnt(0)
	v_cvt_f32_u32_e32 v7, v1
.LBB31_909:
	s_mov_b64 s[8:9], 0
.LBB31_910:
	s_andn2_b64 vcc, exec, s[8:9]
	s_cbranch_vccnz .LBB31_918
; %bb.911:
	global_load_ubyte v1, v[2:3], off
	s_movk_i32 s8, 0x7f
                                        ; implicit-def: $sgpr14
	s_waitcnt vmcnt(0)
	v_cmp_lt_i16_e32 vcc, s8, v1
	s_mov_b64 s[8:9], 0
	s_and_saveexec_b64 s[10:11], vcc
	s_xor_b64 s[10:11], exec, s[10:11]
	s_cbranch_execz .LBB31_932
; %bb.912:
	s_movk_i32 s8, 0x80
	v_cmp_eq_u16_e32 vcc, s8, v1
	s_mov_b64 s[8:9], -1
                                        ; implicit-def: $sgpr14
	s_and_saveexec_b64 s[12:13], vcc
; %bb.913:
	s_mov_b32 s14, 0x7f800001
	s_xor_b64 s[8:9], exec, -1
; %bb.914:
	s_or_b64 exec, exec, s[12:13]
	s_and_b64 s[8:9], s[8:9], exec
	s_or_saveexec_b64 s[10:11], s[10:11]
	v_mov_b32_e32 v7, s14
	s_xor_b64 exec, exec, s[10:11]
	s_cbranch_execnz .LBB31_933
.LBB31_915:
	s_or_b64 exec, exec, s[10:11]
	s_and_saveexec_b64 s[10:11], s[8:9]
	s_cbranch_execz .LBB31_917
.LBB31_916:
	v_lshlrev_b32_e32 v4, 24, v1
	v_and_b32_e32 v1, 0xffff, v1
	v_and_b32_e32 v5, 7, v1
	v_ffbh_u32_e32 v8, v5
	v_min_u32_e32 v8, 32, v8
	v_subrev_u32_e32 v9, 28, v8
	v_bfe_u32 v7, v1, 3, 4
	v_lshlrev_b32_e32 v1, v9, v1
	v_sub_u32_e32 v8, 29, v8
	v_and_b32_e32 v1, 7, v1
	v_cmp_eq_u32_e32 vcc, 0, v7
	v_cndmask_b32_e32 v7, v7, v8, vcc
	v_cndmask_b32_e32 v1, v5, v1, vcc
	v_mov_b32_e32 v5, 0x3b800000
	v_lshlrev_b32_e32 v1, 20, v1
	v_and_b32_e32 v4, 0x80000000, v4
	v_lshl_add_u32 v5, v7, 23, v5
	v_or3_b32 v7, v4, v5, v1
.LBB31_917:
	s_or_b64 exec, exec, s[10:11]
.LBB31_918:
	s_mov_b64 s[8:9], -1
.LBB31_919:
	s_mov_b64 s[10:11], 0
.LBB31_920:
	s_and_b64 vcc, exec, s[10:11]
	s_cbranch_vccz .LBB31_953
; %bb.921:
	v_cmp_lt_i16_e32 vcc, 22, v6
	s_cbranch_vccz .LBB31_931
; %bb.922:
	v_cmp_gt_i16_e32 vcc, 24, v6
	s_cbranch_vccnz .LBB31_934
; %bb.923:
	v_cmp_lt_i16_e32 vcc, 24, v6
	s_cbranch_vccz .LBB31_935
; %bb.924:
	global_load_ubyte v1, v[2:3], off
	s_movk_i32 s2, 0x7f
                                        ; implicit-def: $sgpr12
	s_waitcnt vmcnt(0)
	v_cmp_lt_i16_e32 vcc, s2, v1
	s_mov_b64 s[2:3], 0
	s_and_saveexec_b64 s[8:9], vcc
	s_xor_b64 s[8:9], exec, s[8:9]
	s_cbranch_execz .LBB31_947
; %bb.925:
	s_movk_i32 s2, 0x80
	v_cmp_eq_u16_e32 vcc, s2, v1
	s_mov_b64 s[2:3], -1
                                        ; implicit-def: $sgpr12
	s_and_saveexec_b64 s[10:11], vcc
; %bb.926:
	s_mov_b32 s12, 0x7f800001
	s_xor_b64 s[2:3], exec, -1
; %bb.927:
	s_or_b64 exec, exec, s[10:11]
	s_and_b64 s[2:3], s[2:3], exec
	s_or_saveexec_b64 s[8:9], s[8:9]
	v_mov_b32_e32 v7, s12
	s_xor_b64 exec, exec, s[8:9]
	s_cbranch_execnz .LBB31_948
.LBB31_928:
	s_or_b64 exec, exec, s[8:9]
	s_and_saveexec_b64 s[8:9], s[2:3]
	s_cbranch_execz .LBB31_930
.LBB31_929:
	v_lshlrev_b32_e32 v4, 24, v1
	v_and_b32_e32 v1, 0xffff, v1
	v_and_b32_e32 v5, 3, v1
	v_ffbh_u32_e32 v8, v5
	v_min_u32_e32 v8, 32, v8
	v_subrev_u32_e32 v9, 29, v8
	v_bfe_u32 v7, v1, 2, 5
	v_lshlrev_b32_e32 v1, v9, v1
	v_sub_u32_e32 v8, 30, v8
	v_and_b32_e32 v1, 3, v1
	v_cmp_eq_u32_e32 vcc, 0, v7
	v_cndmask_b32_e32 v7, v7, v8, vcc
	v_cndmask_b32_e32 v1, v5, v1, vcc
	v_mov_b32_e32 v5, 0x37800000
	v_lshlrev_b32_e32 v1, 21, v1
	v_and_b32_e32 v4, 0x80000000, v4
	v_lshl_add_u32 v5, v7, 23, v5
	v_or3_b32 v7, v4, v5, v1
.LBB31_930:
	s_or_b64 exec, exec, s[8:9]
	s_mov_b64 s[2:3], 0
	s_branch .LBB31_936
.LBB31_931:
	s_mov_b64 s[2:3], -1
                                        ; implicit-def: $vgpr7
	s_branch .LBB31_942
.LBB31_932:
	s_or_saveexec_b64 s[10:11], s[10:11]
	v_mov_b32_e32 v7, s14
	s_xor_b64 exec, exec, s[10:11]
	s_cbranch_execz .LBB31_915
.LBB31_933:
	v_cmp_ne_u16_e32 vcc, 0, v1
	s_andn2_b64 s[8:9], s[8:9], exec
	s_and_b64 s[12:13], vcc, exec
	v_mov_b32_e32 v7, 0
	s_or_b64 s[8:9], s[8:9], s[12:13]
	s_or_b64 exec, exec, s[10:11]
	s_and_saveexec_b64 s[10:11], s[8:9]
	s_cbranch_execnz .LBB31_916
	s_branch .LBB31_917
.LBB31_934:
	s_mov_b64 s[2:3], -1
                                        ; implicit-def: $vgpr7
	s_branch .LBB31_939
.LBB31_935:
	s_mov_b64 s[2:3], -1
                                        ; implicit-def: $vgpr7
.LBB31_936:
	s_and_b64 vcc, exec, s[2:3]
	s_cbranch_vccz .LBB31_938
; %bb.937:
	global_load_ubyte v1, v[2:3], off
	s_mov_b32 s2, 0x7f800000
	s_waitcnt vmcnt(0)
	v_lshlrev_b32_e32 v1, 24, v1
	v_and_b32_e32 v4, 0x7f000000, v1
	v_ffbh_u32_e32 v5, v4
	v_min_u32_e32 v5, 32, v5
	v_sub_u32_e64 v5, v5, 4 clamp
	v_lshlrev_b32_e32 v8, v5, v4
	v_lshlrev_b32_e32 v5, 23, v5
	v_lshrrev_b32_e32 v8, 4, v8
	v_add_u32_e32 v7, 0x1000000, v4
	v_sub_u32_e32 v5, v8, v5
	v_ashrrev_i32_e32 v7, 8, v7
	v_add_u32_e32 v5, 0x3c000000, v5
	v_and_or_b32 v5, v7, s2, v5
	v_cmp_ne_u32_e32 vcc, 0, v4
	v_cndmask_b32_e32 v4, 0, v5, vcc
	s_brev_b32 s2, 1
	v_and_or_b32 v7, v1, s2, v4
.LBB31_938:
	s_mov_b64 s[2:3], 0
.LBB31_939:
	s_andn2_b64 vcc, exec, s[2:3]
	s_cbranch_vccnz .LBB31_941
; %bb.940:
	global_load_ubyte v1, v[2:3], off
	s_movk_i32 s2, 0x7f00
	s_brev_b32 s3, 16
	s_waitcnt vmcnt(0)
	v_lshlrev_b16_e32 v4, 8, v1
	v_lshlrev_b32_e32 v1, 25, v1
	v_lshrrev_b32_e32 v5, 4, v1
	v_and_or_b32 v7, v4, s2, 0.5
	v_or_b32_e32 v5, 0x70000000, v5
	v_add_f32_e32 v7, -0.5, v7
	v_mul_f32_e32 v5, 0x7800000, v5
	v_cmp_gt_u32_e32 vcc, s3, v1
	v_bfe_i32 v4, v4, 0, 16
	v_cndmask_b32_e32 v1, v5, v7, vcc
	s_brev_b32 s2, 1
	v_and_or_b32 v7, v4, s2, v1
.LBB31_941:
	s_mov_b64 s[2:3], 0
	s_mov_b64 s[8:9], -1
.LBB31_942:
	s_andn2_b64 vcc, exec, s[2:3]
	s_mov_b64 s[2:3], 0
	s_cbranch_vccnz .LBB31_953
; %bb.943:
	v_cmp_lt_i16_e32 vcc, 14, v6
	s_cbranch_vccz .LBB31_946
; %bb.944:
	v_cmp_eq_u16_e32 vcc, 15, v6
	s_cbranch_vccz .LBB31_949
; %bb.945:
	global_load_ushort v1, v[2:3], off
	s_mov_b64 s[0:1], 0
	s_mov_b64 s[8:9], -1
	s_waitcnt vmcnt(0)
	v_lshlrev_b32_e32 v7, 16, v1
	s_branch .LBB31_950
.LBB31_946:
	s_mov_b64 s[10:11], -1
                                        ; implicit-def: $vgpr7
	s_branch .LBB31_951
.LBB31_947:
	s_or_saveexec_b64 s[8:9], s[8:9]
	v_mov_b32_e32 v7, s12
	s_xor_b64 exec, exec, s[8:9]
	s_cbranch_execz .LBB31_928
.LBB31_948:
	v_cmp_ne_u16_e32 vcc, 0, v1
	s_andn2_b64 s[2:3], s[2:3], exec
	s_and_b64 s[10:11], vcc, exec
	v_mov_b32_e32 v7, 0
	s_or_b64 s[2:3], s[2:3], s[10:11]
	s_or_b64 exec, exec, s[8:9]
	s_and_saveexec_b64 s[8:9], s[2:3]
	s_cbranch_execnz .LBB31_929
	s_branch .LBB31_930
.LBB31_949:
	s_mov_b64 s[0:1], -1
                                        ; implicit-def: $vgpr7
.LBB31_950:
	s_mov_b64 s[10:11], 0
.LBB31_951:
	s_and_b64 vcc, exec, s[10:11]
	s_cbranch_vccz .LBB31_953
; %bb.952:
	v_cmp_ne_u16_e32 vcc, 11, v6
	s_andn2_b64 s[0:1], s[0:1], exec
	s_and_b64 s[10:11], vcc, exec
	s_mov_b64 s[2:3], -1
	s_or_b64 s[0:1], s[0:1], s[10:11]
                                        ; implicit-def: $vgpr7
.LBB31_953:
	s_mov_b64 s[12:13], 0
.LBB31_954:
	s_and_b64 s[10:11], s[8:9], exec
	s_and_b64 s[8:9], s[12:13], exec
	s_andn2_b64 s[12:13], s[68:69], exec
	s_and_b64 s[0:1], s[0:1], exec
	s_and_b64 s[2:3], s[2:3], exec
	s_or_b64 s[12:13], s[12:13], s[0:1]
.LBB31_955:
	s_or_b64 exec, exec, s[72:73]
	s_and_b64 s[0:1], s[2:3], exec
	s_andn2_b64 s[2:3], s[68:69], exec
	s_and_b64 s[12:13], s[12:13], exec
	s_and_b64 s[10:11], s[10:11], exec
	;; [unrolled: 1-line block ×3, first 2 shown]
	s_or_b64 s[68:69], s[2:3], s[12:13]
.LBB31_956:
	s_or_b64 exec, exec, s[66:67]
	s_andn2_b64 s[2:3], s[62:63], exec
	s_and_b64 s[12:13], s[70:71], exec
	s_or_b64 s[62:63], s[2:3], s[12:13]
	s_and_b64 s[2:3], s[0:1], exec
	s_andn2_b64 s[0:1], s[60:61], exec
	s_and_b64 s[12:13], s[68:69], exec
	s_and_b64 s[10:11], s[10:11], exec
	;; [unrolled: 1-line block ×3, first 2 shown]
	s_or_b64 s[60:61], s[0:1], s[12:13]
.LBB31_957:
	s_or_b64 exec, exec, s[64:65]
	s_andn2_b64 s[0:1], s[54:55], exec
	s_and_b64 s[12:13], s[62:63], exec
	s_or_b64 s[54:55], s[0:1], s[12:13]
	s_and_b64 s[0:1], s[10:11], exec
	s_and_b64 s[10:11], s[8:9], exec
	;; [unrolled: 1-line block ×3, first 2 shown]
	s_andn2_b64 s[2:3], s[56:57], exec
	s_and_b64 s[8:9], s[60:61], exec
	s_or_b64 s[56:57], s[2:3], s[8:9]
	s_or_b64 exec, exec, s[58:59]
	s_mov_b64 s[2:3], 0
	s_and_saveexec_b64 s[8:9], s[56:57]
	s_cbranch_execz .LBB31_288
.LBB31_958:
	s_mov_b64 s[2:3], exec
	s_andn2_b64 s[62:63], s[62:63], exec
	s_trap 2
                                        ; implicit-def: $vgpr7
	s_or_b64 exec, exec, s[8:9]
	s_and_saveexec_b64 s[8:9], s[62:63]
	s_xor_b64 s[8:9], exec, s[8:9]
	s_cbranch_execnz .LBB31_289
.LBB31_959:
	s_or_b64 exec, exec, s[8:9]
	s_and_saveexec_b64 s[8:9], s[10:11]
	s_cbranch_execz .LBB31_1005
.LBB31_960:
	v_cmp_gt_i16_e32 vcc, 5, v6
	s_cbranch_vccnz .LBB31_965
; %bb.961:
	v_cmp_gt_i16_e32 vcc, 8, v6
	s_cbranch_vccnz .LBB31_966
; %bb.962:
	;; [unrolled: 3-line block ×3, first 2 shown]
	v_cmp_lt_i16_e32 vcc, 9, v6
	s_cbranch_vccz .LBB31_968
; %bb.964:
	global_load_dwordx2 v[4:5], v[2:3], off
	s_mov_b64 s[10:11], 0
	s_waitcnt vmcnt(0)
	v_cvt_f32_f64_e32 v7, v[4:5]
	s_branch .LBB31_969
.LBB31_965:
                                        ; implicit-def: $vgpr7
	s_branch .LBB31_986
.LBB31_966:
                                        ; implicit-def: $vgpr7
	s_branch .LBB31_975
.LBB31_967:
	s_mov_b64 s[10:11], -1
                                        ; implicit-def: $vgpr7
	s_branch .LBB31_972
.LBB31_968:
	s_mov_b64 s[10:11], -1
                                        ; implicit-def: $vgpr7
.LBB31_969:
	s_andn2_b64 vcc, exec, s[10:11]
	s_cbranch_vccnz .LBB31_971
; %bb.970:
	global_load_dword v7, v[2:3], off
.LBB31_971:
	s_mov_b64 s[10:11], 0
.LBB31_972:
	s_andn2_b64 vcc, exec, s[10:11]
	s_cbranch_vccnz .LBB31_974
; %bb.973:
	global_load_dword v1, v[2:3], off
	s_waitcnt vmcnt(0)
	v_cvt_f32_f16_e32 v7, v1
.LBB31_974:
	s_cbranch_execnz .LBB31_985
.LBB31_975:
	v_cmp_gt_i16_e32 vcc, 6, v6
	s_cbranch_vccnz .LBB31_978
; %bb.976:
	v_cmp_lt_i16_e32 vcc, 6, v6
	s_cbranch_vccz .LBB31_979
; %bb.977:
	global_load_dwordx2 v[4:5], v[2:3], off
	s_mov_b64 s[10:11], 0
	s_waitcnt vmcnt(0)
	v_cvt_f32_f64_e32 v7, v[4:5]
	s_branch .LBB31_980
.LBB31_978:
	s_mov_b64 s[10:11], -1
                                        ; implicit-def: $vgpr7
	s_branch .LBB31_983
.LBB31_979:
	s_mov_b64 s[10:11], -1
                                        ; implicit-def: $vgpr7
.LBB31_980:
	s_andn2_b64 vcc, exec, s[10:11]
	s_cbranch_vccnz .LBB31_982
; %bb.981:
	global_load_dword v7, v[2:3], off
.LBB31_982:
	s_mov_b64 s[10:11], 0
.LBB31_983:
	s_andn2_b64 vcc, exec, s[10:11]
	s_cbranch_vccnz .LBB31_985
; %bb.984:
	global_load_ushort v1, v[2:3], off
	s_waitcnt vmcnt(0)
	v_cvt_f32_f16_e32 v7, v1
.LBB31_985:
	s_cbranch_execnz .LBB31_1004
.LBB31_986:
	v_cmp_gt_i16_e32 vcc, 2, v6
	s_cbranch_vccnz .LBB31_990
; %bb.987:
	v_cmp_gt_i16_e32 vcc, 3, v6
	s_cbranch_vccnz .LBB31_991
; %bb.988:
	v_cmp_lt_i16_e32 vcc, 3, v6
	s_cbranch_vccz .LBB31_992
; %bb.989:
	global_load_dwordx2 v[4:5], v[2:3], off
	s_mov_b64 s[10:11], 0
	s_waitcnt vmcnt(0)
	v_xor_b32_e32 v7, v4, v5
	v_ffbh_i32_e32 v1, v5
	v_ashrrev_i32_e32 v7, 31, v7
	v_add_u32_e32 v1, -1, v1
	v_add_u32_e32 v7, 32, v7
	v_min_u32_e32 v1, v1, v7
	v_lshlrev_b64 v[4:5], v1, v[4:5]
	v_min_u32_e32 v4, 1, v4
	v_or_b32_e32 v4, v5, v4
	v_cvt_f32_i32_e32 v4, v4
	v_sub_u32_e32 v1, 32, v1
	v_ldexp_f32 v7, v4, v1
	s_branch .LBB31_993
.LBB31_990:
                                        ; implicit-def: $vgpr7
	s_branch .LBB31_999
.LBB31_991:
	s_mov_b64 s[10:11], -1
                                        ; implicit-def: $vgpr7
	s_branch .LBB31_996
.LBB31_992:
	s_mov_b64 s[10:11], -1
                                        ; implicit-def: $vgpr7
.LBB31_993:
	s_andn2_b64 vcc, exec, s[10:11]
	s_cbranch_vccnz .LBB31_995
; %bb.994:
	global_load_dword v1, v[2:3], off
	s_waitcnt vmcnt(0)
	v_cvt_f32_i32_e32 v7, v1
.LBB31_995:
	s_mov_b64 s[10:11], 0
.LBB31_996:
	s_andn2_b64 vcc, exec, s[10:11]
	s_cbranch_vccnz .LBB31_998
; %bb.997:
	global_load_sshort v1, v[2:3], off
	s_waitcnt vmcnt(0)
	v_cvt_f32_i32_e32 v7, v1
.LBB31_998:
	s_cbranch_execnz .LBB31_1004
.LBB31_999:
	v_cmp_lt_i16_e32 vcc, 0, v6
	s_cbranch_vccz .LBB31_1001
; %bb.1000:
	global_load_sbyte v1, v[2:3], off
	s_mov_b64 s[10:11], 0
	s_waitcnt vmcnt(0)
	v_cvt_f32_i32_e32 v7, v1
	s_branch .LBB31_1002
.LBB31_1001:
	s_mov_b64 s[10:11], -1
                                        ; implicit-def: $vgpr7
.LBB31_1002:
	s_andn2_b64 vcc, exec, s[10:11]
	s_cbranch_vccnz .LBB31_1004
; %bb.1003:
	global_load_ubyte v1, v[2:3], off
	s_waitcnt vmcnt(0)
	v_cvt_f32_ubyte0_e32 v7, v1
.LBB31_1004:
	s_or_b64 s[0:1], s[0:1], exec
.LBB31_1005:
	s_or_b64 exec, exec, s[8:9]
	s_mov_b64 s[12:13], 0
	s_mov_b64 s[10:11], 0
                                        ; implicit-def: $vgpr1
                                        ; implicit-def: $vgpr4_vgpr5
                                        ; implicit-def: $vgpr2
	s_and_saveexec_b64 s[8:9], s[0:1]
	s_cbranch_execz .LBB31_1035
; %bb.1006:
	s_waitcnt vmcnt(0)
	v_trunc_f32_e32 v1, v7
	s_mov_b32 s0, 0x2f800000
	v_mul_f32_e64 v2, |v1|, s0
	v_floor_f32_e32 v2, v2
	s_mov_b32 s0, 0xcf800000
	v_cvt_u32_f32_e32 v3, v2
	v_fma_f32 v2, v2, s0, |v1|
	v_cvt_u32_f32_e32 v2, v2
	v_ashrrev_i32_e32 v1, 31, v1
	v_xor_b32_e32 v3, v3, v1
	v_xor_b32_e32 v2, v2, v1
	v_sub_co_u32_e32 v4, vcc, v2, v1
	v_subb_co_u32_e32 v5, vcc, v3, v1, vcc
	v_cmp_lt_i64_e32 vcc, -1, v[4:5]
	v_mov_b32_e32 v2, 0
	s_and_saveexec_b64 s[0:1], vcc
	s_cbranch_execz .LBB31_1018
; %bb.1007:
	v_cmp_lt_i64_e32 vcc, 0, v[4:5]
	v_mov_b32_e32 v2, 1.0
	s_and_saveexec_b64 s[10:11], vcc
	s_cbranch_execz .LBB31_1017
; %bb.1008:
	v_cmp_ne_u64_e32 vcc, 1, v[4:5]
                                        ; implicit-def: $vgpr2
	s_and_saveexec_b64 s[12:13], vcc
	s_xor_b64 s[12:13], exec, s[12:13]
	s_cbranch_execz .LBB31_1014
; %bb.1009:
	s_mov_b64 s[14:15], 0x81
	v_cmp_gt_u64_e32 vcc, s[14:15], v[4:5]
	v_mov_b32_e32 v2, 0x7fc00000
	s_and_saveexec_b64 s[14:15], vcc
	s_cbranch_execz .LBB31_1013
; %bb.1010:
	s_mov_b64 s[18:19], 1
	s_mov_b64 s[16:17], 0
	v_mov_b32_e32 v2, s44
	v_mov_b32_e32 v1, 1.0
.LBB31_1011:                            ; =>This Inner Loop Header: Depth=1
	s_flbit_i32_b32 s20, s19
	s_min_u32 s22, s20, 32
	s_lshl_b64 s[20:21], s[18:19], s22
	s_min_u32 s20, s20, 1
	s_or_b32 s20, s21, s20
	v_cvt_f32_u32_e32 v3, s20
	s_sub_i32 s22, 32, s22
	s_add_u32 s18, s18, 1
	s_addc_u32 s19, s19, 0
	v_ldexp_f32 v3, v3, s22
	v_cmp_eq_u64_e32 vcc, s[18:19], v[4:5]
	v_mul_f32_e32 v3, v1, v3
	s_or_b64 s[16:17], vcc, s[16:17]
	v_mov_b32_e32 v1, v2
	v_fma_f32 v2, s44, v2, -v3
	s_andn2_b64 exec, exec, s[16:17]
	s_cbranch_execnz .LBB31_1011
; %bb.1012:
	s_or_b64 exec, exec, s[16:17]
.LBB31_1013:
	s_or_b64 exec, exec, s[14:15]
.LBB31_1014:
	s_andn2_saveexec_b64 s[12:13], s[12:13]
; %bb.1015:
	v_mov_b32_e32 v2, s44
; %bb.1016:
	s_or_b64 exec, exec, s[12:13]
.LBB31_1017:
	s_or_b64 exec, exec, s[10:11]
.LBB31_1018:
	s_or_b64 exec, exec, s[0:1]
	v_mov_b32_e32 v1, s25
	v_add_co_u32_e32 v4, vcc, s24, v0
	v_mov_b32_e32 v0, 0xff
	v_addc_co_u32_e32 v5, vcc, 0, v1, vcc
	v_and_b32_e32 v1, s45, v0
	v_cmp_gt_i16_e32 vcc, 11, v1
	s_cbranch_vccnz .LBB31_1038
; %bb.1019:
	v_cmp_lt_i16_e32 vcc, 25, v1
	s_mov_b64 s[12:13], -1
	s_mov_b64 s[0:1], s[54:55]
	s_cbranch_vccz .LBB31_1056
; %bb.1020:
	v_cmp_lt_i16_e32 vcc, 28, v1
	s_mov_b64 s[10:11], -1
	s_mov_b64 s[0:1], s[54:55]
	s_cbranch_vccz .LBB31_1040
; %bb.1021:
	v_cmp_lt_i16_e32 vcc, 43, v1
	s_mov_b64 s[0:1], s[54:55]
	s_cbranch_vccz .LBB31_1032
; %bb.1022:
	v_cmp_lt_i16_e32 vcc, 45, v1
	s_mov_b64 s[0:1], s[54:55]
	s_cbranch_vccz .LBB31_1026
; %bb.1023:
	v_cmp_eq_u16_e32 vcc, 46, v1
	s_mov_b64 s[0:1], -1
	s_cbranch_vccz .LBB31_1025
; %bb.1024:
	v_bfe_u32 v0, v2, 16, 1
	s_movk_i32 s0, 0x7fff
	v_add3_u32 v0, v2, v0, s0
	v_lshrrev_b32_e32 v0, 16, v0
	v_mov_b32_e32 v3, 0x7fc0
	v_cmp_o_f32_e32 vcc, v2, v2
	v_cndmask_b32_e32 v0, v3, v0, vcc
	global_store_dword v[4:5], v0, off
	s_mov_b64 s[0:1], 0
.LBB31_1025:
	s_mov_b64 s[10:11], 0
.LBB31_1026:
	s_and_b64 vcc, exec, s[10:11]
	s_cbranch_vccz .LBB31_1031
; %bb.1027:
	v_cmp_eq_u16_e32 vcc, 44, v1
	s_mov_b64 s[0:1], -1
	s_cbranch_vccz .LBB31_1031
; %bb.1028:
	v_bfe_u32 v0, v2, 23, 8
	s_movk_i32 s0, 0xff
	v_cmp_ne_u32_e32 vcc, s0, v0
	v_mov_b32_e32 v3, 0xff
	s_and_saveexec_b64 s[10:11], vcc
; %bb.1029:
	s_mov_b32 s0, 0x3fffff
	v_and_b32_e32 v6, 0x400000, v2
	v_and_or_b32 v0, v2, s0, v0
	v_cmp_ne_u32_e32 vcc, 0, v6
	v_cmp_ne_u32_e64 s[0:1], 0, v0
	s_and_b64 s[0:1], vcc, s[0:1]
	v_lshrrev_b32_e32 v3, 23, v2
	v_cndmask_b32_e64 v0, 0, 1, s[0:1]
	v_add_u32_e32 v3, v3, v0
; %bb.1030:
	s_or_b64 exec, exec, s[10:11]
	s_mov_b64 s[0:1], 0
	global_store_byte v[4:5], v3, off
.LBB31_1031:
	s_mov_b64 s[10:11], 0
.LBB31_1032:
	s_and_b64 vcc, exec, s[10:11]
	s_cbranch_vccz .LBB31_1039
; %bb.1033:
	v_cmp_eq_u16_e32 vcc, 29, v1
	s_mov_b64 s[0:1], -1
	s_cbranch_vccz .LBB31_1039
; %bb.1034:
	v_trunc_f32_e32 v0, v2
	v_mul_f32_e32 v3, 0x2f800000, v0
	v_floor_f32_e32 v3, v3
	v_fmac_f32_e32 v0, 0xcf800000, v3
	v_cvt_u32_f32_e32 v7, v3
	v_cvt_u32_f32_e32 v6, v0
	s_mov_b64 s[0:1], 0
	s_mov_b64 s[10:11], 0
	global_store_dwordx2 v[4:5], v[6:7], off
	s_branch .LBB31_1040
.LBB31_1035:
	s_or_b64 exec, exec, s[8:9]
	s_and_saveexec_b64 s[0:1], s[54:55]
	s_cbranch_execnz .LBB31_1098
.LBB31_1036:
	s_or_b64 exec, exec, s[0:1]
	s_and_saveexec_b64 s[0:1], s[12:13]
	s_xor_b64 s[0:1], exec, s[0:1]
	s_cbranch_execz .LBB31_1099
.LBB31_1037:
	v_cmp_neq_f32_e32 vcc, 0, v2
	v_cndmask_b32_e64 v0, 0, 1, vcc
	global_store_byte v[4:5], v0, off
	s_or_b64 exec, exec, s[0:1]
	s_and_saveexec_b64 s[0:1], s[10:11]
	s_xor_b64 s[0:1], exec, s[0:1]
	s_cbranch_execz .LBB31_1137
	s_branch .LBB31_1100
.LBB31_1038:
	s_mov_b64 s[12:13], 0
	s_mov_b64 s[10:11], -1
	s_mov_b64 s[0:1], s[54:55]
	s_branch .LBB31_1097
.LBB31_1039:
	s_mov_b64 s[10:11], 0
.LBB31_1040:
	s_and_b64 vcc, exec, s[10:11]
	s_cbranch_vccz .LBB31_1055
; %bb.1041:
	v_cmp_gt_i16_e32 vcc, 27, v1
	s_mov_b64 s[10:11], -1
	s_cbranch_vccnz .LBB31_1047
; %bb.1042:
	v_cmp_lt_i16_e32 vcc, 27, v1
	s_cbranch_vccz .LBB31_1044
; %bb.1043:
	v_cvt_u32_f32_e32 v0, v2
	s_mov_b64 s[10:11], 0
	global_store_dword v[4:5], v0, off
.LBB31_1044:
	s_andn2_b64 vcc, exec, s[10:11]
	s_cbranch_vccnz .LBB31_1046
; %bb.1045:
	v_cvt_u32_f32_e32 v0, v2
	global_store_short v[4:5], v0, off
.LBB31_1046:
	s_mov_b64 s[10:11], 0
.LBB31_1047:
	s_andn2_b64 vcc, exec, s[10:11]
	s_cbranch_vccnz .LBB31_1055
; %bb.1048:
	v_and_b32_e32 v0, 0x7fffffff, v2
	s_mov_b32 s10, 0x43800000
	v_cmp_gt_u32_e32 vcc, s10, v0
	v_mov_b32_e32 v3, 0x80
	s_and_saveexec_b64 s[10:11], vcc
	s_cbranch_execz .LBB31_1054
; %bb.1049:
	s_mov_b32 s12, 0x3bffffff
	v_cmp_lt_u32_e32 vcc, s12, v0
	s_mov_b64 s[12:13], 0
                                        ; implicit-def: $vgpr0
	s_and_saveexec_b64 s[14:15], vcc
	s_xor_b64 s[14:15], exec, s[14:15]
	s_cbranch_execz .LBB31_1208
; %bb.1050:
	v_bfe_u32 v0, v2, 20, 1
	s_mov_b32 s16, 0x487ffff
	v_add3_u32 v0, v2, v0, s16
	s_mov_b64 s[12:13], exec
	v_lshrrev_b32_e32 v0, 20, v0
	s_or_saveexec_b64 s[14:15], s[14:15]
                                        ; implicit-def: $sgpr16
	s_xor_b64 exec, exec, s[14:15]
	s_cbranch_execnz .LBB31_1209
.LBB31_1051:
	s_or_b64 exec, exec, s[14:15]
	v_mov_b32_e32 v3, s16
	s_and_saveexec_b64 s[14:15], s[12:13]
.LBB31_1052:
	v_lshrrev_b32_e32 v3, 24, v2
	s_movk_i32 s12, 0x80
	v_and_or_b32 v3, v3, s12, v0
.LBB31_1053:
	s_or_b64 exec, exec, s[14:15]
.LBB31_1054:
	s_or_b64 exec, exec, s[10:11]
	global_store_byte v[4:5], v3, off
.LBB31_1055:
	s_mov_b64 s[12:13], 0
.LBB31_1056:
	s_mov_b64 s[10:11], 0
	s_and_b64 vcc, exec, s[12:13]
	s_cbranch_vccz .LBB31_1096
; %bb.1057:
	v_cmp_lt_i16_e32 vcc, 22, v1
	s_mov_b64 s[12:13], -1
	s_cbranch_vccz .LBB31_1089
; %bb.1058:
	v_cmp_gt_i16_e32 vcc, 24, v1
	s_cbranch_vccnz .LBB31_1078
; %bb.1059:
	v_cmp_lt_i16_e32 vcc, 24, v1
	s_cbranch_vccz .LBB31_1067
; %bb.1060:
	v_and_b32_e32 v0, 0x7fffffff, v2
	s_mov_b32 s12, 0x47800000
	v_cmp_gt_u32_e32 vcc, s12, v0
	v_mov_b32_e32 v3, 0x80
	s_and_saveexec_b64 s[12:13], vcc
	s_cbranch_execz .LBB31_1066
; %bb.1061:
	s_mov_b32 s14, 0x37ffffff
	v_cmp_lt_u32_e32 vcc, s14, v0
	s_mov_b64 s[14:15], 0
                                        ; implicit-def: $vgpr0
	s_and_saveexec_b64 s[16:17], vcc
	s_xor_b64 s[16:17], exec, s[16:17]
	s_cbranch_execz .LBB31_1345
; %bb.1062:
	v_bfe_u32 v0, v2, 21, 1
	s_mov_b32 s18, 0x88fffff
	v_add3_u32 v0, v2, v0, s18
	s_mov_b64 s[14:15], exec
	v_lshrrev_b32_e32 v0, 21, v0
	s_or_saveexec_b64 s[16:17], s[16:17]
                                        ; implicit-def: $sgpr18
	s_xor_b64 exec, exec, s[16:17]
	s_cbranch_execnz .LBB31_1346
.LBB31_1063:
	s_or_b64 exec, exec, s[16:17]
	v_mov_b32_e32 v3, s18
	s_and_saveexec_b64 s[16:17], s[14:15]
.LBB31_1064:
	v_lshrrev_b32_e32 v3, 24, v2
	s_movk_i32 s14, 0x80
	v_and_or_b32 v3, v3, s14, v0
.LBB31_1065:
	s_or_b64 exec, exec, s[16:17]
.LBB31_1066:
	s_or_b64 exec, exec, s[12:13]
	s_mov_b64 s[12:13], 0
	global_store_byte v[4:5], v3, off
.LBB31_1067:
	s_and_b64 vcc, exec, s[12:13]
	s_cbranch_vccz .LBB31_1077
; %bb.1068:
	v_and_b32_e32 v3, 0x7fffffff, v2
	s_mov_b32 s12, 0x43f00000
	v_cmp_gt_u32_e32 vcc, s12, v3
                                        ; implicit-def: $vgpr0
	s_and_saveexec_b64 s[12:13], vcc
	s_xor_b64 s[12:13], exec, s[12:13]
	s_cbranch_execz .LBB31_1074
; %bb.1069:
	s_mov_b32 s14, 0x3c7fffff
	v_cmp_lt_u32_e32 vcc, s14, v3
                                        ; implicit-def: $vgpr0
	s_and_saveexec_b64 s[14:15], vcc
	s_xor_b64 s[14:15], exec, s[14:15]
; %bb.1070:
	v_bfe_u32 v0, v2, 20, 1
	s_mov_b32 s16, 0x407ffff
	v_add3_u32 v0, v2, v0, s16
	v_lshrrev_b32_e32 v3, 20, v0
	v_and_b32_e32 v0, 0xff00000, v0
	s_mov_b32 s16, 0x7f00000
	v_mov_b32_e32 v6, 0x7e
	v_cmp_ne_u32_e32 vcc, s16, v0
	v_cndmask_b32_e32 v0, v6, v3, vcc
; %bb.1071:
	s_andn2_saveexec_b64 s[14:15], s[14:15]
; %bb.1072:
	s_mov_b32 s16, 0x46800000
	v_add_f32_e64 v0, |v2|, s16
; %bb.1073:
	s_or_b64 exec, exec, s[14:15]
                                        ; implicit-def: $vgpr3
.LBB31_1074:
	s_andn2_saveexec_b64 s[12:13], s[12:13]
; %bb.1075:
	s_mov_b32 s14, 0x7f800000
	v_mov_b32_e32 v0, 0x7e
	v_mov_b32_e32 v6, 0x7f
	v_cmp_lt_u32_e32 vcc, s14, v3
	v_cndmask_b32_e32 v0, v0, v6, vcc
; %bb.1076:
	s_or_b64 exec, exec, s[12:13]
	v_lshrrev_b32_e32 v3, 24, v2
	s_movk_i32 s12, 0x80
	v_and_or_b32 v0, v3, s12, v0
	global_store_byte v[4:5], v0, off
.LBB31_1077:
	s_mov_b64 s[12:13], 0
.LBB31_1078:
	s_andn2_b64 vcc, exec, s[12:13]
	s_cbranch_vccnz .LBB31_1088
; %bb.1079:
	v_and_b32_e32 v3, 0x7fffffff, v2
	s_mov_b32 s12, 0x47800000
	v_cmp_gt_u32_e32 vcc, s12, v3
                                        ; implicit-def: $vgpr0
	s_and_saveexec_b64 s[12:13], vcc
	s_xor_b64 s[12:13], exec, s[12:13]
	s_cbranch_execz .LBB31_1085
; %bb.1080:
	s_mov_b32 s14, 0x387fffff
	v_cmp_lt_u32_e32 vcc, s14, v3
                                        ; implicit-def: $vgpr0
	s_and_saveexec_b64 s[14:15], vcc
	s_xor_b64 s[14:15], exec, s[14:15]
; %bb.1081:
	v_bfe_u32 v0, v2, 21, 1
	s_mov_b32 s16, 0x80fffff
	v_add3_u32 v0, v2, v0, s16
	v_lshrrev_b32_e32 v0, 21, v0
; %bb.1082:
	s_andn2_saveexec_b64 s[14:15], s[14:15]
; %bb.1083:
	s_mov_b32 s16, 0x43000000
	v_add_f32_e64 v0, |v2|, s16
; %bb.1084:
	s_or_b64 exec, exec, s[14:15]
                                        ; implicit-def: $vgpr3
.LBB31_1085:
	s_andn2_saveexec_b64 s[12:13], s[12:13]
; %bb.1086:
	s_mov_b32 s14, 0x7f800000
	v_mov_b32_e32 v0, 0x7c
	v_mov_b32_e32 v6, 0x7f
	v_cmp_lt_u32_e32 vcc, s14, v3
	v_cndmask_b32_e32 v0, v0, v6, vcc
; %bb.1087:
	s_or_b64 exec, exec, s[12:13]
	v_lshrrev_b32_e32 v3, 24, v2
	s_movk_i32 s12, 0x80
	v_and_or_b32 v0, v3, s12, v0
	global_store_byte v[4:5], v0, off
.LBB31_1088:
	s_mov_b64 s[12:13], 0
.LBB31_1089:
	s_andn2_b64 vcc, exec, s[12:13]
	s_mov_b64 s[12:13], 0
	s_cbranch_vccnz .LBB31_1097
; %bb.1090:
	v_cmp_lt_i16_e32 vcc, 14, v1
	s_mov_b64 s[14:15], -1
	s_cbranch_vccz .LBB31_1094
; %bb.1091:
	v_cmp_eq_u16_e32 vcc, 15, v1
	s_mov_b64 s[0:1], -1
	s_cbranch_vccz .LBB31_1093
; %bb.1092:
	v_bfe_u32 v0, v2, 16, 1
	s_movk_i32 s0, 0x7fff
	v_add3_u32 v0, v2, v0, s0
	v_lshrrev_b32_e32 v0, 16, v0
	v_mov_b32_e32 v3, 0x7fc0
	v_cmp_o_f32_e32 vcc, v2, v2
	v_cndmask_b32_e32 v0, v3, v0, vcc
	global_store_short v[4:5], v0, off
	s_mov_b64 s[0:1], 0
.LBB31_1093:
	s_mov_b64 s[14:15], 0
.LBB31_1094:
	s_and_b64 vcc, exec, s[14:15]
	s_cbranch_vccz .LBB31_1097
; %bb.1095:
	v_cmp_ne_u16_e32 vcc, 11, v1
	s_andn2_b64 s[0:1], s[0:1], exec
	s_and_b64 s[14:15], vcc, exec
	s_mov_b64 s[12:13], -1
	s_or_b64 s[0:1], s[0:1], s[14:15]
	s_branch .LBB31_1097
.LBB31_1096:
	s_mov_b64 s[12:13], 0
.LBB31_1097:
	s_andn2_b64 s[14:15], s[54:55], exec
	s_and_b64 s[0:1], s[0:1], exec
	s_and_b64 s[10:11], s[10:11], exec
	s_and_b64 s[12:13], s[12:13], exec
	s_or_b64 s[54:55], s[14:15], s[0:1]
	s_or_b64 exec, exec, s[8:9]
	s_and_saveexec_b64 s[0:1], s[54:55]
	s_cbranch_execz .LBB31_1036
.LBB31_1098:
	s_or_b64 s[2:3], s[2:3], exec
	s_andn2_b64 s[12:13], s[12:13], exec
	s_trap 2
	s_or_b64 exec, exec, s[0:1]
	s_and_saveexec_b64 s[0:1], s[12:13]
	s_xor_b64 s[0:1], exec, s[0:1]
	s_cbranch_execnz .LBB31_1037
.LBB31_1099:
	s_or_b64 exec, exec, s[0:1]
	s_and_saveexec_b64 s[0:1], s[10:11]
	s_xor_b64 s[0:1], exec, s[0:1]
	s_cbranch_execz .LBB31_1137
.LBB31_1100:
	s_waitcnt vmcnt(0)
	v_cmp_gt_i16_e32 vcc, 5, v1
	s_mov_b64 s[8:9], -1
	s_cbranch_vccnz .LBB31_1121
; %bb.1101:
	v_cmp_gt_i16_e32 vcc, 8, v1
	s_cbranch_vccnz .LBB31_1111
; %bb.1102:
	v_cmp_gt_i16_e32 vcc, 9, v1
	s_cbranch_vccnz .LBB31_1108
; %bb.1103:
	v_cmp_lt_i16_e32 vcc, 9, v1
	s_cbranch_vccz .LBB31_1105
; %bb.1104:
	v_mov_b32_e32 v8, 0
	v_cvt_f64_f32_e32 v[6:7], v2
	v_mov_b32_e32 v9, v8
	s_mov_b64 s[8:9], 0
	global_store_dwordx4 v[4:5], v[6:9], off
.LBB31_1105:
	s_andn2_b64 vcc, exec, s[8:9]
	s_cbranch_vccnz .LBB31_1107
; %bb.1106:
	v_mov_b32_e32 v3, 0
	global_store_dwordx2 v[4:5], v[2:3], off
.LBB31_1107:
	s_mov_b64 s[8:9], 0
.LBB31_1108:
	s_andn2_b64 vcc, exec, s[8:9]
	s_cbranch_vccnz .LBB31_1110
; %bb.1109:
	v_cvt_f16_f32_e32 v0, v2
	global_store_dword v[4:5], v0, off
.LBB31_1110:
	s_mov_b64 s[8:9], 0
.LBB31_1111:
	s_andn2_b64 vcc, exec, s[8:9]
	s_cbranch_vccnz .LBB31_1120
; %bb.1112:
	v_cmp_gt_i16_e32 vcc, 6, v1
	s_mov_b64 s[8:9], -1
	s_cbranch_vccnz .LBB31_1118
; %bb.1113:
	v_cmp_lt_i16_e32 vcc, 6, v1
	s_cbranch_vccz .LBB31_1115
; %bb.1114:
	v_cvt_f64_f32_e32 v[6:7], v2
	s_mov_b64 s[8:9], 0
	global_store_dwordx2 v[4:5], v[6:7], off
.LBB31_1115:
	s_andn2_b64 vcc, exec, s[8:9]
	s_cbranch_vccnz .LBB31_1117
; %bb.1116:
	global_store_dword v[4:5], v2, off
.LBB31_1117:
	s_mov_b64 s[8:9], 0
.LBB31_1118:
	s_andn2_b64 vcc, exec, s[8:9]
	s_cbranch_vccnz .LBB31_1120
; %bb.1119:
	v_cvt_f16_f32_e32 v0, v2
	global_store_short v[4:5], v0, off
.LBB31_1120:
	s_mov_b64 s[8:9], 0
.LBB31_1121:
	s_andn2_b64 vcc, exec, s[8:9]
	s_cbranch_vccnz .LBB31_1137
; %bb.1122:
	v_cmp_gt_i16_e32 vcc, 2, v1
	s_mov_b64 s[8:9], -1
	s_cbranch_vccnz .LBB31_1132
; %bb.1123:
	v_cmp_gt_i16_e32 vcc, 3, v1
	s_cbranch_vccnz .LBB31_1129
; %bb.1124:
	v_cmp_lt_i16_e32 vcc, 3, v1
	s_cbranch_vccz .LBB31_1126
; %bb.1125:
	v_trunc_f32_e32 v0, v2
	s_mov_b32 s8, 0x2f800000
	v_mul_f32_e64 v3, |v0|, s8
	v_floor_f32_e32 v3, v3
	s_mov_b32 s8, 0xcf800000
	v_cvt_u32_f32_e32 v6, v3
	v_fma_f32 v3, v3, s8, |v0|
	v_cvt_u32_f32_e32 v3, v3
	v_ashrrev_i32_e32 v0, 31, v0
	v_xor_b32_e32 v7, v6, v0
	s_mov_b64 s[8:9], 0
	v_xor_b32_e32 v3, v3, v0
	v_sub_co_u32_e32 v6, vcc, v3, v0
	v_subb_co_u32_e32 v7, vcc, v7, v0, vcc
	global_store_dwordx2 v[4:5], v[6:7], off
.LBB31_1126:
	s_andn2_b64 vcc, exec, s[8:9]
	s_cbranch_vccnz .LBB31_1128
; %bb.1127:
	v_cvt_i32_f32_e32 v0, v2
	global_store_dword v[4:5], v0, off
.LBB31_1128:
	s_mov_b64 s[8:9], 0
.LBB31_1129:
	s_andn2_b64 vcc, exec, s[8:9]
	s_cbranch_vccnz .LBB31_1131
; %bb.1130:
	v_cvt_i32_f32_e32 v0, v2
	global_store_short v[4:5], v0, off
.LBB31_1131:
	s_mov_b64 s[8:9], 0
.LBB31_1132:
	s_andn2_b64 vcc, exec, s[8:9]
	s_cbranch_vccnz .LBB31_1137
; %bb.1133:
	v_cmp_lt_i16_e32 vcc, 0, v1
	s_mov_b64 s[8:9], -1
	s_cbranch_vccz .LBB31_1135
; %bb.1134:
	v_cvt_i32_f32_e32 v0, v2
	s_mov_b64 s[8:9], 0
	global_store_byte v[4:5], v0, off
.LBB31_1135:
	s_andn2_b64 vcc, exec, s[8:9]
	s_cbranch_vccnz .LBB31_1137
; %bb.1136:
	v_trunc_f32_e32 v0, v2
	s_mov_b32 s8, 0x2f800000
	v_mul_f32_e64 v1, |v0|, s8
	v_floor_f32_e32 v1, v1
	s_mov_b32 s8, 0xcf800000
	v_fma_f32 v1, v1, s8, |v0|
	v_cvt_u32_f32_e32 v1, v1
	v_ashrrev_i32_e32 v0, 31, v0
	v_xor_b32_e32 v1, v1, v0
	v_sub_u32_e32 v0, v1, v0
	global_store_byte v[4:5], v0, off
.LBB31_1137:
	s_or_b64 exec, exec, s[0:1]
	s_and_b64 s[28:29], s[2:3], exec
                                        ; implicit-def: $vgpr15
                                        ; implicit-def: $vgpr12
.LBB31_1138:
	s_or_saveexec_b64 s[30:31], s[42:43]
	s_mov_b64 s[0:1], 0
                                        ; implicit-def: $vgpr0_vgpr1
                                        ; implicit-def: $sgpr16
                                        ; implicit-def: $vgpr14
	s_xor_b64 exec, exec, s[30:31]
	s_cbranch_execz .LBB31_1765
; %bb.1139:
	v_cndmask_b32_e64 v0, 0, 1, s[40:41]
	v_cmp_ne_u32_e64 s[0:1], 1, v0
	s_andn2_b64 vcc, exec, s[40:41]
	s_cbranch_vccnz .LBB31_1146
; %bb.1140:
	s_mov_b32 s2, 0
	s_cmp_lg_u32 s33, 0
	v_mov_b32_e32 v8, 0
	v_mov_b32_e32 v6, 0
	s_cbranch_scc0 .LBB31_1145
; %bb.1141:
	s_min_u32 s38, s76, 15
	s_add_i32 s38, s38, 1
	s_cmp_eq_u32 s76, 2
	s_cbranch_scc1 .LBB31_1147
; %bb.1142:
	s_add_u32 s6, s34, 0xc4
	s_addc_u32 s7, s35, 0
	s_and_b32 s2, s38, 28
	s_mov_b32 s3, 0
	v_mov_b32_e32 v6, 0
	s_mov_b64 s[36:37], s[34:35]
	v_mov_b32_e32 v0, v12
	v_mov_b32_e32 v8, 0
.LBB31_1143:                            ; =>This Inner Loop Header: Depth=1
	s_load_dwordx8 s[16:23], s[36:37], 0x4
	s_load_dwordx4 s[24:27], s[36:37], 0x24
	s_load_dwordx8 s[8:15], s[6:7], 0x0
	s_add_u32 s36, s36, 48
	s_addc_u32 s37, s37, 0
	s_waitcnt vmcnt(0) lgkmcnt(0)
	v_mul_hi_u32 v1, s17, v0
	v_add_u32_e32 v1, v0, v1
	v_lshrrev_b32_e32 v1, s18, v1
	v_mul_lo_u32 v2, v1, s16
	v_mul_hi_u32 v3, s20, v1
	v_sub_u32_e32 v0, v0, v2
	v_add_u32_e32 v2, v1, v3
	v_lshrrev_b32_e32 v2, s21, v2
	v_mul_lo_u32 v4, v2, s19
	v_mul_hi_u32 v5, s23, v2
	v_sub_u32_e32 v1, v1, v4
	v_add_u32_e32 v4, v2, v5
	v_mul_lo_u32 v3, v0, s9
	v_mul_lo_u32 v0, v0, s8
	;; [unrolled: 1-line block ×4, first 2 shown]
	v_lshrrev_b32_e32 v4, s24, v4
	v_add3_u32 v1, v0, v6, v1
	v_add3_u32 v3, v3, v8, v5
	v_mul_lo_u32 v0, v4, s22
	v_mul_hi_u32 v5, s26, v4
	v_sub_u32_e32 v0, v2, v0
	v_add_u32_e32 v2, v4, v5
	v_mul_lo_u32 v5, v0, s12
	v_mul_lo_u32 v6, v0, s13
	v_lshrrev_b32_e32 v0, s27, v2
	s_add_i32 s3, s3, 4
	v_mul_lo_u32 v2, v0, s25
	s_add_u32 s6, s6, 32
	v_sub_u32_e32 v2, v4, v2
	s_addc_u32 s7, s7, 0
	v_mul_lo_u32 v4, v2, s14
	v_mul_lo_u32 v2, v2, s15
	s_cmp_lg_u32 s2, s3
	v_add3_u32 v8, v6, v3, v2
	v_add3_u32 v6, v5, v1, v4
	s_cbranch_scc1 .LBB31_1143
; %bb.1144:
	v_mov_b32_e32 v7, v8
	s_and_b32 s8, s38, 3
	s_cmp_eq_u32 s8, 0
	s_cbranch_scc0 .LBB31_1148
.LBB31_1145:
	s_cbranch_execz .LBB31_1151
	s_branch .LBB31_1153
.LBB31_1146:
                                        ; implicit-def: $vgpr8
                                        ; implicit-def: $vgpr6
	s_branch .LBB31_1151
.LBB31_1147:
	s_mov_b32 s3, s2
	s_waitcnt vmcnt(0)
	v_pk_mov_b32 v[6:7], s[2:3], s[2:3] op_sel:[0,1]
                                        ; implicit-def: $vgpr8
	v_mov_b32_e32 v0, v12
	s_and_b32 s8, s38, 3
	s_cmp_eq_u32 s8, 0
	s_cbranch_scc1 .LBB31_1145
.LBB31_1148:
	s_lshl_b32 s3, s2, 3
	s_add_u32 s3, s3, s34
	s_addc_u32 s7, 0, s35
	s_add_u32 s6, s3, 0xc4
	s_addc_u32 s7, s7, 0
	s_mul_i32 s2, s2, 12
	s_add_u32 s2, s34, s2
	s_addc_u32 s3, 0, s35
.LBB31_1149:                            ; =>This Inner Loop Header: Depth=1
	s_load_dwordx2 s[10:11], s[2:3], 0x4
	s_load_dword s9, s[2:3], 0xc
	s_load_dwordx2 s[12:13], s[6:7], 0x0
	s_add_u32 s2, s2, 12
	s_addc_u32 s3, s3, 0
	s_waitcnt lgkmcnt(0)
	v_mul_hi_u32 v1, s11, v0
	v_add_u32_e32 v1, v0, v1
	v_lshrrev_b32_e32 v1, s9, v1
	v_mul_lo_u32 v3, v1, s10
	v_mov_b32_e32 v2, v7
	s_add_u32 s6, s6, 8
	v_sub_u32_e32 v4, v0, v3
	s_addc_u32 s7, s7, 0
	s_add_i32 s8, s8, -1
	v_mad_u64_u32 v[2:3], s[10:11], v4, s13, v[2:3]
	v_mad_u64_u32 v[6:7], s[10:11], v4, s12, v[6:7]
	s_cmp_lg_u32 s8, 0
	v_mov_b32_e32 v0, v1
	v_mov_b32_e32 v7, v2
	s_cbranch_scc1 .LBB31_1149
; %bb.1150:
	v_mov_b32_e32 v8, v7
	s_cbranch_execnz .LBB31_1153
.LBB31_1151:
	s_load_dwordx4 s[8:11], s[34:35], 0x4
	s_load_dwordx2 s[2:3], s[34:35], 0xc4
	s_cmp_lt_u32 s33, 2
	s_waitcnt lgkmcnt(0)
	v_mul_hi_u32 v0, s9, v12
	v_add_u32_e32 v0, v12, v0
	v_lshrrev_b32_e32 v0, s10, v0
	s_waitcnt vmcnt(0)
	v_mul_lo_u32 v1, v0, s8
	v_sub_u32_e32 v1, v12, v1
	v_mul_lo_u32 v8, v1, s3
	v_mul_lo_u32 v6, v1, s2
	s_cbranch_scc1 .LBB31_1153
; %bb.1152:
	s_load_dwordx4 s[8:11], s[34:35], 0x10
	s_load_dwordx2 s[2:3], s[34:35], 0xcc
	s_waitcnt lgkmcnt(0)
	v_mul_hi_u32 v1, s9, v0
	v_add_u32_e32 v1, v0, v1
	v_lshrrev_b32_e32 v1, s10, v1
	v_mul_lo_u32 v1, v1, s8
	v_sub_u32_e32 v0, v0, v1
	v_mad_u64_u32 v[6:7], s[6:7], v0, s2, v[6:7]
	v_mad_u64_u32 v[8:9], s[2:3], v0, s3, v[8:9]
.LBB31_1153:
	s_and_b64 vcc, exec, s[0:1]
	v_add_u32_e32 v0, 0x80, v12
	s_cbranch_vccnz .LBB31_1160
; %bb.1154:
	s_mov_b32 s2, 0
	s_cmp_lg_u32 s33, 0
	v_mov_b32_e32 v10, 0
	v_mov_b32_e32 v4, 0
	s_cbranch_scc0 .LBB31_1159
; %bb.1155:
	s_min_u32 s38, s76, 15
	s_add_i32 s38, s38, 1
	s_cmp_eq_u32 s76, 2
	s_cbranch_scc1 .LBB31_1161
; %bb.1156:
	s_add_u32 s6, s34, 0xc4
	s_addc_u32 s7, s35, 0
	s_and_b32 s2, s38, 28
	s_mov_b32 s3, 0
	v_mov_b32_e32 v4, 0
	s_mov_b64 s[36:37], s[34:35]
	s_waitcnt vmcnt(0)
	v_mov_b32_e32 v1, v0
	v_mov_b32_e32 v10, 0
.LBB31_1157:                            ; =>This Inner Loop Header: Depth=1
	s_load_dwordx8 s[16:23], s[36:37], 0x4
	s_load_dwordx4 s[24:27], s[36:37], 0x24
	s_load_dwordx8 s[8:15], s[6:7], 0x0
	s_add_u32 s36, s36, 48
	s_addc_u32 s37, s37, 0
	s_waitcnt lgkmcnt(0)
	v_mul_hi_u32 v2, s17, v1
	v_add_u32_e32 v2, v1, v2
	v_lshrrev_b32_e32 v2, s18, v2
	v_mul_lo_u32 v3, v2, s16
	v_mul_hi_u32 v5, s20, v2
	v_sub_u32_e32 v1, v1, v3
	v_add_u32_e32 v3, v2, v5
	v_lshrrev_b32_e32 v3, s21, v3
	v_mul_lo_u32 v7, v3, s19
	v_mul_hi_u32 v9, s23, v3
	v_sub_u32_e32 v2, v2, v7
	v_add_u32_e32 v7, v3, v9
	v_mul_lo_u32 v5, v1, s9
	v_mul_lo_u32 v1, v1, s8
	;; [unrolled: 1-line block ×4, first 2 shown]
	v_lshrrev_b32_e32 v7, s24, v7
	v_add3_u32 v2, v1, v4, v2
	v_add3_u32 v4, v5, v10, v9
	v_mul_lo_u32 v1, v7, s22
	v_mul_hi_u32 v5, s26, v7
	v_sub_u32_e32 v1, v3, v1
	v_add_u32_e32 v3, v7, v5
	v_mul_lo_u32 v5, v1, s12
	v_mul_lo_u32 v9, v1, s13
	v_lshrrev_b32_e32 v1, s27, v3
	s_add_i32 s3, s3, 4
	v_mul_lo_u32 v3, v1, s25
	s_add_u32 s6, s6, 32
	v_sub_u32_e32 v3, v7, v3
	s_addc_u32 s7, s7, 0
	v_mul_lo_u32 v7, v3, s14
	v_mul_lo_u32 v3, v3, s15
	s_cmp_lg_u32 s2, s3
	v_add3_u32 v10, v9, v4, v3
	v_add3_u32 v4, v5, v2, v7
	s_cbranch_scc1 .LBB31_1157
; %bb.1158:
	v_mov_b32_e32 v5, v10
	s_and_b32 s8, s38, 3
	s_cmp_eq_u32 s8, 0
	s_cbranch_scc0 .LBB31_1162
.LBB31_1159:
	s_cbranch_execz .LBB31_1165
	s_branch .LBB31_1167
.LBB31_1160:
                                        ; implicit-def: $vgpr10
                                        ; implicit-def: $vgpr4
	s_branch .LBB31_1165
.LBB31_1161:
	s_mov_b32 s3, s2
	v_pk_mov_b32 v[4:5], s[2:3], s[2:3] op_sel:[0,1]
                                        ; implicit-def: $vgpr10
	s_waitcnt vmcnt(0)
	v_mov_b32_e32 v1, v0
	s_and_b32 s8, s38, 3
	s_cmp_eq_u32 s8, 0
	s_cbranch_scc1 .LBB31_1159
.LBB31_1162:
	s_lshl_b32 s3, s2, 3
	s_add_u32 s3, s3, s34
	s_addc_u32 s7, 0, s35
	s_add_u32 s6, s3, 0xc4
	s_addc_u32 s7, s7, 0
	s_mul_i32 s2, s2, 12
	s_add_u32 s2, s34, s2
	s_addc_u32 s3, 0, s35
.LBB31_1163:                            ; =>This Inner Loop Header: Depth=1
	s_load_dwordx2 s[10:11], s[2:3], 0x4
	s_load_dword s9, s[2:3], 0xc
	s_load_dwordx2 s[12:13], s[6:7], 0x0
	s_add_u32 s2, s2, 12
	v_mov_b32_e32 v2, v5
	s_waitcnt lgkmcnt(0)
	v_mul_hi_u32 v3, s11, v1
	v_add_u32_e32 v3, v1, v3
	v_lshrrev_b32_e32 v3, s9, v3
	s_addc_u32 s3, s3, 0
	v_mul_lo_u32 v5, v3, s10
	s_add_u32 s6, s6, 8
	v_sub_u32_e32 v5, v1, v5
	s_addc_u32 s7, s7, 0
	s_add_i32 s8, s8, -1
	v_mov_b32_e32 v1, v3
	v_mad_u64_u32 v[2:3], s[10:11], v5, s13, v[2:3]
	v_mad_u64_u32 v[4:5], s[10:11], v5, s12, v[4:5]
	s_cmp_lg_u32 s8, 0
	v_mov_b32_e32 v5, v2
	s_cbranch_scc1 .LBB31_1163
; %bb.1164:
	v_mov_b32_e32 v10, v5
	s_cbranch_execnz .LBB31_1167
.LBB31_1165:
	s_load_dwordx4 s[8:11], s[34:35], 0x4
	s_load_dwordx2 s[2:3], s[34:35], 0xc4
	s_cmp_lt_u32 s33, 2
	s_waitcnt vmcnt(0) lgkmcnt(0)
	v_mul_hi_u32 v1, s9, v0
	v_add_u32_e32 v1, v0, v1
	v_lshrrev_b32_e32 v1, s10, v1
	v_mul_lo_u32 v2, v1, s8
	v_sub_u32_e32 v0, v0, v2
	v_mul_lo_u32 v10, v0, s3
	v_mul_lo_u32 v4, v0, s2
	s_cbranch_scc1 .LBB31_1167
; %bb.1166:
	s_load_dwordx4 s[8:11], s[34:35], 0x10
	s_load_dwordx2 s[2:3], s[34:35], 0xcc
	s_waitcnt lgkmcnt(0)
	v_mul_hi_u32 v0, s9, v1
	v_add_u32_e32 v0, v1, v0
	v_lshrrev_b32_e32 v0, s10, v0
	v_mul_lo_u32 v0, v0, s8
	v_sub_u32_e32 v0, v1, v0
	v_mad_u64_u32 v[4:5], s[6:7], v0, s2, v[4:5]
	v_mad_u64_u32 v[10:11], s[2:3], v0, s3, v[10:11]
.LBB31_1167:
	s_and_b64 vcc, exec, s[0:1]
	v_add_u32_e32 v0, 0x100, v12
	s_cbranch_vccnz .LBB31_1174
; %bb.1168:
	s_mov_b32 s2, 0
	s_cmp_lg_u32 s33, 0
	v_mov_b32_e32 v12, 0
	v_mov_b32_e32 v2, 0
	s_cbranch_scc0 .LBB31_1173
; %bb.1169:
	s_min_u32 s38, s76, 15
	s_add_i32 s38, s38, 1
	s_cmp_eq_u32 s76, 2
	s_cbranch_scc1 .LBB31_1175
; %bb.1170:
	s_add_u32 s6, s34, 0xc4
	s_addc_u32 s7, s35, 0
	s_and_b32 s2, s38, 28
	s_mov_b32 s3, 0
	v_mov_b32_e32 v2, 0
	s_mov_b64 s[36:37], s[34:35]
	s_waitcnt vmcnt(0)
	v_mov_b32_e32 v1, v0
	v_mov_b32_e32 v12, 0
.LBB31_1171:                            ; =>This Inner Loop Header: Depth=1
	s_load_dwordx8 s[16:23], s[36:37], 0x4
	s_load_dwordx4 s[24:27], s[36:37], 0x24
	s_load_dwordx8 s[8:15], s[6:7], 0x0
	s_add_u32 s36, s36, 48
	s_addc_u32 s37, s37, 0
	s_waitcnt lgkmcnt(0)
	v_mul_hi_u32 v3, s17, v1
	v_add_u32_e32 v3, v1, v3
	v_lshrrev_b32_e32 v3, s18, v3
	v_mul_lo_u32 v5, v3, s16
	v_mul_hi_u32 v7, s20, v3
	v_sub_u32_e32 v1, v1, v5
	v_add_u32_e32 v5, v3, v7
	v_lshrrev_b32_e32 v5, s21, v5
	v_mul_lo_u32 v9, v5, s19
	v_mul_hi_u32 v11, s23, v5
	v_sub_u32_e32 v3, v3, v9
	v_add_u32_e32 v9, v5, v11
	v_mul_lo_u32 v7, v1, s9
	v_mul_lo_u32 v1, v1, s8
	;; [unrolled: 1-line block ×4, first 2 shown]
	v_lshrrev_b32_e32 v9, s24, v9
	v_add3_u32 v2, v1, v2, v3
	v_add3_u32 v3, v7, v12, v11
	v_mul_lo_u32 v1, v9, s22
	v_mul_hi_u32 v7, s26, v9
	v_sub_u32_e32 v1, v5, v1
	v_add_u32_e32 v5, v9, v7
	v_mul_lo_u32 v7, v1, s12
	v_mul_lo_u32 v11, v1, s13
	v_lshrrev_b32_e32 v1, s27, v5
	s_add_i32 s3, s3, 4
	v_mul_lo_u32 v5, v1, s25
	s_add_u32 s6, s6, 32
	v_sub_u32_e32 v5, v9, v5
	s_addc_u32 s7, s7, 0
	v_mul_lo_u32 v9, v5, s14
	v_mul_lo_u32 v5, v5, s15
	s_cmp_lg_u32 s2, s3
	v_add3_u32 v12, v11, v3, v5
	v_add3_u32 v2, v7, v2, v9
	s_cbranch_scc1 .LBB31_1171
; %bb.1172:
	v_mov_b32_e32 v3, v12
	s_and_b32 s8, s38, 3
	s_cmp_eq_u32 s8, 0
	s_cbranch_scc0 .LBB31_1176
.LBB31_1173:
	s_cbranch_execz .LBB31_1179
	s_branch .LBB31_1181
.LBB31_1174:
                                        ; implicit-def: $vgpr12
                                        ; implicit-def: $vgpr2
	s_branch .LBB31_1179
.LBB31_1175:
	s_mov_b32 s3, s2
	v_pk_mov_b32 v[2:3], s[2:3], s[2:3] op_sel:[0,1]
                                        ; implicit-def: $vgpr12
	s_waitcnt vmcnt(0)
	v_mov_b32_e32 v1, v0
	s_and_b32 s8, s38, 3
	s_cmp_eq_u32 s8, 0
	s_cbranch_scc1 .LBB31_1173
.LBB31_1176:
	s_lshl_b32 s3, s2, 3
	s_add_u32 s3, s3, s34
	s_addc_u32 s7, 0, s35
	s_add_u32 s6, s3, 0xc4
	s_addc_u32 s7, s7, 0
	s_mul_i32 s2, s2, 12
	s_add_u32 s2, s34, s2
	s_addc_u32 s3, 0, s35
.LBB31_1177:                            ; =>This Inner Loop Header: Depth=1
	s_load_dwordx2 s[10:11], s[2:3], 0x4
	s_load_dword s9, s[2:3], 0xc
	s_load_dwordx2 s[12:13], s[6:7], 0x0
	v_mov_b32_e32 v12, v3
	s_add_u32 s2, s2, 12
	s_waitcnt lgkmcnt(0)
	v_mul_hi_u32 v3, s11, v1
	v_add_u32_e32 v3, v1, v3
	v_lshrrev_b32_e32 v3, s9, v3
	s_addc_u32 s3, s3, 0
	v_mul_lo_u32 v5, v3, s10
	s_add_u32 s6, s6, 8
	v_sub_u32_e32 v5, v1, v5
	s_addc_u32 s7, s7, 0
	s_add_i32 s8, s8, -1
	v_mov_b32_e32 v1, v3
	v_mad_u64_u32 v[12:13], s[10:11], v5, s13, v[12:13]
	v_mad_u64_u32 v[2:3], s[10:11], v5, s12, v[2:3]
	s_cmp_lg_u32 s8, 0
	v_mov_b32_e32 v3, v12
	s_cbranch_scc1 .LBB31_1177
; %bb.1178:
	v_mov_b32_e32 v12, v3
	s_cbranch_execnz .LBB31_1181
.LBB31_1179:
	s_load_dwordx4 s[8:11], s[34:35], 0x4
	s_load_dwordx2 s[2:3], s[34:35], 0xc4
	s_cmp_lt_u32 s33, 2
	s_waitcnt vmcnt(0) lgkmcnt(0)
	v_mul_hi_u32 v1, s9, v0
	v_add_u32_e32 v1, v0, v1
	v_lshrrev_b32_e32 v1, s10, v1
	v_mul_lo_u32 v2, v1, s8
	v_sub_u32_e32 v0, v0, v2
	v_mul_lo_u32 v12, v0, s3
	v_mul_lo_u32 v2, v0, s2
	s_cbranch_scc1 .LBB31_1181
; %bb.1180:
	s_load_dwordx4 s[8:11], s[34:35], 0x10
	s_load_dwordx2 s[2:3], s[34:35], 0xcc
	s_waitcnt lgkmcnt(0)
	v_mul_hi_u32 v0, s9, v1
	v_add_u32_e32 v0, v1, v0
	v_lshrrev_b32_e32 v0, s10, v0
	v_mul_lo_u32 v0, v0, s8
	v_sub_u32_e32 v0, v1, v0
	v_mad_u64_u32 v[2:3], s[6:7], v0, s2, v[2:3]
	v_mad_u64_u32 v[12:13], s[2:3], v0, s3, v[12:13]
.LBB31_1181:
	s_and_b64 vcc, exec, s[0:1]
	s_cbranch_vccnz .LBB31_1188
; %bb.1182:
	s_mov_b32 s6, 0
	s_cmp_lg_u32 s33, 0
	v_mov_b32_e32 v14, 0
	v_mov_b32_e32 v0, 0
	s_cbranch_scc0 .LBB31_1187
; %bb.1183:
	s_min_u32 s36, s76, 15
	s_add_i32 s36, s36, 1
	s_cmp_eq_u32 s76, 2
	s_cbranch_scc1 .LBB31_1189
; %bb.1184:
	s_add_u32 s24, s34, 0xc4
	s_addc_u32 s25, s35, 0
	s_and_b32 s6, s36, 28
	s_mov_b32 s7, 0
	v_mov_b32_e32 v0, 0
	s_mov_b64 s[26:27], s[34:35]
	v_mov_b32_e32 v3, v15
	v_mov_b32_e32 v14, 0
.LBB31_1185:                            ; =>This Inner Loop Header: Depth=1
	s_load_dwordx8 s[16:23], s[26:27], 0x4
	s_load_dwordx4 s[0:3], s[26:27], 0x24
	s_load_dwordx8 s[8:15], s[24:25], 0x0
	s_add_u32 s26, s26, 48
	s_addc_u32 s27, s27, 0
	s_waitcnt vmcnt(0) lgkmcnt(0)
	v_mul_hi_u32 v1, s17, v3
	v_add_u32_e32 v1, v3, v1
	v_lshrrev_b32_e32 v1, s18, v1
	v_mul_lo_u32 v5, v1, s16
	v_mul_hi_u32 v7, s20, v1
	v_sub_u32_e32 v3, v3, v5
	v_add_u32_e32 v5, v1, v7
	v_lshrrev_b32_e32 v5, s21, v5
	v_mul_lo_u32 v9, v5, s19
	v_mul_hi_u32 v11, s23, v5
	v_sub_u32_e32 v1, v1, v9
	v_add_u32_e32 v9, v5, v11
	v_mul_lo_u32 v7, v3, s9
	v_mul_lo_u32 v3, v3, s8
	;; [unrolled: 1-line block ×4, first 2 shown]
	v_lshrrev_b32_e32 v9, s0, v9
	v_add3_u32 v0, v3, v0, v1
	v_add3_u32 v1, v7, v14, v11
	v_mul_lo_u32 v3, v9, s22
	v_mul_hi_u32 v7, s2, v9
	v_sub_u32_e32 v3, v5, v3
	v_add_u32_e32 v5, v9, v7
	v_mul_lo_u32 v7, v3, s12
	v_mul_lo_u32 v11, v3, s13
	v_lshrrev_b32_e32 v3, s3, v5
	s_add_i32 s7, s7, 4
	v_mul_lo_u32 v5, v3, s1
	s_add_u32 s24, s24, 32
	v_sub_u32_e32 v5, v9, v5
	s_addc_u32 s25, s25, 0
	v_mul_lo_u32 v9, v5, s14
	v_mul_lo_u32 v5, v5, s15
	s_cmp_lg_u32 s6, s7
	v_add3_u32 v14, v11, v1, v5
	v_add3_u32 v0, v7, v0, v9
	s_cbranch_scc1 .LBB31_1185
; %bb.1186:
	v_mov_b32_e32 v1, v14
	s_and_b32 s7, s36, 3
	s_cmp_eq_u32 s7, 0
	s_cbranch_scc0 .LBB31_1190
.LBB31_1187:
	s_cbranch_execz .LBB31_1193
	s_branch .LBB31_1195
.LBB31_1188:
                                        ; implicit-def: $vgpr14
                                        ; implicit-def: $vgpr0
	s_branch .LBB31_1193
.LBB31_1189:
	s_mov_b32 s7, s6
	s_waitcnt vmcnt(0)
	v_pk_mov_b32 v[0:1], s[6:7], s[6:7] op_sel:[0,1]
                                        ; implicit-def: $vgpr14
	v_mov_b32_e32 v3, v15
	s_and_b32 s7, s36, 3
	s_cmp_eq_u32 s7, 0
	s_cbranch_scc1 .LBB31_1187
.LBB31_1190:
	s_lshl_b32 s0, s6, 3
	s_add_u32 s0, s0, s34
	s_addc_u32 s1, 0, s35
	s_add_u32 s0, s0, 0xc4
	s_addc_u32 s1, s1, 0
	s_mul_i32 s2, s6, 12
	s_add_u32 s2, s34, s2
	s_addc_u32 s3, 0, s35
.LBB31_1191:                            ; =>This Inner Loop Header: Depth=1
	s_load_dwordx2 s[8:9], s[2:3], 0x4
	s_load_dword s6, s[2:3], 0xc
	s_load_dwordx2 s[10:11], s[0:1], 0x0
	v_mov_b32_e32 v14, v1
	s_add_u32 s2, s2, 12
	s_waitcnt lgkmcnt(0)
	v_mul_hi_u32 v1, s9, v3
	v_add_u32_e32 v1, v3, v1
	v_lshrrev_b32_e32 v1, s6, v1
	s_addc_u32 s3, s3, 0
	v_mul_lo_u32 v5, v1, s8
	s_add_u32 s0, s0, 8
	v_sub_u32_e32 v5, v3, v5
	s_addc_u32 s1, s1, 0
	s_add_i32 s7, s7, -1
	v_mov_b32_e32 v3, v1
	v_mad_u64_u32 v[16:17], s[8:9], v5, s11, v[14:15]
	v_mad_u64_u32 v[0:1], s[8:9], v5, s10, v[0:1]
	s_cmp_lg_u32 s7, 0
	v_mov_b32_e32 v1, v16
	s_cbranch_scc1 .LBB31_1191
; %bb.1192:
	v_mov_b32_e32 v14, v1
	s_cbranch_execnz .LBB31_1195
.LBB31_1193:
	s_load_dwordx4 s[0:3], s[34:35], 0x4
	s_load_dwordx2 s[6:7], s[34:35], 0xc4
	s_cmp_lt_u32 s33, 2
	s_waitcnt lgkmcnt(0)
	v_mul_hi_u32 v0, s1, v15
	v_add_u32_e32 v0, v15, v0
	s_waitcnt vmcnt(0)
	v_lshrrev_b32_e32 v1, s2, v0
	v_mul_lo_u32 v0, v1, s0
	v_sub_u32_e32 v0, v15, v0
	v_mul_lo_u32 v14, v0, s7
	v_mul_lo_u32 v0, v0, s6
	s_cbranch_scc1 .LBB31_1195
; %bb.1194:
	s_load_dwordx4 s[0:3], s[34:35], 0x10
	s_load_dwordx2 s[6:7], s[34:35], 0xcc
	s_waitcnt lgkmcnt(0)
	v_mul_hi_u32 v3, s1, v1
	v_add_u32_e32 v3, v1, v3
	v_lshrrev_b32_e32 v3, s2, v3
	v_mul_lo_u32 v3, v3, s0
	v_sub_u32_e32 v3, v1, v3
	v_mad_u64_u32 v[0:1], s[0:1], v3, s6, v[0:1]
	v_mad_u64_u32 v[14:15], s[0:1], v3, s7, v[14:15]
.LBB31_1195:
	s_load_dword s0, s[4:5], 0x168
	s_load_dwordx4 s[8:11], s[34:35], 0x148
	s_waitcnt lgkmcnt(0)
	s_lshr_b32 s18, s0, 8
	s_waitcnt vmcnt(0)
	v_mov_b32_e32 v1, s11
	v_add_co_u32_e32 v8, vcc, s10, v8
	v_addc_co_u32_e32 v9, vcc, 0, v1, vcc
	v_mov_b32_e32 v1, 11
	v_cmp_lt_i16_sdwa s[0:1], s18, v1 src0_sel:BYTE_0 src1_sel:DWORD
	s_and_b64 vcc, exec, s[0:1]
	s_cbranch_vccnz .LBB31_1202
; %bb.1196:
	v_mov_b32_e32 v1, 25
	v_cmp_gt_i16_sdwa s[0:1], s18, v1 src0_sel:BYTE_0 src1_sel:DWORD
	s_mov_b64 s[4:5], 0
	s_and_b64 vcc, exec, s[0:1]
	s_cbranch_vccz .LBB31_1204
; %bb.1197:
	v_mov_b32_e32 v1, 28
	v_cmp_gt_i16_sdwa s[0:1], s18, v1 src0_sel:BYTE_0 src1_sel:DWORD
	s_and_b64 vcc, exec, s[0:1]
	s_cbranch_vccz .LBB31_1205
; %bb.1198:
	v_mov_b32_e32 v1, 43
	v_cmp_gt_i16_sdwa s[0:1], s18, v1 src0_sel:BYTE_0 src1_sel:DWORD
	;; [unrolled: 5-line block ×3, first 2 shown]
	s_and_b64 vcc, exec, s[0:1]
	s_cbranch_vccz .LBB31_1207
; %bb.1200:
	v_mov_b32_e32 v1, 46
	v_cmp_eq_u16_sdwa s[0:1], s18, v1 src0_sel:BYTE_0 src1_sel:DWORD
	s_mov_b64 s[2:3], 0
	s_and_b64 vcc, exec, s[0:1]
	s_cbranch_vccz .LBB31_1210
; %bb.1201:
	global_load_dword v1, v[8:9], off
	s_mov_b64 s[0:1], 0
	s_mov_b64 s[6:7], -1
	s_waitcnt vmcnt(0)
	v_lshlrev_b32_e32 v1, 16, v1
	s_branch .LBB31_1211
.LBB31_1202:
	s_mov_b64 s[6:7], 0
                                        ; implicit-def: $vgpr1
	s_mov_b64 s[2:3], s[28:29]
	s_cbranch_execnz .LBB31_1274
.LBB31_1203:
	s_andn2_b64 vcc, exec, s[6:7]
	s_cbranch_vccz .LBB31_1319
	s_branch .LBB31_1762
.LBB31_1204:
	s_mov_b64 s[6:7], 0
	s_mov_b64 s[0:1], 0
                                        ; implicit-def: $vgpr1
	s_cbranch_execnz .LBB31_1239
	s_branch .LBB31_1270
.LBB31_1205:
	s_mov_b64 s[2:3], -1
	s_mov_b64 s[6:7], 0
	s_mov_b64 s[0:1], 0
                                        ; implicit-def: $vgpr1
	s_branch .LBB31_1220
.LBB31_1206:
	s_mov_b64 s[6:7], 0
	s_mov_b64 s[0:1], 0
                                        ; implicit-def: $vgpr1
	s_cbranch_execnz .LBB31_1216
	s_branch .LBB31_1219
.LBB31_1207:
	s_mov_b64 s[2:3], -1
	s_mov_b64 s[6:7], 0
	s_mov_b64 s[0:1], 0
                                        ; implicit-def: $vgpr1
	s_branch .LBB31_1211
.LBB31_1208:
	s_or_saveexec_b64 s[14:15], s[14:15]
                                        ; implicit-def: $sgpr16
	s_xor_b64 exec, exec, s[14:15]
	s_cbranch_execz .LBB31_1051
.LBB31_1209:
	s_mov_b32 s16, 0x46000000
	v_add_f32_e64 v0, |v2|, s16
	v_and_b32_e32 v0, 0xff, v0
	v_cmp_ne_u32_e32 vcc, 0, v0
	s_andn2_b64 s[12:13], s[12:13], exec
	s_and_b64 s[18:19], vcc, exec
	s_mov_b32 s16, 0
	s_or_b64 s[12:13], s[12:13], s[18:19]
	s_or_b64 exec, exec, s[14:15]
	v_mov_b32_e32 v3, s16
	s_and_saveexec_b64 s[14:15], s[12:13]
	s_cbranch_execnz .LBB31_1052
	s_branch .LBB31_1053
.LBB31_1210:
	s_mov_b64 s[0:1], -1
                                        ; implicit-def: $vgpr1
	s_mov_b64 s[6:7], 0
.LBB31_1211:
	s_and_b64 vcc, exec, s[2:3]
	s_cbranch_vccz .LBB31_1214
; %bb.1212:
	v_mov_b32_e32 v1, 44
	v_cmp_eq_u16_sdwa s[0:1], s18, v1 src0_sel:BYTE_0 src1_sel:DWORD
	s_and_b64 vcc, exec, s[0:1]
	s_cbranch_vccz .LBB31_1215
; %bb.1213:
	global_load_ubyte v1, v[8:9], off
	s_movk_i32 s2, 0xff
	v_mov_b32_e32 v3, 0x7f800001
	v_mov_b32_e32 v5, 0x400000
	s_mov_b64 s[0:1], 0
	s_mov_b64 s[6:7], -1
	s_waitcnt vmcnt(0)
	v_lshlrev_b32_e32 v7, 23, v1
	v_cmp_ne_u32_e32 vcc, s2, v1
	v_cndmask_b32_e32 v3, v3, v7, vcc
	v_cmp_ne_u32_e32 vcc, 0, v1
	v_cndmask_b32_e32 v1, v5, v3, vcc
.LBB31_1214:
	s_branch .LBB31_1219
.LBB31_1215:
	s_mov_b64 s[0:1], -1
                                        ; implicit-def: $vgpr1
	s_branch .LBB31_1219
.LBB31_1216:
	v_mov_b32_e32 v1, 29
	v_cmp_eq_u16_sdwa s[0:1], s18, v1 src0_sel:BYTE_0 src1_sel:DWORD
	s_and_b64 vcc, exec, s[0:1]
	s_cbranch_vccz .LBB31_1218
; %bb.1217:
	global_load_dwordx2 v[16:17], v[8:9], off
	s_mov_b64 s[0:1], 0
	s_mov_b64 s[6:7], -1
	s_mov_b64 s[2:3], 0
	s_waitcnt vmcnt(0)
	v_ffbh_u32_e32 v1, v17
	v_min_u32_e32 v1, 32, v1
	v_lshlrev_b64 v[16:17], v1, v[16:17]
	v_min_u32_e32 v3, 1, v16
	v_or_b32_e32 v3, v17, v3
	v_cvt_f32_u32_e32 v3, v3
	v_sub_u32_e32 v1, 32, v1
	v_ldexp_f32 v1, v3, v1
	s_branch .LBB31_1220
.LBB31_1218:
	s_mov_b64 s[0:1], -1
                                        ; implicit-def: $vgpr1
.LBB31_1219:
	s_mov_b64 s[2:3], 0
.LBB31_1220:
	s_and_b64 vcc, exec, s[2:3]
	s_cbranch_vccz .LBB31_1238
; %bb.1221:
	v_mov_b32_e32 v1, 27
	v_cmp_lt_i16_sdwa s[2:3], s18, v1 src0_sel:BYTE_0 src1_sel:DWORD
	s_and_b64 vcc, exec, s[2:3]
	s_cbranch_vccnz .LBB31_1224
; %bb.1222:
	v_cmp_gt_i16_sdwa s[2:3], s18, v1 src0_sel:BYTE_0 src1_sel:DWORD
	s_and_b64 vcc, exec, s[2:3]
	s_cbranch_vccz .LBB31_1225
; %bb.1223:
	global_load_dword v1, v[8:9], off
	s_mov_b64 s[2:3], 0
	s_waitcnt vmcnt(0)
	v_cvt_f32_u32_e32 v1, v1
	s_branch .LBB31_1226
.LBB31_1224:
	s_mov_b64 s[2:3], -1
                                        ; implicit-def: $vgpr1
	s_branch .LBB31_1229
.LBB31_1225:
	s_mov_b64 s[2:3], -1
                                        ; implicit-def: $vgpr1
.LBB31_1226:
	s_andn2_b64 vcc, exec, s[2:3]
	s_cbranch_vccnz .LBB31_1228
; %bb.1227:
	global_load_ushort v1, v[8:9], off
	s_waitcnt vmcnt(0)
	v_cvt_f32_u32_e32 v1, v1
.LBB31_1228:
	s_mov_b64 s[2:3], 0
.LBB31_1229:
	s_andn2_b64 vcc, exec, s[2:3]
	s_cbranch_vccnz .LBB31_1237
; %bb.1230:
	global_load_ubyte v3, v[8:9], off
	s_movk_i32 s2, 0x7f
                                        ; implicit-def: $sgpr14
	s_waitcnt vmcnt(0)
	v_cmp_lt_i16_e32 vcc, s2, v3
	s_mov_b64 s[2:3], 0
	s_and_saveexec_b64 s[6:7], vcc
	s_xor_b64 s[6:7], exec, s[6:7]
	s_cbranch_execz .LBB31_1250
; %bb.1231:
	s_movk_i32 s2, 0x80
	v_cmp_eq_u16_e32 vcc, s2, v3
	s_mov_b64 s[2:3], -1
                                        ; implicit-def: $sgpr14
	s_and_saveexec_b64 s[12:13], vcc
; %bb.1232:
	s_mov_b32 s14, 0x7f800001
	s_xor_b64 s[2:3], exec, -1
; %bb.1233:
	s_or_b64 exec, exec, s[12:13]
	s_and_b64 s[2:3], s[2:3], exec
	s_or_saveexec_b64 s[6:7], s[6:7]
	v_mov_b32_e32 v1, s14
	s_xor_b64 exec, exec, s[6:7]
	s_cbranch_execnz .LBB31_1251
.LBB31_1234:
	s_or_b64 exec, exec, s[6:7]
	s_and_saveexec_b64 s[6:7], s[2:3]
	s_cbranch_execz .LBB31_1236
.LBB31_1235:
	v_lshlrev_b32_e32 v1, 24, v3
	v_and_b32_e32 v3, 0xffff, v3
	v_and_b32_e32 v5, 7, v3
	v_ffbh_u32_e32 v11, v5
	v_min_u32_e32 v11, 32, v11
	v_subrev_u32_e32 v13, 28, v11
	v_bfe_u32 v7, v3, 3, 4
	v_lshlrev_b32_e32 v3, v13, v3
	v_sub_u32_e32 v11, 29, v11
	v_and_b32_e32 v3, 7, v3
	v_cmp_eq_u32_e32 vcc, 0, v7
	v_cndmask_b32_e32 v7, v7, v11, vcc
	v_cndmask_b32_e32 v3, v5, v3, vcc
	v_mov_b32_e32 v5, 0x3b800000
	v_lshlrev_b32_e32 v3, 20, v3
	v_and_b32_e32 v1, 0x80000000, v1
	v_lshl_add_u32 v5, v7, 23, v5
	v_or3_b32 v1, v1, v5, v3
.LBB31_1236:
	s_or_b64 exec, exec, s[6:7]
.LBB31_1237:
	s_mov_b64 s[6:7], -1
.LBB31_1238:
	s_branch .LBB31_1270
.LBB31_1239:
	v_mov_b32_e32 v1, 22
	v_cmp_gt_i16_sdwa s[2:3], s18, v1 src0_sel:BYTE_0 src1_sel:DWORD
	s_and_b64 vcc, exec, s[2:3]
	s_cbranch_vccz .LBB31_1249
; %bb.1240:
	v_mov_b32_e32 v1, 24
	v_cmp_lt_i16_sdwa s[2:3], s18, v1 src0_sel:BYTE_0 src1_sel:DWORD
	s_and_b64 vcc, exec, s[2:3]
	s_cbranch_vccnz .LBB31_1252
; %bb.1241:
	v_cmp_gt_i16_sdwa s[2:3], s18, v1 src0_sel:BYTE_0 src1_sel:DWORD
	s_and_b64 vcc, exec, s[2:3]
	s_cbranch_vccz .LBB31_1253
; %bb.1242:
	global_load_ubyte v3, v[8:9], off
	s_movk_i32 s2, 0x7f
                                        ; implicit-def: $sgpr12
	s_waitcnt vmcnt(0)
	v_cmp_lt_i16_e32 vcc, s2, v3
	s_mov_b64 s[2:3], 0
	s_and_saveexec_b64 s[4:5], vcc
	s_xor_b64 s[4:5], exec, s[4:5]
	s_cbranch_execz .LBB31_1264
; %bb.1243:
	s_movk_i32 s2, 0x80
	v_cmp_eq_u16_e32 vcc, s2, v3
	s_mov_b64 s[2:3], -1
                                        ; implicit-def: $sgpr12
	s_and_saveexec_b64 s[6:7], vcc
; %bb.1244:
	s_mov_b32 s12, 0x7f800001
	s_xor_b64 s[2:3], exec, -1
; %bb.1245:
	s_or_b64 exec, exec, s[6:7]
	s_and_b64 s[2:3], s[2:3], exec
	s_or_saveexec_b64 s[4:5], s[4:5]
	v_mov_b32_e32 v1, s12
	s_xor_b64 exec, exec, s[4:5]
	s_cbranch_execnz .LBB31_1265
.LBB31_1246:
	s_or_b64 exec, exec, s[4:5]
	s_and_saveexec_b64 s[4:5], s[2:3]
	s_cbranch_execz .LBB31_1248
.LBB31_1247:
	v_lshlrev_b32_e32 v1, 24, v3
	v_and_b32_e32 v3, 0xffff, v3
	v_and_b32_e32 v5, 3, v3
	v_ffbh_u32_e32 v11, v5
	v_min_u32_e32 v11, 32, v11
	v_subrev_u32_e32 v13, 29, v11
	v_bfe_u32 v7, v3, 2, 5
	v_lshlrev_b32_e32 v3, v13, v3
	v_sub_u32_e32 v11, 30, v11
	v_and_b32_e32 v3, 3, v3
	v_cmp_eq_u32_e32 vcc, 0, v7
	v_cndmask_b32_e32 v7, v7, v11, vcc
	v_cndmask_b32_e32 v3, v5, v3, vcc
	v_mov_b32_e32 v5, 0x37800000
	v_lshlrev_b32_e32 v3, 21, v3
	v_and_b32_e32 v1, 0x80000000, v1
	v_lshl_add_u32 v5, v7, 23, v5
	v_or3_b32 v1, v1, v5, v3
.LBB31_1248:
	s_or_b64 exec, exec, s[4:5]
	s_mov_b64 s[2:3], 0
	s_branch .LBB31_1254
.LBB31_1249:
                                        ; implicit-def: $vgpr1
	s_mov_b64 s[4:5], 0
	s_branch .LBB31_1260
.LBB31_1250:
	s_or_saveexec_b64 s[6:7], s[6:7]
	v_mov_b32_e32 v1, s14
	s_xor_b64 exec, exec, s[6:7]
	s_cbranch_execz .LBB31_1234
.LBB31_1251:
	v_cmp_ne_u16_e32 vcc, 0, v3
	s_andn2_b64 s[2:3], s[2:3], exec
	s_and_b64 s[12:13], vcc, exec
	v_mov_b32_e32 v1, 0
	s_or_b64 s[2:3], s[2:3], s[12:13]
	s_or_b64 exec, exec, s[6:7]
	s_and_saveexec_b64 s[6:7], s[2:3]
	s_cbranch_execnz .LBB31_1235
	s_branch .LBB31_1236
.LBB31_1252:
	s_mov_b64 s[2:3], -1
                                        ; implicit-def: $vgpr1
	s_branch .LBB31_1257
.LBB31_1253:
	s_mov_b64 s[2:3], -1
                                        ; implicit-def: $vgpr1
.LBB31_1254:
	s_and_b64 vcc, exec, s[2:3]
	s_cbranch_vccz .LBB31_1256
; %bb.1255:
	global_load_ubyte v1, v[8:9], off
	s_mov_b32 s2, 0x7f800000
	s_waitcnt vmcnt(0)
	v_lshlrev_b32_e32 v1, 24, v1
	v_and_b32_e32 v3, 0x7f000000, v1
	v_ffbh_u32_e32 v5, v3
	v_min_u32_e32 v5, 32, v5
	v_sub_u32_e64 v5, v5, 4 clamp
	v_lshlrev_b32_e32 v11, v5, v3
	v_lshlrev_b32_e32 v5, 23, v5
	v_lshrrev_b32_e32 v11, 4, v11
	v_add_u32_e32 v7, 0x1000000, v3
	v_sub_u32_e32 v5, v11, v5
	v_ashrrev_i32_e32 v7, 8, v7
	v_add_u32_e32 v5, 0x3c000000, v5
	v_and_or_b32 v5, v7, s2, v5
	v_cmp_ne_u32_e32 vcc, 0, v3
	v_cndmask_b32_e32 v3, 0, v5, vcc
	s_brev_b32 s2, 1
	v_and_or_b32 v1, v1, s2, v3
.LBB31_1256:
	s_mov_b64 s[2:3], 0
.LBB31_1257:
	s_andn2_b64 vcc, exec, s[2:3]
	s_cbranch_vccnz .LBB31_1259
; %bb.1258:
	global_load_ubyte v1, v[8:9], off
	s_movk_i32 s2, 0x7f00
	s_brev_b32 s3, 16
	s_waitcnt vmcnt(0)
	v_lshlrev_b16_e32 v3, 8, v1
	v_lshlrev_b32_e32 v1, 25, v1
	v_lshrrev_b32_e32 v5, 4, v1
	v_and_or_b32 v7, v3, s2, 0.5
	v_or_b32_e32 v5, 0x70000000, v5
	v_add_f32_e32 v7, -0.5, v7
	v_mul_f32_e32 v5, 0x7800000, v5
	v_cmp_gt_u32_e32 vcc, s3, v1
	v_bfe_i32 v3, v3, 0, 16
	v_cndmask_b32_e32 v1, v5, v7, vcc
	s_brev_b32 s2, 1
	v_and_or_b32 v1, v3, s2, v1
.LBB31_1259:
	s_mov_b64 s[6:7], -1
	s_mov_b64 s[4:5], 0
	s_cbranch_execnz .LBB31_1270
.LBB31_1260:
	v_mov_b32_e32 v1, 14
	v_cmp_gt_i16_sdwa s[2:3], s18, v1 src0_sel:BYTE_0 src1_sel:DWORD
	s_and_b64 vcc, exec, s[2:3]
	s_cbranch_vccz .LBB31_1263
; %bb.1261:
	v_mov_b32_e32 v1, 15
	v_cmp_eq_u16_sdwa s[0:1], s18, v1 src0_sel:BYTE_0 src1_sel:DWORD
	s_and_b64 vcc, exec, s[0:1]
	s_cbranch_vccz .LBB31_1266
; %bb.1262:
	global_load_ushort v1, v[8:9], off
	s_mov_b64 s[0:1], 0
	s_mov_b64 s[6:7], -1
	s_waitcnt vmcnt(0)
	v_lshlrev_b32_e32 v1, 16, v1
	s_branch .LBB31_1267
.LBB31_1263:
	s_mov_b64 s[2:3], -1
                                        ; implicit-def: $vgpr1
	s_branch .LBB31_1268
.LBB31_1264:
	s_or_saveexec_b64 s[4:5], s[4:5]
	v_mov_b32_e32 v1, s12
	s_xor_b64 exec, exec, s[4:5]
	s_cbranch_execz .LBB31_1246
.LBB31_1265:
	v_cmp_ne_u16_e32 vcc, 0, v3
	s_andn2_b64 s[2:3], s[2:3], exec
	s_and_b64 s[6:7], vcc, exec
	v_mov_b32_e32 v1, 0
	s_or_b64 s[2:3], s[2:3], s[6:7]
	s_or_b64 exec, exec, s[4:5]
	s_and_saveexec_b64 s[4:5], s[2:3]
	s_cbranch_execnz .LBB31_1247
	s_branch .LBB31_1248
.LBB31_1266:
	s_mov_b64 s[0:1], -1
                                        ; implicit-def: $vgpr1
.LBB31_1267:
	s_mov_b64 s[2:3], 0
.LBB31_1268:
	s_and_b64 vcc, exec, s[2:3]
	s_cbranch_vccz .LBB31_1270
; %bb.1269:
	v_mov_b32_e32 v1, 11
	v_cmp_ne_u16_sdwa s[0:1], s18, v1 src0_sel:BYTE_0 src1_sel:DWORD
	s_mov_b64 s[4:5], -1
                                        ; implicit-def: $vgpr1
.LBB31_1270:
	s_and_b64 vcc, exec, s[0:1]
	s_mov_b64 s[2:3], s[28:29]
	s_cbranch_vccnz .LBB31_1343
; %bb.1271:
	s_andn2_b64 vcc, exec, s[4:5]
	s_cbranch_vccnz .LBB31_1273
.LBB31_1272:
	global_load_ubyte v1, v[8:9], off
	s_mov_b64 s[6:7], -1
	s_waitcnt vmcnt(0)
	v_cmp_ne_u16_e32 vcc, 0, v1
	v_cndmask_b32_e64 v1, 0, 1.0, vcc
.LBB31_1273:
	s_branch .LBB31_1203
.LBB31_1274:
	v_mov_b32_e32 v1, 5
	v_cmp_lt_i16_sdwa s[0:1], s18, v1 src0_sel:BYTE_0 src1_sel:DWORD
	s_and_b64 vcc, exec, s[0:1]
	s_cbranch_vccnz .LBB31_1279
; %bb.1275:
	v_mov_b32_e32 v1, 8
	v_cmp_lt_i16_sdwa s[0:1], s18, v1 src0_sel:BYTE_0 src1_sel:DWORD
	s_and_b64 vcc, exec, s[0:1]
	s_cbranch_vccnz .LBB31_1280
; %bb.1276:
	;; [unrolled: 5-line block ×3, first 2 shown]
	v_cmp_gt_i16_sdwa s[0:1], s18, v1 src0_sel:BYTE_0 src1_sel:DWORD
	s_and_b64 vcc, exec, s[0:1]
	s_cbranch_vccz .LBB31_1282
; %bb.1278:
	global_load_dwordx2 v[16:17], v[8:9], off
	s_mov_b64 s[0:1], 0
	s_waitcnt vmcnt(0)
	v_cvt_f32_f64_e32 v1, v[16:17]
	s_branch .LBB31_1283
.LBB31_1279:
                                        ; implicit-def: $vgpr1
	s_branch .LBB31_1300
.LBB31_1280:
                                        ; implicit-def: $vgpr1
	s_branch .LBB31_1289
.LBB31_1281:
	s_mov_b64 s[0:1], -1
                                        ; implicit-def: $vgpr1
	s_branch .LBB31_1286
.LBB31_1282:
	s_mov_b64 s[0:1], -1
                                        ; implicit-def: $vgpr1
.LBB31_1283:
	s_andn2_b64 vcc, exec, s[0:1]
	s_cbranch_vccnz .LBB31_1285
; %bb.1284:
	global_load_dword v1, v[8:9], off
.LBB31_1285:
	s_mov_b64 s[0:1], 0
.LBB31_1286:
	s_andn2_b64 vcc, exec, s[0:1]
	s_cbranch_vccnz .LBB31_1288
; %bb.1287:
	global_load_dword v1, v[8:9], off
	s_waitcnt vmcnt(0)
	v_cvt_f32_f16_e32 v1, v1
.LBB31_1288:
	s_cbranch_execnz .LBB31_1299
.LBB31_1289:
	s_waitcnt vmcnt(0)
	v_mov_b32_e32 v1, 6
	v_cmp_lt_i16_sdwa s[0:1], s18, v1 src0_sel:BYTE_0 src1_sel:DWORD
	s_and_b64 vcc, exec, s[0:1]
	s_cbranch_vccnz .LBB31_1292
; %bb.1290:
	v_cmp_gt_i16_sdwa s[0:1], s18, v1 src0_sel:BYTE_0 src1_sel:DWORD
	s_and_b64 vcc, exec, s[0:1]
	s_cbranch_vccz .LBB31_1293
; %bb.1291:
	global_load_dwordx2 v[16:17], v[8:9], off
	s_mov_b64 s[0:1], 0
	s_waitcnt vmcnt(0)
	v_cvt_f32_f64_e32 v1, v[16:17]
	s_branch .LBB31_1294
.LBB31_1292:
	s_mov_b64 s[0:1], -1
                                        ; implicit-def: $vgpr1
	s_branch .LBB31_1297
.LBB31_1293:
	s_mov_b64 s[0:1], -1
                                        ; implicit-def: $vgpr1
.LBB31_1294:
	s_andn2_b64 vcc, exec, s[0:1]
	s_cbranch_vccnz .LBB31_1296
; %bb.1295:
	global_load_dword v1, v[8:9], off
.LBB31_1296:
	s_mov_b64 s[0:1], 0
.LBB31_1297:
	s_andn2_b64 vcc, exec, s[0:1]
	s_cbranch_vccnz .LBB31_1299
; %bb.1298:
	global_load_ushort v1, v[8:9], off
	s_waitcnt vmcnt(0)
	v_cvt_f32_f16_e32 v1, v1
.LBB31_1299:
	s_cbranch_execnz .LBB31_1318
.LBB31_1300:
	s_waitcnt vmcnt(0)
	v_mov_b32_e32 v1, 2
	v_cmp_lt_i16_sdwa s[0:1], s18, v1 src0_sel:BYTE_0 src1_sel:DWORD
	s_and_b64 vcc, exec, s[0:1]
	s_cbranch_vccnz .LBB31_1304
; %bb.1301:
	v_mov_b32_e32 v1, 3
	v_cmp_lt_i16_sdwa s[0:1], s18, v1 src0_sel:BYTE_0 src1_sel:DWORD
	s_and_b64 vcc, exec, s[0:1]
	s_cbranch_vccnz .LBB31_1305
; %bb.1302:
	v_cmp_gt_i16_sdwa s[0:1], s18, v1 src0_sel:BYTE_0 src1_sel:DWORD
	s_and_b64 vcc, exec, s[0:1]
	s_cbranch_vccz .LBB31_1306
; %bb.1303:
	global_load_dwordx2 v[16:17], v[8:9], off
	s_mov_b64 s[0:1], 0
	s_waitcnt vmcnt(0)
	v_xor_b32_e32 v3, v16, v17
	v_ffbh_i32_e32 v1, v17
	v_ashrrev_i32_e32 v3, 31, v3
	v_add_u32_e32 v1, -1, v1
	v_add_u32_e32 v3, 32, v3
	v_min_u32_e32 v1, v1, v3
	v_lshlrev_b64 v[16:17], v1, v[16:17]
	v_min_u32_e32 v3, 1, v16
	v_or_b32_e32 v3, v17, v3
	v_cvt_f32_i32_e32 v3, v3
	v_sub_u32_e32 v1, 32, v1
	v_ldexp_f32 v1, v3, v1
	s_branch .LBB31_1307
.LBB31_1304:
                                        ; implicit-def: $vgpr1
	s_branch .LBB31_1313
.LBB31_1305:
	s_mov_b64 s[0:1], -1
                                        ; implicit-def: $vgpr1
	s_branch .LBB31_1310
.LBB31_1306:
	s_mov_b64 s[0:1], -1
                                        ; implicit-def: $vgpr1
.LBB31_1307:
	s_andn2_b64 vcc, exec, s[0:1]
	s_cbranch_vccnz .LBB31_1309
; %bb.1308:
	global_load_dword v1, v[8:9], off
	s_waitcnt vmcnt(0)
	v_cvt_f32_i32_e32 v1, v1
.LBB31_1309:
	s_mov_b64 s[0:1], 0
.LBB31_1310:
	s_andn2_b64 vcc, exec, s[0:1]
	s_cbranch_vccnz .LBB31_1312
; %bb.1311:
	global_load_sshort v1, v[8:9], off
	s_waitcnt vmcnt(0)
	v_cvt_f32_i32_e32 v1, v1
.LBB31_1312:
	s_cbranch_execnz .LBB31_1318
.LBB31_1313:
	v_mov_b32_e32 v1, 0
	v_cmp_gt_i16_sdwa s[0:1], s18, v1 src0_sel:BYTE_0 src1_sel:DWORD
	s_and_b64 vcc, exec, s[0:1]
	s_cbranch_vccz .LBB31_1315
; %bb.1314:
	global_load_sbyte v1, v[8:9], off
	s_mov_b64 s[0:1], 0
	s_waitcnt vmcnt(0)
	v_cvt_f32_i32_e32 v1, v1
	s_branch .LBB31_1316
.LBB31_1315:
	s_mov_b64 s[0:1], -1
                                        ; implicit-def: $vgpr1
.LBB31_1316:
	s_andn2_b64 vcc, exec, s[0:1]
	s_cbranch_vccnz .LBB31_1318
; %bb.1317:
	global_load_ubyte v1, v[8:9], off
	s_waitcnt vmcnt(0)
	v_cvt_f32_ubyte0_e32 v1, v1
.LBB31_1318:
.LBB31_1319:
	s_waitcnt vmcnt(0)
	v_trunc_f32_e32 v1, v1
	s_mov_b32 s0, 0x2f800000
	v_mul_f32_e64 v3, |v1|, s0
	v_floor_f32_e32 v3, v3
	s_mov_b32 s0, 0xcf800000
	v_cvt_u32_f32_e32 v5, v3
	v_fma_f32 v3, v3, s0, |v1|
	v_cvt_u32_f32_e32 v3, v3
	s_load_dword s19, s[34:35], 0x15c
	v_ashrrev_i32_e32 v1, 31, v1
	v_xor_b32_e32 v5, v5, v1
	v_xor_b32_e32 v3, v3, v1
	v_sub_co_u32_e32 v16, vcc, v3, v1
	v_subb_co_u32_e32 v17, vcc, v5, v1, vcc
	v_cmp_lt_i64_e32 vcc, -1, v[16:17]
	v_mov_b32_e32 v8, 0
	s_and_saveexec_b64 s[0:1], vcc
	s_cbranch_execz .LBB31_1331
; %bb.1320:
	v_cmp_lt_i64_e32 vcc, 0, v[16:17]
	v_mov_b32_e32 v8, 1.0
	s_and_saveexec_b64 s[4:5], vcc
	s_cbranch_execz .LBB31_1330
; %bb.1321:
	v_cmp_ne_u64_e32 vcc, 1, v[16:17]
                                        ; implicit-def: $vgpr8
	s_and_saveexec_b64 s[6:7], vcc
	s_xor_b64 s[6:7], exec, s[6:7]
	s_cbranch_execz .LBB31_1327
; %bb.1322:
	s_mov_b64 s[12:13], 0x81
	v_cmp_gt_u64_e32 vcc, s[12:13], v[16:17]
	v_mov_b32_e32 v8, 0x7fc00000
	s_and_saveexec_b64 s[12:13], vcc
	s_cbranch_execz .LBB31_1326
; %bb.1323:
	s_mov_b64 s[16:17], 1
	s_mov_b64 s[14:15], 0
	s_waitcnt lgkmcnt(0)
	v_mov_b32_e32 v8, s19
	v_mov_b32_e32 v1, 1.0
.LBB31_1324:                            ; =>This Inner Loop Header: Depth=1
	s_flbit_i32_b32 s20, s17
	s_min_u32 s22, s20, 32
	s_lshl_b64 s[20:21], s[16:17], s22
	s_min_u32 s20, s20, 1
	s_or_b32 s20, s21, s20
	v_cvt_f32_u32_e32 v5, s20
	s_sub_i32 s22, 32, s22
	s_add_u32 s16, s16, 1
	s_addc_u32 s17, s17, 0
	v_ldexp_f32 v5, v5, s22
	v_mov_b32_e32 v3, v8
	v_cmp_eq_u64_e32 vcc, s[16:17], v[16:17]
	v_mul_f32_e32 v5, v1, v5
	s_or_b64 s[14:15], vcc, s[14:15]
	v_mov_b32_e32 v1, v8
	v_fma_f32 v8, s19, v3, -v5
	s_andn2_b64 exec, exec, s[14:15]
	s_cbranch_execnz .LBB31_1324
; %bb.1325:
	s_or_b64 exec, exec, s[14:15]
.LBB31_1326:
	s_or_b64 exec, exec, s[12:13]
.LBB31_1327:
	s_andn2_saveexec_b64 s[6:7], s[6:7]
	s_cbranch_execz .LBB31_1329
; %bb.1328:
	s_waitcnt lgkmcnt(0)
	v_mov_b32_e32 v8, s19
.LBB31_1329:
	s_or_b64 exec, exec, s[6:7]
.LBB31_1330:
	s_or_b64 exec, exec, s[4:5]
.LBB31_1331:
	s_or_b64 exec, exec, s[0:1]
	v_mov_b32_e32 v1, s11
	v_add_co_u32_e32 v10, vcc, s10, v10
	v_addc_co_u32_e32 v11, vcc, 0, v1, vcc
	v_mov_b32_e32 v1, 11
	v_cmp_lt_i16_sdwa s[0:1], s18, v1 src0_sel:BYTE_0 src1_sel:DWORD
	s_and_b64 vcc, exec, s[0:1]
	s_cbranch_vccnz .LBB31_1338
; %bb.1332:
	v_mov_b32_e32 v1, 25
	v_cmp_gt_i16_sdwa s[0:1], s18, v1 src0_sel:BYTE_0 src1_sel:DWORD
	s_mov_b64 s[4:5], 0
	s_and_b64 vcc, exec, s[0:1]
	s_cbranch_vccz .LBB31_1340
; %bb.1333:
	v_mov_b32_e32 v1, 28
	v_cmp_gt_i16_sdwa s[0:1], s18, v1 src0_sel:BYTE_0 src1_sel:DWORD
	s_and_b64 vcc, exec, s[0:1]
	s_cbranch_vccz .LBB31_1341
; %bb.1334:
	v_mov_b32_e32 v1, 43
	v_cmp_gt_i16_sdwa s[0:1], s18, v1 src0_sel:BYTE_0 src1_sel:DWORD
	;; [unrolled: 5-line block ×3, first 2 shown]
	s_and_b64 vcc, exec, s[0:1]
	s_cbranch_vccz .LBB31_1344
; %bb.1336:
	v_mov_b32_e32 v1, 46
	v_cmp_eq_u16_sdwa s[0:1], s18, v1 src0_sel:BYTE_0 src1_sel:DWORD
	s_mov_b64 s[12:13], 0
	s_and_b64 vcc, exec, s[0:1]
	s_cbranch_vccz .LBB31_1347
; %bb.1337:
	global_load_dword v1, v[10:11], off
	s_mov_b64 s[0:1], 0
	s_mov_b64 s[6:7], -1
	s_waitcnt vmcnt(0)
	v_lshlrev_b32_e32 v1, 16, v1
	s_branch .LBB31_1348
.LBB31_1338:
	s_mov_b64 s[6:7], 0
                                        ; implicit-def: $vgpr1
	s_cbranch_execnz .LBB31_1413
.LBB31_1339:
	s_andn2_b64 vcc, exec, s[6:7]
	s_cbranch_vccnz .LBB31_1762
	s_branch .LBB31_1460
.LBB31_1340:
	s_mov_b64 s[6:7], 0
	s_mov_b64 s[0:1], 0
                                        ; implicit-def: $vgpr1
	s_cbranch_execnz .LBB31_1377
	s_branch .LBB31_1409
.LBB31_1341:
	s_mov_b64 s[12:13], -1
	s_mov_b64 s[6:7], 0
	s_mov_b64 s[0:1], 0
                                        ; implicit-def: $vgpr1
	s_branch .LBB31_1358
.LBB31_1342:
	s_mov_b64 s[12:13], -1
	s_mov_b64 s[6:7], 0
	s_mov_b64 s[0:1], 0
                                        ; implicit-def: $vgpr1
	s_branch .LBB31_1353
.LBB31_1343:
	s_or_b64 s[2:3], s[28:29], exec
	s_trap 2
                                        ; implicit-def: $vgpr1
	s_cbranch_execz .LBB31_1272
	s_branch .LBB31_1273
.LBB31_1344:
	s_mov_b64 s[12:13], -1
	s_mov_b64 s[6:7], 0
	s_mov_b64 s[0:1], 0
                                        ; implicit-def: $vgpr1
	s_branch .LBB31_1348
.LBB31_1345:
	s_or_saveexec_b64 s[16:17], s[16:17]
                                        ; implicit-def: $sgpr18
	s_xor_b64 exec, exec, s[16:17]
	s_cbranch_execz .LBB31_1063
.LBB31_1346:
	s_mov_b32 s18, 0x42800000
	v_add_f32_e64 v0, |v2|, s18
	v_and_b32_e32 v0, 0xff, v0
	v_cmp_ne_u32_e32 vcc, 0, v0
	s_andn2_b64 s[14:15], s[14:15], exec
	s_and_b64 s[20:21], vcc, exec
	s_mov_b32 s18, 0
	s_or_b64 s[14:15], s[14:15], s[20:21]
	s_or_b64 exec, exec, s[16:17]
	v_mov_b32_e32 v3, s18
	s_and_saveexec_b64 s[16:17], s[14:15]
	s_cbranch_execnz .LBB31_1064
	s_branch .LBB31_1065
.LBB31_1347:
	s_mov_b64 s[0:1], -1
                                        ; implicit-def: $vgpr1
	s_mov_b64 s[6:7], 0
.LBB31_1348:
	s_and_b64 vcc, exec, s[12:13]
	s_cbranch_vccz .LBB31_1352
; %bb.1349:
	v_mov_b32_e32 v1, 44
	v_cmp_eq_u16_sdwa s[0:1], s18, v1 src0_sel:BYTE_0 src1_sel:DWORD
	s_and_b64 vcc, exec, s[0:1]
	s_cbranch_vccz .LBB31_1351
; %bb.1350:
	global_load_ubyte v1, v[10:11], off
	s_movk_i32 s6, 0xff
	v_mov_b32_e32 v3, 0x7f800001
	v_mov_b32_e32 v5, 0x400000
	s_mov_b64 s[0:1], 0
	s_waitcnt vmcnt(0)
	v_lshlrev_b32_e32 v7, 23, v1
	v_cmp_ne_u32_e32 vcc, s6, v1
	v_cndmask_b32_e32 v3, v3, v7, vcc
	v_cmp_ne_u32_e32 vcc, 0, v1
	v_cndmask_b32_e32 v1, v5, v3, vcc
	s_mov_b64 s[6:7], -1
	s_branch .LBB31_1352
.LBB31_1351:
	s_mov_b64 s[0:1], -1
                                        ; implicit-def: $vgpr1
.LBB31_1352:
	s_mov_b64 s[12:13], 0
.LBB31_1353:
	s_and_b64 vcc, exec, s[12:13]
	s_cbranch_vccz .LBB31_1357
; %bb.1354:
	v_mov_b32_e32 v1, 29
	v_cmp_eq_u16_sdwa s[0:1], s18, v1 src0_sel:BYTE_0 src1_sel:DWORD
	s_and_b64 vcc, exec, s[0:1]
	s_cbranch_vccz .LBB31_1356
; %bb.1355:
	global_load_dwordx2 v[16:17], v[10:11], off
	s_mov_b64 s[0:1], 0
	s_mov_b64 s[6:7], -1
	s_mov_b64 s[12:13], 0
	s_waitcnt vmcnt(0)
	v_ffbh_u32_e32 v1, v17
	v_min_u32_e32 v1, 32, v1
	v_lshlrev_b64 v[16:17], v1, v[16:17]
	v_min_u32_e32 v3, 1, v16
	v_or_b32_e32 v3, v17, v3
	v_cvt_f32_u32_e32 v3, v3
	v_sub_u32_e32 v1, 32, v1
	v_ldexp_f32 v1, v3, v1
	s_branch .LBB31_1358
.LBB31_1356:
	s_mov_b64 s[0:1], -1
                                        ; implicit-def: $vgpr1
.LBB31_1357:
	s_mov_b64 s[12:13], 0
.LBB31_1358:
	s_and_b64 vcc, exec, s[12:13]
	s_cbranch_vccz .LBB31_1376
; %bb.1359:
	v_mov_b32_e32 v1, 27
	v_cmp_lt_i16_sdwa s[6:7], s18, v1 src0_sel:BYTE_0 src1_sel:DWORD
	s_and_b64 vcc, exec, s[6:7]
	s_cbranch_vccnz .LBB31_1362
; %bb.1360:
	v_cmp_gt_i16_sdwa s[6:7], s18, v1 src0_sel:BYTE_0 src1_sel:DWORD
	s_and_b64 vcc, exec, s[6:7]
	s_cbranch_vccz .LBB31_1363
; %bb.1361:
	global_load_dword v1, v[10:11], off
	s_mov_b64 s[6:7], 0
	s_waitcnt vmcnt(0)
	v_cvt_f32_u32_e32 v1, v1
	s_branch .LBB31_1364
.LBB31_1362:
	s_mov_b64 s[6:7], -1
                                        ; implicit-def: $vgpr1
	s_branch .LBB31_1367
.LBB31_1363:
	s_mov_b64 s[6:7], -1
                                        ; implicit-def: $vgpr1
.LBB31_1364:
	s_andn2_b64 vcc, exec, s[6:7]
	s_cbranch_vccnz .LBB31_1366
; %bb.1365:
	global_load_ushort v1, v[10:11], off
	s_waitcnt vmcnt(0)
	v_cvt_f32_u32_e32 v1, v1
.LBB31_1366:
	s_mov_b64 s[6:7], 0
.LBB31_1367:
	s_andn2_b64 vcc, exec, s[6:7]
	s_cbranch_vccnz .LBB31_1375
; %bb.1368:
	global_load_ubyte v3, v[10:11], off
	s_movk_i32 s6, 0x7f
                                        ; implicit-def: $sgpr16
	s_waitcnt vmcnt(0)
	v_cmp_lt_i16_e32 vcc, s6, v3
	s_mov_b64 s[6:7], 0
	s_and_saveexec_b64 s[12:13], vcc
	s_xor_b64 s[12:13], exec, s[12:13]
	s_cbranch_execz .LBB31_1388
; %bb.1369:
	s_movk_i32 s6, 0x80
	v_cmp_eq_u16_e32 vcc, s6, v3
	s_mov_b64 s[6:7], -1
                                        ; implicit-def: $sgpr16
	s_and_saveexec_b64 s[14:15], vcc
; %bb.1370:
	s_mov_b32 s16, 0x7f800001
	s_xor_b64 s[6:7], exec, -1
; %bb.1371:
	s_or_b64 exec, exec, s[14:15]
	s_and_b64 s[6:7], s[6:7], exec
	s_or_saveexec_b64 s[12:13], s[12:13]
	v_mov_b32_e32 v1, s16
	s_xor_b64 exec, exec, s[12:13]
	s_cbranch_execnz .LBB31_1389
.LBB31_1372:
	s_or_b64 exec, exec, s[12:13]
	s_and_saveexec_b64 s[12:13], s[6:7]
	s_cbranch_execz .LBB31_1374
.LBB31_1373:
	v_lshlrev_b32_e32 v1, 24, v3
	v_and_b32_e32 v3, 0xffff, v3
	v_and_b32_e32 v5, 7, v3
	v_ffbh_u32_e32 v9, v5
	v_min_u32_e32 v9, 32, v9
	v_subrev_u32_e32 v13, 28, v9
	v_bfe_u32 v7, v3, 3, 4
	v_lshlrev_b32_e32 v3, v13, v3
	v_sub_u32_e32 v9, 29, v9
	v_and_b32_e32 v3, 7, v3
	v_cmp_eq_u32_e32 vcc, 0, v7
	v_cndmask_b32_e32 v7, v7, v9, vcc
	v_cndmask_b32_e32 v3, v5, v3, vcc
	v_mov_b32_e32 v5, 0x3b800000
	v_lshlrev_b32_e32 v3, 20, v3
	v_and_b32_e32 v1, 0x80000000, v1
	v_lshl_add_u32 v5, v7, 23, v5
	v_or3_b32 v1, v1, v5, v3
.LBB31_1374:
	s_or_b64 exec, exec, s[12:13]
.LBB31_1375:
	s_mov_b64 s[6:7], -1
.LBB31_1376:
	s_branch .LBB31_1409
.LBB31_1377:
	v_mov_b32_e32 v1, 22
	v_cmp_gt_i16_sdwa s[4:5], s18, v1 src0_sel:BYTE_0 src1_sel:DWORD
	s_and_b64 vcc, exec, s[4:5]
	s_cbranch_vccz .LBB31_1387
; %bb.1378:
	v_mov_b32_e32 v1, 24
	v_cmp_lt_i16_sdwa s[4:5], s18, v1 src0_sel:BYTE_0 src1_sel:DWORD
	s_and_b64 vcc, exec, s[4:5]
	s_cbranch_vccnz .LBB31_1390
; %bb.1379:
	v_cmp_gt_i16_sdwa s[4:5], s18, v1 src0_sel:BYTE_0 src1_sel:DWORD
	s_and_b64 vcc, exec, s[4:5]
	s_cbranch_vccz .LBB31_1391
; %bb.1380:
	global_load_ubyte v3, v[10:11], off
	s_movk_i32 s4, 0x7f
                                        ; implicit-def: $sgpr14
	s_waitcnt vmcnt(0)
	v_cmp_lt_i16_e32 vcc, s4, v3
	s_mov_b64 s[4:5], 0
	s_and_saveexec_b64 s[6:7], vcc
	s_xor_b64 s[6:7], exec, s[6:7]
	s_cbranch_execz .LBB31_1403
; %bb.1381:
	s_movk_i32 s4, 0x80
	v_cmp_eq_u16_e32 vcc, s4, v3
	s_mov_b64 s[4:5], -1
                                        ; implicit-def: $sgpr14
	s_and_saveexec_b64 s[12:13], vcc
; %bb.1382:
	s_mov_b32 s14, 0x7f800001
	s_xor_b64 s[4:5], exec, -1
; %bb.1383:
	s_or_b64 exec, exec, s[12:13]
	s_and_b64 s[4:5], s[4:5], exec
	s_or_saveexec_b64 s[6:7], s[6:7]
	v_mov_b32_e32 v1, s14
	s_xor_b64 exec, exec, s[6:7]
	s_cbranch_execnz .LBB31_1404
.LBB31_1384:
	s_or_b64 exec, exec, s[6:7]
	s_and_saveexec_b64 s[6:7], s[4:5]
	s_cbranch_execz .LBB31_1386
.LBB31_1385:
	v_lshlrev_b32_e32 v1, 24, v3
	v_and_b32_e32 v3, 0xffff, v3
	v_and_b32_e32 v5, 3, v3
	v_ffbh_u32_e32 v9, v5
	v_min_u32_e32 v9, 32, v9
	v_subrev_u32_e32 v13, 29, v9
	v_bfe_u32 v7, v3, 2, 5
	v_lshlrev_b32_e32 v3, v13, v3
	v_sub_u32_e32 v9, 30, v9
	v_and_b32_e32 v3, 3, v3
	v_cmp_eq_u32_e32 vcc, 0, v7
	v_cndmask_b32_e32 v7, v7, v9, vcc
	v_cndmask_b32_e32 v3, v5, v3, vcc
	v_mov_b32_e32 v5, 0x37800000
	v_lshlrev_b32_e32 v3, 21, v3
	v_and_b32_e32 v1, 0x80000000, v1
	v_lshl_add_u32 v5, v7, 23, v5
	v_or3_b32 v1, v1, v5, v3
.LBB31_1386:
	s_or_b64 exec, exec, s[6:7]
	s_mov_b64 s[4:5], 0
	s_branch .LBB31_1392
.LBB31_1387:
	s_mov_b64 s[4:5], -1
                                        ; implicit-def: $vgpr1
	s_branch .LBB31_1398
.LBB31_1388:
	s_or_saveexec_b64 s[12:13], s[12:13]
	v_mov_b32_e32 v1, s16
	s_xor_b64 exec, exec, s[12:13]
	s_cbranch_execz .LBB31_1372
.LBB31_1389:
	v_cmp_ne_u16_e32 vcc, 0, v3
	s_andn2_b64 s[6:7], s[6:7], exec
	s_and_b64 s[14:15], vcc, exec
	v_mov_b32_e32 v1, 0
	s_or_b64 s[6:7], s[6:7], s[14:15]
	s_or_b64 exec, exec, s[12:13]
	s_and_saveexec_b64 s[12:13], s[6:7]
	s_cbranch_execnz .LBB31_1373
	s_branch .LBB31_1374
.LBB31_1390:
	s_mov_b64 s[4:5], -1
                                        ; implicit-def: $vgpr1
	s_branch .LBB31_1395
.LBB31_1391:
	s_mov_b64 s[4:5], -1
                                        ; implicit-def: $vgpr1
.LBB31_1392:
	s_and_b64 vcc, exec, s[4:5]
	s_cbranch_vccz .LBB31_1394
; %bb.1393:
	global_load_ubyte v1, v[10:11], off
	s_mov_b32 s4, 0x7f800000
	s_waitcnt vmcnt(0)
	v_lshlrev_b32_e32 v1, 24, v1
	v_and_b32_e32 v3, 0x7f000000, v1
	v_ffbh_u32_e32 v5, v3
	v_min_u32_e32 v5, 32, v5
	v_sub_u32_e64 v5, v5, 4 clamp
	v_lshlrev_b32_e32 v9, v5, v3
	v_lshlrev_b32_e32 v5, 23, v5
	v_lshrrev_b32_e32 v9, 4, v9
	v_add_u32_e32 v7, 0x1000000, v3
	v_sub_u32_e32 v5, v9, v5
	v_ashrrev_i32_e32 v7, 8, v7
	v_add_u32_e32 v5, 0x3c000000, v5
	v_and_or_b32 v5, v7, s4, v5
	v_cmp_ne_u32_e32 vcc, 0, v3
	v_cndmask_b32_e32 v3, 0, v5, vcc
	s_brev_b32 s4, 1
	v_and_or_b32 v1, v1, s4, v3
.LBB31_1394:
	s_mov_b64 s[4:5], 0
.LBB31_1395:
	s_andn2_b64 vcc, exec, s[4:5]
	s_cbranch_vccnz .LBB31_1397
; %bb.1396:
	global_load_ubyte v1, v[10:11], off
	s_movk_i32 s4, 0x7f00
	s_brev_b32 s5, 16
	s_waitcnt vmcnt(0)
	v_lshlrev_b16_e32 v3, 8, v1
	v_lshlrev_b32_e32 v1, 25, v1
	v_lshrrev_b32_e32 v5, 4, v1
	v_and_or_b32 v7, v3, s4, 0.5
	v_or_b32_e32 v5, 0x70000000, v5
	v_add_f32_e32 v7, -0.5, v7
	v_mul_f32_e32 v5, 0x7800000, v5
	v_cmp_gt_u32_e32 vcc, s5, v1
	v_bfe_i32 v3, v3, 0, 16
	v_cndmask_b32_e32 v1, v5, v7, vcc
	s_brev_b32 s4, 1
	v_and_or_b32 v1, v3, s4, v1
.LBB31_1397:
	s_mov_b64 s[4:5], 0
	s_mov_b64 s[6:7], -1
.LBB31_1398:
	s_andn2_b64 vcc, exec, s[4:5]
	s_mov_b64 s[4:5], 0
	s_cbranch_vccnz .LBB31_1409
; %bb.1399:
	v_mov_b32_e32 v1, 14
	v_cmp_gt_i16_sdwa s[4:5], s18, v1 src0_sel:BYTE_0 src1_sel:DWORD
	s_and_b64 vcc, exec, s[4:5]
	s_cbranch_vccz .LBB31_1402
; %bb.1400:
	v_mov_b32_e32 v1, 15
	v_cmp_eq_u16_sdwa s[0:1], s18, v1 src0_sel:BYTE_0 src1_sel:DWORD
	s_and_b64 vcc, exec, s[0:1]
	s_cbranch_vccz .LBB31_1405
; %bb.1401:
	global_load_ushort v1, v[10:11], off
	s_mov_b64 s[0:1], 0
	s_mov_b64 s[6:7], -1
	s_waitcnt vmcnt(0)
	v_lshlrev_b32_e32 v1, 16, v1
	s_branch .LBB31_1406
.LBB31_1402:
	s_mov_b64 s[12:13], -1
                                        ; implicit-def: $vgpr1
	s_branch .LBB31_1407
.LBB31_1403:
	s_or_saveexec_b64 s[6:7], s[6:7]
	v_mov_b32_e32 v1, s14
	s_xor_b64 exec, exec, s[6:7]
	s_cbranch_execz .LBB31_1384
.LBB31_1404:
	v_cmp_ne_u16_e32 vcc, 0, v3
	s_andn2_b64 s[4:5], s[4:5], exec
	s_and_b64 s[12:13], vcc, exec
	v_mov_b32_e32 v1, 0
	s_or_b64 s[4:5], s[4:5], s[12:13]
	s_or_b64 exec, exec, s[6:7]
	s_and_saveexec_b64 s[6:7], s[4:5]
	s_cbranch_execnz .LBB31_1385
	s_branch .LBB31_1386
.LBB31_1405:
	s_mov_b64 s[0:1], -1
                                        ; implicit-def: $vgpr1
.LBB31_1406:
	s_mov_b64 s[12:13], 0
.LBB31_1407:
	s_mov_b64 s[4:5], 0
	s_and_b64 vcc, exec, s[12:13]
	s_cbranch_vccz .LBB31_1409
; %bb.1408:
	v_mov_b32_e32 v1, 11
	v_cmp_ne_u16_sdwa s[0:1], s18, v1 src0_sel:BYTE_0 src1_sel:DWORD
	s_mov_b64 s[4:5], -1
                                        ; implicit-def: $vgpr1
.LBB31_1409:
	s_and_b64 vcc, exec, s[0:1]
	s_cbranch_vccnz .LBB31_1484
; %bb.1410:
	s_andn2_b64 vcc, exec, s[4:5]
	s_cbranch_vccnz .LBB31_1412
.LBB31_1411:
	global_load_ubyte v1, v[10:11], off
	s_mov_b64 s[6:7], -1
	s_waitcnt vmcnt(0)
	v_cmp_ne_u16_e32 vcc, 0, v1
	v_cndmask_b32_e64 v1, 0, 1.0, vcc
.LBB31_1412:
	s_branch .LBB31_1339
.LBB31_1413:
	v_mov_b32_e32 v1, 5
	v_cmp_lt_i16_sdwa s[0:1], s18, v1 src0_sel:BYTE_0 src1_sel:DWORD
	s_and_b64 vcc, exec, s[0:1]
	s_cbranch_vccnz .LBB31_1418
; %bb.1414:
	v_mov_b32_e32 v1, 8
	v_cmp_lt_i16_sdwa s[0:1], s18, v1 src0_sel:BYTE_0 src1_sel:DWORD
	s_and_b64 vcc, exec, s[0:1]
	s_cbranch_vccnz .LBB31_1419
; %bb.1415:
	;; [unrolled: 5-line block ×3, first 2 shown]
	v_cmp_gt_i16_sdwa s[0:1], s18, v1 src0_sel:BYTE_0 src1_sel:DWORD
	s_and_b64 vcc, exec, s[0:1]
	s_cbranch_vccz .LBB31_1421
; %bb.1417:
	global_load_dwordx2 v[16:17], v[10:11], off
	s_mov_b64 s[0:1], 0
	s_waitcnt vmcnt(0)
	v_cvt_f32_f64_e32 v1, v[16:17]
	s_branch .LBB31_1422
.LBB31_1418:
                                        ; implicit-def: $vgpr1
	s_branch .LBB31_1440
.LBB31_1419:
	s_mov_b64 s[0:1], -1
                                        ; implicit-def: $vgpr1
	s_branch .LBB31_1428
.LBB31_1420:
	s_mov_b64 s[0:1], -1
                                        ; implicit-def: $vgpr1
	s_branch .LBB31_1425
.LBB31_1421:
	s_mov_b64 s[0:1], -1
                                        ; implicit-def: $vgpr1
.LBB31_1422:
	s_andn2_b64 vcc, exec, s[0:1]
	s_cbranch_vccnz .LBB31_1424
; %bb.1423:
	global_load_dword v1, v[10:11], off
.LBB31_1424:
	s_mov_b64 s[0:1], 0
.LBB31_1425:
	s_andn2_b64 vcc, exec, s[0:1]
	s_cbranch_vccnz .LBB31_1427
; %bb.1426:
	global_load_dword v1, v[10:11], off
	s_waitcnt vmcnt(0)
	v_cvt_f32_f16_e32 v1, v1
.LBB31_1427:
	s_mov_b64 s[0:1], 0
.LBB31_1428:
	s_andn2_b64 vcc, exec, s[0:1]
	s_cbranch_vccnz .LBB31_1439
; %bb.1429:
	s_waitcnt vmcnt(0)
	v_mov_b32_e32 v1, 6
	v_cmp_lt_i16_sdwa s[0:1], s18, v1 src0_sel:BYTE_0 src1_sel:DWORD
	s_and_b64 vcc, exec, s[0:1]
	s_cbranch_vccnz .LBB31_1432
; %bb.1430:
	v_cmp_gt_i16_sdwa s[0:1], s18, v1 src0_sel:BYTE_0 src1_sel:DWORD
	s_and_b64 vcc, exec, s[0:1]
	s_cbranch_vccz .LBB31_1433
; %bb.1431:
	global_load_dwordx2 v[16:17], v[10:11], off
	s_mov_b64 s[0:1], 0
	s_waitcnt vmcnt(0)
	v_cvt_f32_f64_e32 v1, v[16:17]
	s_branch .LBB31_1434
.LBB31_1432:
	s_mov_b64 s[0:1], -1
                                        ; implicit-def: $vgpr1
	s_branch .LBB31_1437
.LBB31_1433:
	s_mov_b64 s[0:1], -1
                                        ; implicit-def: $vgpr1
.LBB31_1434:
	s_andn2_b64 vcc, exec, s[0:1]
	s_cbranch_vccnz .LBB31_1436
; %bb.1435:
	global_load_dword v1, v[10:11], off
.LBB31_1436:
	s_mov_b64 s[0:1], 0
.LBB31_1437:
	s_andn2_b64 vcc, exec, s[0:1]
	s_cbranch_vccnz .LBB31_1439
; %bb.1438:
	global_load_ushort v1, v[10:11], off
	s_waitcnt vmcnt(0)
	v_cvt_f32_f16_e32 v1, v1
.LBB31_1439:
	s_cbranch_execnz .LBB31_1459
.LBB31_1440:
	s_waitcnt vmcnt(0)
	v_mov_b32_e32 v1, 2
	v_cmp_lt_i16_sdwa s[0:1], s18, v1 src0_sel:BYTE_0 src1_sel:DWORD
	s_and_b64 vcc, exec, s[0:1]
	s_cbranch_vccnz .LBB31_1444
; %bb.1441:
	v_mov_b32_e32 v1, 3
	v_cmp_lt_i16_sdwa s[0:1], s18, v1 src0_sel:BYTE_0 src1_sel:DWORD
	s_and_b64 vcc, exec, s[0:1]
	s_cbranch_vccnz .LBB31_1445
; %bb.1442:
	v_cmp_gt_i16_sdwa s[0:1], s18, v1 src0_sel:BYTE_0 src1_sel:DWORD
	s_and_b64 vcc, exec, s[0:1]
	s_cbranch_vccz .LBB31_1446
; %bb.1443:
	global_load_dwordx2 v[16:17], v[10:11], off
	s_mov_b64 s[0:1], 0
	s_waitcnt vmcnt(0)
	v_xor_b32_e32 v3, v16, v17
	v_ffbh_i32_e32 v1, v17
	v_ashrrev_i32_e32 v3, 31, v3
	v_add_u32_e32 v1, -1, v1
	v_add_u32_e32 v3, 32, v3
	v_min_u32_e32 v1, v1, v3
	v_lshlrev_b64 v[16:17], v1, v[16:17]
	v_min_u32_e32 v3, 1, v16
	v_or_b32_e32 v3, v17, v3
	v_cvt_f32_i32_e32 v3, v3
	v_sub_u32_e32 v1, 32, v1
	v_ldexp_f32 v1, v3, v1
	s_branch .LBB31_1447
.LBB31_1444:
	s_mov_b64 s[0:1], -1
                                        ; implicit-def: $vgpr1
	s_branch .LBB31_1453
.LBB31_1445:
	s_mov_b64 s[0:1], -1
                                        ; implicit-def: $vgpr1
	s_branch .LBB31_1450
.LBB31_1446:
	s_mov_b64 s[0:1], -1
                                        ; implicit-def: $vgpr1
.LBB31_1447:
	s_andn2_b64 vcc, exec, s[0:1]
	s_cbranch_vccnz .LBB31_1449
; %bb.1448:
	global_load_dword v1, v[10:11], off
	s_waitcnt vmcnt(0)
	v_cvt_f32_i32_e32 v1, v1
.LBB31_1449:
	s_mov_b64 s[0:1], 0
.LBB31_1450:
	s_andn2_b64 vcc, exec, s[0:1]
	s_cbranch_vccnz .LBB31_1452
; %bb.1451:
	global_load_sshort v1, v[10:11], off
	s_waitcnt vmcnt(0)
	v_cvt_f32_i32_e32 v1, v1
.LBB31_1452:
	s_mov_b64 s[0:1], 0
.LBB31_1453:
	s_andn2_b64 vcc, exec, s[0:1]
	s_cbranch_vccnz .LBB31_1459
; %bb.1454:
	v_mov_b32_e32 v1, 0
	v_cmp_gt_i16_sdwa s[0:1], s18, v1 src0_sel:BYTE_0 src1_sel:DWORD
	s_and_b64 vcc, exec, s[0:1]
	s_cbranch_vccz .LBB31_1456
; %bb.1455:
	global_load_sbyte v1, v[10:11], off
	s_mov_b64 s[0:1], 0
	s_waitcnt vmcnt(0)
	v_cvt_f32_i32_e32 v1, v1
	s_branch .LBB31_1457
.LBB31_1456:
	s_mov_b64 s[0:1], -1
                                        ; implicit-def: $vgpr1
.LBB31_1457:
	s_andn2_b64 vcc, exec, s[0:1]
	s_cbranch_vccnz .LBB31_1459
; %bb.1458:
	global_load_ubyte v1, v[10:11], off
	s_waitcnt vmcnt(0)
	v_cvt_f32_ubyte0_e32 v1, v1
.LBB31_1459:
.LBB31_1460:
	s_waitcnt vmcnt(0)
	v_trunc_f32_e32 v1, v1
	s_mov_b32 s0, 0x2f800000
	v_mul_f32_e64 v3, |v1|, s0
	v_floor_f32_e32 v3, v3
	s_mov_b32 s0, 0xcf800000
	v_cvt_u32_f32_e32 v5, v3
	v_fma_f32 v3, v3, s0, |v1|
	v_cvt_u32_f32_e32 v3, v3
	v_ashrrev_i32_e32 v1, 31, v1
	v_xor_b32_e32 v5, v5, v1
	v_mov_b32_e32 v10, 0
	v_xor_b32_e32 v3, v3, v1
	v_sub_co_u32_e32 v16, vcc, v3, v1
	v_subb_co_u32_e32 v17, vcc, v5, v1, vcc
	v_cmp_lt_i64_e32 vcc, -1, v[16:17]
	s_and_saveexec_b64 s[0:1], vcc
	s_cbranch_execz .LBB31_1472
; %bb.1461:
	v_cmp_lt_i64_e32 vcc, 0, v[16:17]
	v_mov_b32_e32 v10, 1.0
	s_and_saveexec_b64 s[4:5], vcc
	s_cbranch_execz .LBB31_1471
; %bb.1462:
	v_cmp_ne_u64_e32 vcc, 1, v[16:17]
                                        ; implicit-def: $vgpr10
	s_and_saveexec_b64 s[6:7], vcc
	s_xor_b64 s[6:7], exec, s[6:7]
	s_cbranch_execz .LBB31_1468
; %bb.1463:
	s_mov_b64 s[12:13], 0x81
	v_cmp_gt_u64_e32 vcc, s[12:13], v[16:17]
	v_mov_b32_e32 v10, 0x7fc00000
	s_and_saveexec_b64 s[12:13], vcc
	s_cbranch_execz .LBB31_1467
; %bb.1464:
	s_mov_b64 s[16:17], 1
	s_mov_b64 s[14:15], 0
	s_waitcnt lgkmcnt(0)
	v_mov_b32_e32 v10, s19
	v_mov_b32_e32 v1, 1.0
.LBB31_1465:                            ; =>This Inner Loop Header: Depth=1
	s_flbit_i32_b32 s20, s17
	s_min_u32 s22, s20, 32
	s_lshl_b64 s[20:21], s[16:17], s22
	s_min_u32 s20, s20, 1
	s_or_b32 s20, s21, s20
	v_cvt_f32_u32_e32 v5, s20
	s_sub_i32 s22, 32, s22
	s_add_u32 s16, s16, 1
	s_addc_u32 s17, s17, 0
	v_ldexp_f32 v5, v5, s22
	v_mov_b32_e32 v3, v10
	v_cmp_eq_u64_e32 vcc, s[16:17], v[16:17]
	v_mul_f32_e32 v5, v1, v5
	s_or_b64 s[14:15], vcc, s[14:15]
	v_mov_b32_e32 v1, v10
	v_fma_f32 v10, s19, v3, -v5
	s_andn2_b64 exec, exec, s[14:15]
	s_cbranch_execnz .LBB31_1465
; %bb.1466:
	s_or_b64 exec, exec, s[14:15]
.LBB31_1467:
	s_or_b64 exec, exec, s[12:13]
.LBB31_1468:
	s_andn2_saveexec_b64 s[6:7], s[6:7]
	s_cbranch_execz .LBB31_1470
; %bb.1469:
	s_waitcnt lgkmcnt(0)
	v_mov_b32_e32 v10, s19
.LBB31_1470:
	s_or_b64 exec, exec, s[6:7]
.LBB31_1471:
	s_or_b64 exec, exec, s[4:5]
.LBB31_1472:
	s_or_b64 exec, exec, s[0:1]
	v_mov_b32_e32 v1, s11
	v_add_co_u32_e32 v12, vcc, s10, v12
	v_addc_co_u32_e32 v13, vcc, 0, v1, vcc
	v_mov_b32_e32 v1, 11
	v_cmp_lt_i16_sdwa s[0:1], s18, v1 src0_sel:BYTE_0 src1_sel:DWORD
	s_and_b64 vcc, exec, s[0:1]
	s_cbranch_vccnz .LBB31_1479
; %bb.1473:
	v_mov_b32_e32 v1, 25
	v_cmp_gt_i16_sdwa s[0:1], s18, v1 src0_sel:BYTE_0 src1_sel:DWORD
	s_mov_b64 s[4:5], 0
	s_and_b64 vcc, exec, s[0:1]
	s_cbranch_vccz .LBB31_1481
; %bb.1474:
	v_mov_b32_e32 v1, 28
	v_cmp_gt_i16_sdwa s[0:1], s18, v1 src0_sel:BYTE_0 src1_sel:DWORD
	s_and_b64 vcc, exec, s[0:1]
	s_cbranch_vccz .LBB31_1482
; %bb.1475:
	v_mov_b32_e32 v1, 43
	v_cmp_gt_i16_sdwa s[0:1], s18, v1 src0_sel:BYTE_0 src1_sel:DWORD
	;; [unrolled: 5-line block ×3, first 2 shown]
	s_and_b64 vcc, exec, s[0:1]
	s_cbranch_vccz .LBB31_1485
; %bb.1477:
	v_mov_b32_e32 v1, 46
	v_cmp_eq_u16_sdwa s[0:1], s18, v1 src0_sel:BYTE_0 src1_sel:DWORD
	s_mov_b64 s[12:13], 0
	s_and_b64 vcc, exec, s[0:1]
	s_cbranch_vccz .LBB31_1486
; %bb.1478:
	global_load_dword v1, v[12:13], off
	s_mov_b64 s[0:1], 0
	s_mov_b64 s[6:7], -1
	s_waitcnt vmcnt(0)
	v_lshlrev_b32_e32 v1, 16, v1
	s_branch .LBB31_1487
.LBB31_1479:
	s_mov_b64 s[6:7], 0
                                        ; implicit-def: $vgpr1
	s_cbranch_execnz .LBB31_1553
.LBB31_1480:
	s_andn2_b64 vcc, exec, s[6:7]
	s_cbranch_vccnz .LBB31_1762
	s_branch .LBB31_1601
.LBB31_1481:
	s_mov_b64 s[12:13], -1
	s_mov_b64 s[6:7], 0
	s_mov_b64 s[0:1], 0
                                        ; implicit-def: $vgpr1
	s_branch .LBB31_1516
.LBB31_1482:
	s_mov_b64 s[12:13], -1
	s_mov_b64 s[6:7], 0
	s_mov_b64 s[0:1], 0
                                        ; implicit-def: $vgpr1
	s_branch .LBB31_1497
.LBB31_1483:
	s_mov_b64 s[12:13], -1
	s_mov_b64 s[6:7], 0
	s_mov_b64 s[0:1], 0
                                        ; implicit-def: $vgpr1
	s_branch .LBB31_1492
.LBB31_1484:
	s_trap 2
	s_or_b64 s[2:3], s[2:3], exec
                                        ; implicit-def: $vgpr1
	s_cbranch_execz .LBB31_1411
	s_branch .LBB31_1412
.LBB31_1485:
	s_mov_b64 s[12:13], -1
	s_mov_b64 s[6:7], 0
	s_mov_b64 s[0:1], 0
                                        ; implicit-def: $vgpr1
	s_branch .LBB31_1487
.LBB31_1486:
	s_mov_b64 s[0:1], -1
                                        ; implicit-def: $vgpr1
	s_mov_b64 s[6:7], 0
.LBB31_1487:
	s_and_b64 vcc, exec, s[12:13]
	s_cbranch_vccz .LBB31_1491
; %bb.1488:
	v_mov_b32_e32 v1, 44
	v_cmp_eq_u16_sdwa s[0:1], s18, v1 src0_sel:BYTE_0 src1_sel:DWORD
	s_and_b64 vcc, exec, s[0:1]
	s_cbranch_vccz .LBB31_1490
; %bb.1489:
	global_load_ubyte v1, v[12:13], off
	s_movk_i32 s6, 0xff
	v_mov_b32_e32 v3, 0x7f800001
	v_mov_b32_e32 v5, 0x400000
	s_mov_b64 s[0:1], 0
	s_waitcnt vmcnt(0)
	v_lshlrev_b32_e32 v7, 23, v1
	v_cmp_ne_u32_e32 vcc, s6, v1
	v_cndmask_b32_e32 v3, v3, v7, vcc
	v_cmp_ne_u32_e32 vcc, 0, v1
	v_cndmask_b32_e32 v1, v5, v3, vcc
	s_mov_b64 s[6:7], -1
	s_branch .LBB31_1491
.LBB31_1490:
	s_mov_b64 s[0:1], -1
                                        ; implicit-def: $vgpr1
.LBB31_1491:
	s_mov_b64 s[12:13], 0
.LBB31_1492:
	s_and_b64 vcc, exec, s[12:13]
	s_cbranch_vccz .LBB31_1496
; %bb.1493:
	v_mov_b32_e32 v1, 29
	v_cmp_eq_u16_sdwa s[0:1], s18, v1 src0_sel:BYTE_0 src1_sel:DWORD
	s_and_b64 vcc, exec, s[0:1]
	s_cbranch_vccz .LBB31_1495
; %bb.1494:
	global_load_dwordx2 v[16:17], v[12:13], off
	s_mov_b64 s[0:1], 0
	s_mov_b64 s[6:7], -1
	s_mov_b64 s[12:13], 0
	s_waitcnt vmcnt(0)
	v_ffbh_u32_e32 v1, v17
	v_min_u32_e32 v1, 32, v1
	v_lshlrev_b64 v[16:17], v1, v[16:17]
	v_min_u32_e32 v3, 1, v16
	v_or_b32_e32 v3, v17, v3
	v_cvt_f32_u32_e32 v3, v3
	v_sub_u32_e32 v1, 32, v1
	v_ldexp_f32 v1, v3, v1
	s_branch .LBB31_1497
.LBB31_1495:
	s_mov_b64 s[0:1], -1
                                        ; implicit-def: $vgpr1
.LBB31_1496:
	s_mov_b64 s[12:13], 0
.LBB31_1497:
	s_and_b64 vcc, exec, s[12:13]
	s_cbranch_vccz .LBB31_1515
; %bb.1498:
	v_mov_b32_e32 v1, 27
	v_cmp_lt_i16_sdwa s[6:7], s18, v1 src0_sel:BYTE_0 src1_sel:DWORD
	s_and_b64 vcc, exec, s[6:7]
	s_cbranch_vccnz .LBB31_1501
; %bb.1499:
	v_cmp_gt_i16_sdwa s[6:7], s18, v1 src0_sel:BYTE_0 src1_sel:DWORD
	s_and_b64 vcc, exec, s[6:7]
	s_cbranch_vccz .LBB31_1502
; %bb.1500:
	global_load_dword v1, v[12:13], off
	s_mov_b64 s[6:7], 0
	s_waitcnt vmcnt(0)
	v_cvt_f32_u32_e32 v1, v1
	s_branch .LBB31_1503
.LBB31_1501:
	s_mov_b64 s[6:7], -1
                                        ; implicit-def: $vgpr1
	s_branch .LBB31_1506
.LBB31_1502:
	s_mov_b64 s[6:7], -1
                                        ; implicit-def: $vgpr1
.LBB31_1503:
	s_andn2_b64 vcc, exec, s[6:7]
	s_cbranch_vccnz .LBB31_1505
; %bb.1504:
	global_load_ushort v1, v[12:13], off
	s_waitcnt vmcnt(0)
	v_cvt_f32_u32_e32 v1, v1
.LBB31_1505:
	s_mov_b64 s[6:7], 0
.LBB31_1506:
	s_andn2_b64 vcc, exec, s[6:7]
	s_cbranch_vccnz .LBB31_1514
; %bb.1507:
	global_load_ubyte v3, v[12:13], off
	s_movk_i32 s6, 0x7f
                                        ; implicit-def: $sgpr16
	s_waitcnt vmcnt(0)
	v_cmp_lt_i16_e32 vcc, s6, v3
	s_mov_b64 s[6:7], 0
	s_and_saveexec_b64 s[12:13], vcc
	s_xor_b64 s[12:13], exec, s[12:13]
	s_cbranch_execz .LBB31_1528
; %bb.1508:
	s_movk_i32 s6, 0x80
	v_cmp_eq_u16_e32 vcc, s6, v3
	s_mov_b64 s[6:7], -1
                                        ; implicit-def: $sgpr16
	s_and_saveexec_b64 s[14:15], vcc
; %bb.1509:
	s_mov_b32 s16, 0x7f800001
	s_xor_b64 s[6:7], exec, -1
; %bb.1510:
	s_or_b64 exec, exec, s[14:15]
	s_and_b64 s[6:7], s[6:7], exec
	s_or_saveexec_b64 s[12:13], s[12:13]
	v_mov_b32_e32 v1, s16
	s_xor_b64 exec, exec, s[12:13]
	s_cbranch_execnz .LBB31_1529
.LBB31_1511:
	s_or_b64 exec, exec, s[12:13]
	s_and_saveexec_b64 s[12:13], s[6:7]
	s_cbranch_execz .LBB31_1513
.LBB31_1512:
	v_lshlrev_b32_e32 v1, 24, v3
	v_and_b32_e32 v3, 0xffff, v3
	v_and_b32_e32 v5, 7, v3
	v_ffbh_u32_e32 v9, v5
	v_min_u32_e32 v9, 32, v9
	v_subrev_u32_e32 v11, 28, v9
	v_bfe_u32 v7, v3, 3, 4
	v_lshlrev_b32_e32 v3, v11, v3
	v_sub_u32_e32 v9, 29, v9
	v_and_b32_e32 v3, 7, v3
	v_cmp_eq_u32_e32 vcc, 0, v7
	v_cndmask_b32_e32 v7, v7, v9, vcc
	v_cndmask_b32_e32 v3, v5, v3, vcc
	v_mov_b32_e32 v5, 0x3b800000
	v_lshlrev_b32_e32 v3, 20, v3
	v_and_b32_e32 v1, 0x80000000, v1
	v_lshl_add_u32 v5, v7, 23, v5
	v_or3_b32 v1, v1, v5, v3
.LBB31_1513:
	s_or_b64 exec, exec, s[12:13]
.LBB31_1514:
	s_mov_b64 s[6:7], -1
.LBB31_1515:
	s_mov_b64 s[12:13], 0
.LBB31_1516:
	s_and_b64 vcc, exec, s[12:13]
	s_cbranch_vccz .LBB31_1549
; %bb.1517:
	v_mov_b32_e32 v1, 22
	v_cmp_gt_i16_sdwa s[4:5], s18, v1 src0_sel:BYTE_0 src1_sel:DWORD
	s_and_b64 vcc, exec, s[4:5]
	s_cbranch_vccz .LBB31_1527
; %bb.1518:
	v_mov_b32_e32 v1, 24
	v_cmp_lt_i16_sdwa s[4:5], s18, v1 src0_sel:BYTE_0 src1_sel:DWORD
	s_and_b64 vcc, exec, s[4:5]
	s_cbranch_vccnz .LBB31_1530
; %bb.1519:
	v_cmp_gt_i16_sdwa s[4:5], s18, v1 src0_sel:BYTE_0 src1_sel:DWORD
	s_and_b64 vcc, exec, s[4:5]
	s_cbranch_vccz .LBB31_1531
; %bb.1520:
	global_load_ubyte v3, v[12:13], off
	s_movk_i32 s4, 0x7f
                                        ; implicit-def: $sgpr14
	s_waitcnt vmcnt(0)
	v_cmp_lt_i16_e32 vcc, s4, v3
	s_mov_b64 s[4:5], 0
	s_and_saveexec_b64 s[6:7], vcc
	s_xor_b64 s[6:7], exec, s[6:7]
	s_cbranch_execz .LBB31_1543
; %bb.1521:
	s_movk_i32 s4, 0x80
	v_cmp_eq_u16_e32 vcc, s4, v3
	s_mov_b64 s[4:5], -1
                                        ; implicit-def: $sgpr14
	s_and_saveexec_b64 s[12:13], vcc
; %bb.1522:
	s_mov_b32 s14, 0x7f800001
	s_xor_b64 s[4:5], exec, -1
; %bb.1523:
	s_or_b64 exec, exec, s[12:13]
	s_and_b64 s[4:5], s[4:5], exec
	s_or_saveexec_b64 s[6:7], s[6:7]
	v_mov_b32_e32 v1, s14
	s_xor_b64 exec, exec, s[6:7]
	s_cbranch_execnz .LBB31_1544
.LBB31_1524:
	s_or_b64 exec, exec, s[6:7]
	s_and_saveexec_b64 s[6:7], s[4:5]
	s_cbranch_execz .LBB31_1526
.LBB31_1525:
	v_lshlrev_b32_e32 v1, 24, v3
	v_and_b32_e32 v3, 0xffff, v3
	v_and_b32_e32 v5, 3, v3
	v_ffbh_u32_e32 v9, v5
	v_min_u32_e32 v9, 32, v9
	v_subrev_u32_e32 v11, 29, v9
	v_bfe_u32 v7, v3, 2, 5
	v_lshlrev_b32_e32 v3, v11, v3
	v_sub_u32_e32 v9, 30, v9
	v_and_b32_e32 v3, 3, v3
	v_cmp_eq_u32_e32 vcc, 0, v7
	v_cndmask_b32_e32 v7, v7, v9, vcc
	v_cndmask_b32_e32 v3, v5, v3, vcc
	v_mov_b32_e32 v5, 0x37800000
	v_lshlrev_b32_e32 v3, 21, v3
	v_and_b32_e32 v1, 0x80000000, v1
	v_lshl_add_u32 v5, v7, 23, v5
	v_or3_b32 v1, v1, v5, v3
.LBB31_1526:
	s_or_b64 exec, exec, s[6:7]
	s_mov_b64 s[4:5], 0
	s_branch .LBB31_1532
.LBB31_1527:
	s_mov_b64 s[4:5], -1
                                        ; implicit-def: $vgpr1
	s_branch .LBB31_1538
.LBB31_1528:
	s_or_saveexec_b64 s[12:13], s[12:13]
	v_mov_b32_e32 v1, s16
	s_xor_b64 exec, exec, s[12:13]
	s_cbranch_execz .LBB31_1511
.LBB31_1529:
	v_cmp_ne_u16_e32 vcc, 0, v3
	s_andn2_b64 s[6:7], s[6:7], exec
	s_and_b64 s[14:15], vcc, exec
	v_mov_b32_e32 v1, 0
	s_or_b64 s[6:7], s[6:7], s[14:15]
	s_or_b64 exec, exec, s[12:13]
	s_and_saveexec_b64 s[12:13], s[6:7]
	s_cbranch_execnz .LBB31_1512
	s_branch .LBB31_1513
.LBB31_1530:
	s_mov_b64 s[4:5], -1
                                        ; implicit-def: $vgpr1
	s_branch .LBB31_1535
.LBB31_1531:
	s_mov_b64 s[4:5], -1
                                        ; implicit-def: $vgpr1
.LBB31_1532:
	s_and_b64 vcc, exec, s[4:5]
	s_cbranch_vccz .LBB31_1534
; %bb.1533:
	global_load_ubyte v1, v[12:13], off
	s_mov_b32 s4, 0x7f800000
	s_waitcnt vmcnt(0)
	v_lshlrev_b32_e32 v1, 24, v1
	v_and_b32_e32 v3, 0x7f000000, v1
	v_ffbh_u32_e32 v5, v3
	v_min_u32_e32 v5, 32, v5
	v_sub_u32_e64 v5, v5, 4 clamp
	v_lshlrev_b32_e32 v9, v5, v3
	v_lshlrev_b32_e32 v5, 23, v5
	v_lshrrev_b32_e32 v9, 4, v9
	v_add_u32_e32 v7, 0x1000000, v3
	v_sub_u32_e32 v5, v9, v5
	v_ashrrev_i32_e32 v7, 8, v7
	v_add_u32_e32 v5, 0x3c000000, v5
	v_and_or_b32 v5, v7, s4, v5
	v_cmp_ne_u32_e32 vcc, 0, v3
	v_cndmask_b32_e32 v3, 0, v5, vcc
	s_brev_b32 s4, 1
	v_and_or_b32 v1, v1, s4, v3
.LBB31_1534:
	s_mov_b64 s[4:5], 0
.LBB31_1535:
	s_andn2_b64 vcc, exec, s[4:5]
	s_cbranch_vccnz .LBB31_1537
; %bb.1536:
	global_load_ubyte v1, v[12:13], off
	s_movk_i32 s4, 0x7f00
	s_brev_b32 s5, 16
	s_waitcnt vmcnt(0)
	v_lshlrev_b16_e32 v3, 8, v1
	v_lshlrev_b32_e32 v1, 25, v1
	v_lshrrev_b32_e32 v5, 4, v1
	v_and_or_b32 v7, v3, s4, 0.5
	v_or_b32_e32 v5, 0x70000000, v5
	v_add_f32_e32 v7, -0.5, v7
	v_mul_f32_e32 v5, 0x7800000, v5
	v_cmp_gt_u32_e32 vcc, s5, v1
	v_bfe_i32 v3, v3, 0, 16
	v_cndmask_b32_e32 v1, v5, v7, vcc
	s_brev_b32 s4, 1
	v_and_or_b32 v1, v3, s4, v1
.LBB31_1537:
	s_mov_b64 s[4:5], 0
	s_mov_b64 s[6:7], -1
.LBB31_1538:
	s_andn2_b64 vcc, exec, s[4:5]
	s_mov_b64 s[4:5], 0
	s_cbranch_vccnz .LBB31_1549
; %bb.1539:
	v_mov_b32_e32 v1, 14
	v_cmp_gt_i16_sdwa s[4:5], s18, v1 src0_sel:BYTE_0 src1_sel:DWORD
	s_and_b64 vcc, exec, s[4:5]
	s_cbranch_vccz .LBB31_1542
; %bb.1540:
	v_mov_b32_e32 v1, 15
	v_cmp_eq_u16_sdwa s[0:1], s18, v1 src0_sel:BYTE_0 src1_sel:DWORD
	s_and_b64 vcc, exec, s[0:1]
	s_cbranch_vccz .LBB31_1545
; %bb.1541:
	global_load_ushort v1, v[12:13], off
	s_mov_b64 s[0:1], 0
	s_mov_b64 s[6:7], -1
	s_waitcnt vmcnt(0)
	v_lshlrev_b32_e32 v1, 16, v1
	s_branch .LBB31_1546
.LBB31_1542:
	s_mov_b64 s[12:13], -1
                                        ; implicit-def: $vgpr1
	s_branch .LBB31_1547
.LBB31_1543:
	s_or_saveexec_b64 s[6:7], s[6:7]
	v_mov_b32_e32 v1, s14
	s_xor_b64 exec, exec, s[6:7]
	s_cbranch_execz .LBB31_1524
.LBB31_1544:
	v_cmp_ne_u16_e32 vcc, 0, v3
	s_andn2_b64 s[4:5], s[4:5], exec
	s_and_b64 s[12:13], vcc, exec
	v_mov_b32_e32 v1, 0
	s_or_b64 s[4:5], s[4:5], s[12:13]
	s_or_b64 exec, exec, s[6:7]
	s_and_saveexec_b64 s[6:7], s[4:5]
	s_cbranch_execnz .LBB31_1525
	s_branch .LBB31_1526
.LBB31_1545:
	s_mov_b64 s[0:1], -1
                                        ; implicit-def: $vgpr1
.LBB31_1546:
	s_mov_b64 s[12:13], 0
.LBB31_1547:
	s_mov_b64 s[4:5], 0
	s_and_b64 vcc, exec, s[12:13]
	s_cbranch_vccz .LBB31_1549
; %bb.1548:
	v_mov_b32_e32 v1, 11
	v_cmp_ne_u16_sdwa s[0:1], s18, v1 src0_sel:BYTE_0 src1_sel:DWORD
	s_mov_b64 s[4:5], -1
                                        ; implicit-def: $vgpr1
.LBB31_1549:
	s_and_b64 vcc, exec, s[0:1]
	s_cbranch_vccnz .LBB31_1624
; %bb.1550:
	s_andn2_b64 vcc, exec, s[4:5]
	s_cbranch_vccnz .LBB31_1552
.LBB31_1551:
	global_load_ubyte v1, v[12:13], off
	s_mov_b64 s[6:7], -1
	s_waitcnt vmcnt(0)
	v_cmp_ne_u16_e32 vcc, 0, v1
	v_cndmask_b32_e64 v1, 0, 1.0, vcc
.LBB31_1552:
	s_branch .LBB31_1480
.LBB31_1553:
	v_mov_b32_e32 v1, 5
	v_cmp_lt_i16_sdwa s[0:1], s18, v1 src0_sel:BYTE_0 src1_sel:DWORD
	s_and_b64 vcc, exec, s[0:1]
	s_cbranch_vccnz .LBB31_1558
; %bb.1554:
	v_mov_b32_e32 v1, 8
	v_cmp_lt_i16_sdwa s[0:1], s18, v1 src0_sel:BYTE_0 src1_sel:DWORD
	s_and_b64 vcc, exec, s[0:1]
	s_cbranch_vccnz .LBB31_1559
; %bb.1555:
	;; [unrolled: 5-line block ×3, first 2 shown]
	v_cmp_gt_i16_sdwa s[0:1], s18, v1 src0_sel:BYTE_0 src1_sel:DWORD
	s_and_b64 vcc, exec, s[0:1]
	s_cbranch_vccz .LBB31_1561
; %bb.1557:
	global_load_dwordx2 v[16:17], v[12:13], off
	s_mov_b64 s[0:1], 0
	s_waitcnt vmcnt(0)
	v_cvt_f32_f64_e32 v1, v[16:17]
	s_branch .LBB31_1562
.LBB31_1558:
	s_mov_b64 s[0:1], -1
                                        ; implicit-def: $vgpr1
	s_branch .LBB31_1580
.LBB31_1559:
	s_mov_b64 s[0:1], -1
                                        ; implicit-def: $vgpr1
	s_branch .LBB31_1568
.LBB31_1560:
	s_mov_b64 s[0:1], -1
                                        ; implicit-def: $vgpr1
	s_branch .LBB31_1565
.LBB31_1561:
	s_mov_b64 s[0:1], -1
                                        ; implicit-def: $vgpr1
.LBB31_1562:
	s_andn2_b64 vcc, exec, s[0:1]
	s_cbranch_vccnz .LBB31_1564
; %bb.1563:
	global_load_dword v1, v[12:13], off
.LBB31_1564:
	s_mov_b64 s[0:1], 0
.LBB31_1565:
	s_andn2_b64 vcc, exec, s[0:1]
	s_cbranch_vccnz .LBB31_1567
; %bb.1566:
	global_load_dword v1, v[12:13], off
	s_waitcnt vmcnt(0)
	v_cvt_f32_f16_e32 v1, v1
.LBB31_1567:
	s_mov_b64 s[0:1], 0
.LBB31_1568:
	s_andn2_b64 vcc, exec, s[0:1]
	s_cbranch_vccnz .LBB31_1579
; %bb.1569:
	s_waitcnt vmcnt(0)
	v_mov_b32_e32 v1, 6
	v_cmp_lt_i16_sdwa s[0:1], s18, v1 src0_sel:BYTE_0 src1_sel:DWORD
	s_and_b64 vcc, exec, s[0:1]
	s_cbranch_vccnz .LBB31_1572
; %bb.1570:
	v_cmp_gt_i16_sdwa s[0:1], s18, v1 src0_sel:BYTE_0 src1_sel:DWORD
	s_and_b64 vcc, exec, s[0:1]
	s_cbranch_vccz .LBB31_1573
; %bb.1571:
	global_load_dwordx2 v[16:17], v[12:13], off
	s_mov_b64 s[0:1], 0
	s_waitcnt vmcnt(0)
	v_cvt_f32_f64_e32 v1, v[16:17]
	s_branch .LBB31_1574
.LBB31_1572:
	s_mov_b64 s[0:1], -1
                                        ; implicit-def: $vgpr1
	s_branch .LBB31_1577
.LBB31_1573:
	s_mov_b64 s[0:1], -1
                                        ; implicit-def: $vgpr1
.LBB31_1574:
	s_andn2_b64 vcc, exec, s[0:1]
	s_cbranch_vccnz .LBB31_1576
; %bb.1575:
	global_load_dword v1, v[12:13], off
.LBB31_1576:
	s_mov_b64 s[0:1], 0
.LBB31_1577:
	s_andn2_b64 vcc, exec, s[0:1]
	s_cbranch_vccnz .LBB31_1579
; %bb.1578:
	global_load_ushort v1, v[12:13], off
	s_waitcnt vmcnt(0)
	v_cvt_f32_f16_e32 v1, v1
.LBB31_1579:
	s_mov_b64 s[0:1], 0
.LBB31_1580:
	s_andn2_b64 vcc, exec, s[0:1]
	s_cbranch_vccnz .LBB31_1600
; %bb.1581:
	s_waitcnt vmcnt(0)
	v_mov_b32_e32 v1, 2
	v_cmp_lt_i16_sdwa s[0:1], s18, v1 src0_sel:BYTE_0 src1_sel:DWORD
	s_and_b64 vcc, exec, s[0:1]
	s_cbranch_vccnz .LBB31_1585
; %bb.1582:
	v_mov_b32_e32 v1, 3
	v_cmp_lt_i16_sdwa s[0:1], s18, v1 src0_sel:BYTE_0 src1_sel:DWORD
	s_and_b64 vcc, exec, s[0:1]
	s_cbranch_vccnz .LBB31_1586
; %bb.1583:
	v_cmp_gt_i16_sdwa s[0:1], s18, v1 src0_sel:BYTE_0 src1_sel:DWORD
	s_and_b64 vcc, exec, s[0:1]
	s_cbranch_vccz .LBB31_1587
; %bb.1584:
	global_load_dwordx2 v[16:17], v[12:13], off
	s_mov_b64 s[0:1], 0
	s_waitcnt vmcnt(0)
	v_xor_b32_e32 v3, v16, v17
	v_ffbh_i32_e32 v1, v17
	v_ashrrev_i32_e32 v3, 31, v3
	v_add_u32_e32 v1, -1, v1
	v_add_u32_e32 v3, 32, v3
	v_min_u32_e32 v1, v1, v3
	v_lshlrev_b64 v[16:17], v1, v[16:17]
	v_min_u32_e32 v3, 1, v16
	v_or_b32_e32 v3, v17, v3
	v_cvt_f32_i32_e32 v3, v3
	v_sub_u32_e32 v1, 32, v1
	v_ldexp_f32 v1, v3, v1
	s_branch .LBB31_1588
.LBB31_1585:
	s_mov_b64 s[0:1], -1
                                        ; implicit-def: $vgpr1
	s_branch .LBB31_1594
.LBB31_1586:
	s_mov_b64 s[0:1], -1
                                        ; implicit-def: $vgpr1
	s_branch .LBB31_1591
.LBB31_1587:
	s_mov_b64 s[0:1], -1
                                        ; implicit-def: $vgpr1
.LBB31_1588:
	s_andn2_b64 vcc, exec, s[0:1]
	s_cbranch_vccnz .LBB31_1590
; %bb.1589:
	global_load_dword v1, v[12:13], off
	s_waitcnt vmcnt(0)
	v_cvt_f32_i32_e32 v1, v1
.LBB31_1590:
	s_mov_b64 s[0:1], 0
.LBB31_1591:
	s_andn2_b64 vcc, exec, s[0:1]
	s_cbranch_vccnz .LBB31_1593
; %bb.1592:
	global_load_sshort v1, v[12:13], off
	s_waitcnt vmcnt(0)
	v_cvt_f32_i32_e32 v1, v1
.LBB31_1593:
	s_mov_b64 s[0:1], 0
.LBB31_1594:
	s_andn2_b64 vcc, exec, s[0:1]
	s_cbranch_vccnz .LBB31_1600
; %bb.1595:
	v_mov_b32_e32 v1, 0
	v_cmp_gt_i16_sdwa s[0:1], s18, v1 src0_sel:BYTE_0 src1_sel:DWORD
	s_and_b64 vcc, exec, s[0:1]
	s_cbranch_vccz .LBB31_1597
; %bb.1596:
	global_load_sbyte v1, v[12:13], off
	s_mov_b64 s[0:1], 0
	s_waitcnt vmcnt(0)
	v_cvt_f32_i32_e32 v1, v1
	s_branch .LBB31_1598
.LBB31_1597:
	s_mov_b64 s[0:1], -1
                                        ; implicit-def: $vgpr1
.LBB31_1598:
	s_andn2_b64 vcc, exec, s[0:1]
	s_cbranch_vccnz .LBB31_1600
; %bb.1599:
	global_load_ubyte v1, v[12:13], off
	s_waitcnt vmcnt(0)
	v_cvt_f32_ubyte0_e32 v1, v1
.LBB31_1600:
.LBB31_1601:
	s_waitcnt vmcnt(0)
	v_trunc_f32_e32 v1, v1
	s_mov_b32 s0, 0x2f800000
	v_mul_f32_e64 v3, |v1|, s0
	v_floor_f32_e32 v3, v3
	s_mov_b32 s0, 0xcf800000
	v_cvt_u32_f32_e32 v5, v3
	v_fma_f32 v3, v3, s0, |v1|
	v_cvt_u32_f32_e32 v3, v3
	v_ashrrev_i32_e32 v1, 31, v1
	v_xor_b32_e32 v5, v5, v1
	v_mov_b32_e32 v12, 0
	v_xor_b32_e32 v3, v3, v1
	v_sub_co_u32_e32 v16, vcc, v3, v1
	v_subb_co_u32_e32 v17, vcc, v5, v1, vcc
	v_cmp_lt_i64_e32 vcc, -1, v[16:17]
	s_and_saveexec_b64 s[0:1], vcc
	s_cbranch_execz .LBB31_1613
; %bb.1602:
	v_cmp_lt_i64_e32 vcc, 0, v[16:17]
	v_mov_b32_e32 v12, 1.0
	s_and_saveexec_b64 s[4:5], vcc
	s_cbranch_execz .LBB31_1612
; %bb.1603:
	v_cmp_ne_u64_e32 vcc, 1, v[16:17]
                                        ; implicit-def: $vgpr12
	s_and_saveexec_b64 s[6:7], vcc
	s_xor_b64 s[6:7], exec, s[6:7]
	s_cbranch_execz .LBB31_1609
; %bb.1604:
	s_mov_b64 s[12:13], 0x81
	v_cmp_gt_u64_e32 vcc, s[12:13], v[16:17]
	v_mov_b32_e32 v12, 0x7fc00000
	s_and_saveexec_b64 s[12:13], vcc
	s_cbranch_execz .LBB31_1608
; %bb.1605:
	s_mov_b64 s[16:17], 1
	s_mov_b64 s[14:15], 0
	s_waitcnt lgkmcnt(0)
	v_mov_b32_e32 v12, s19
	v_mov_b32_e32 v1, 1.0
.LBB31_1606:                            ; =>This Inner Loop Header: Depth=1
	s_flbit_i32_b32 s20, s17
	s_min_u32 s22, s20, 32
	s_lshl_b64 s[20:21], s[16:17], s22
	s_min_u32 s20, s20, 1
	s_or_b32 s20, s21, s20
	v_cvt_f32_u32_e32 v5, s20
	s_sub_i32 s22, 32, s22
	s_add_u32 s16, s16, 1
	s_addc_u32 s17, s17, 0
	v_ldexp_f32 v5, v5, s22
	v_mov_b32_e32 v3, v12
	v_cmp_eq_u64_e32 vcc, s[16:17], v[16:17]
	v_mul_f32_e32 v5, v1, v5
	s_or_b64 s[14:15], vcc, s[14:15]
	v_mov_b32_e32 v1, v12
	v_fma_f32 v12, s19, v3, -v5
	s_andn2_b64 exec, exec, s[14:15]
	s_cbranch_execnz .LBB31_1606
; %bb.1607:
	s_or_b64 exec, exec, s[14:15]
.LBB31_1608:
	s_or_b64 exec, exec, s[12:13]
.LBB31_1609:
	s_andn2_saveexec_b64 s[6:7], s[6:7]
	s_cbranch_execz .LBB31_1611
; %bb.1610:
	s_waitcnt lgkmcnt(0)
	v_mov_b32_e32 v12, s19
.LBB31_1611:
	s_or_b64 exec, exec, s[6:7]
.LBB31_1612:
	s_or_b64 exec, exec, s[4:5]
.LBB31_1613:
	s_or_b64 exec, exec, s[0:1]
	v_mov_b32_e32 v1, s11
	v_add_co_u32_e32 v14, vcc, s10, v14
	v_addc_co_u32_e32 v15, vcc, 0, v1, vcc
	v_mov_b32_e32 v1, 11
	v_cmp_lt_i16_sdwa s[0:1], s18, v1 src0_sel:BYTE_0 src1_sel:DWORD
	s_and_b64 vcc, exec, s[0:1]
	s_cbranch_vccnz .LBB31_1620
; %bb.1614:
	v_mov_b32_e32 v1, 25
	v_cmp_gt_i16_sdwa s[0:1], s18, v1 src0_sel:BYTE_0 src1_sel:DWORD
	s_mov_b64 s[4:5], 0
	s_and_b64 vcc, exec, s[0:1]
	s_cbranch_vccz .LBB31_1621
; %bb.1615:
	v_mov_b32_e32 v1, 28
	v_cmp_gt_i16_sdwa s[0:1], s18, v1 src0_sel:BYTE_0 src1_sel:DWORD
	s_and_b64 vcc, exec, s[0:1]
	s_cbranch_vccz .LBB31_1622
; %bb.1616:
	v_mov_b32_e32 v1, 43
	v_cmp_gt_i16_sdwa s[0:1], s18, v1 src0_sel:BYTE_0 src1_sel:DWORD
	;; [unrolled: 5-line block ×3, first 2 shown]
	s_and_b64 vcc, exec, s[0:1]
	s_cbranch_vccz .LBB31_1625
; %bb.1618:
	v_mov_b32_e32 v1, 46
	v_cmp_eq_u16_sdwa s[0:1], s18, v1 src0_sel:BYTE_0 src1_sel:DWORD
	s_mov_b64 s[10:11], 0
	s_and_b64 vcc, exec, s[0:1]
	s_cbranch_vccz .LBB31_1626
; %bb.1619:
	global_load_dword v1, v[14:15], off
	s_mov_b64 s[0:1], 0
	s_mov_b64 s[6:7], -1
	s_waitcnt vmcnt(0)
	v_lshlrev_b32_e32 v1, 16, v1
	s_branch .LBB31_1627
.LBB31_1620:
	s_mov_b64 s[0:1], -1
	s_mov_b64 s[6:7], 0
                                        ; implicit-def: $vgpr1
	s_branch .LBB31_1693
.LBB31_1621:
	s_mov_b64 s[10:11], -1
	s_mov_b64 s[6:7], 0
	s_mov_b64 s[0:1], 0
                                        ; implicit-def: $vgpr1
	s_branch .LBB31_1656
.LBB31_1622:
	s_mov_b64 s[10:11], -1
	s_mov_b64 s[6:7], 0
	s_mov_b64 s[0:1], 0
                                        ; implicit-def: $vgpr1
	s_branch .LBB31_1637
.LBB31_1623:
	s_mov_b64 s[10:11], -1
	s_mov_b64 s[6:7], 0
	s_mov_b64 s[0:1], 0
                                        ; implicit-def: $vgpr1
	s_branch .LBB31_1632
.LBB31_1624:
	s_trap 2
	s_or_b64 s[2:3], s[2:3], exec
                                        ; implicit-def: $vgpr1
	s_cbranch_execz .LBB31_1551
	s_branch .LBB31_1552
.LBB31_1625:
	s_mov_b64 s[10:11], -1
	s_mov_b64 s[6:7], 0
	s_mov_b64 s[0:1], 0
                                        ; implicit-def: $vgpr1
	s_branch .LBB31_1627
.LBB31_1626:
	s_mov_b64 s[0:1], -1
                                        ; implicit-def: $vgpr1
	s_mov_b64 s[6:7], 0
.LBB31_1627:
	s_and_b64 vcc, exec, s[10:11]
	s_cbranch_vccz .LBB31_1631
; %bb.1628:
	v_mov_b32_e32 v1, 44
	v_cmp_eq_u16_sdwa s[0:1], s18, v1 src0_sel:BYTE_0 src1_sel:DWORD
	s_and_b64 vcc, exec, s[0:1]
	s_cbranch_vccz .LBB31_1630
; %bb.1629:
	global_load_ubyte v1, v[14:15], off
	s_movk_i32 s6, 0xff
	v_mov_b32_e32 v3, 0x7f800001
	v_mov_b32_e32 v5, 0x400000
	s_mov_b64 s[0:1], 0
	s_waitcnt vmcnt(0)
	v_lshlrev_b32_e32 v7, 23, v1
	v_cmp_ne_u32_e32 vcc, s6, v1
	v_cndmask_b32_e32 v3, v3, v7, vcc
	v_cmp_ne_u32_e32 vcc, 0, v1
	v_cndmask_b32_e32 v1, v5, v3, vcc
	s_mov_b64 s[6:7], -1
	s_branch .LBB31_1631
.LBB31_1630:
	s_mov_b64 s[0:1], -1
                                        ; implicit-def: $vgpr1
.LBB31_1631:
	s_mov_b64 s[10:11], 0
.LBB31_1632:
	s_and_b64 vcc, exec, s[10:11]
	s_cbranch_vccz .LBB31_1636
; %bb.1633:
	v_mov_b32_e32 v1, 29
	v_cmp_eq_u16_sdwa s[0:1], s18, v1 src0_sel:BYTE_0 src1_sel:DWORD
	s_and_b64 vcc, exec, s[0:1]
	s_cbranch_vccz .LBB31_1635
; %bb.1634:
	global_load_dwordx2 v[16:17], v[14:15], off
	s_mov_b64 s[0:1], 0
	s_mov_b64 s[6:7], -1
	s_mov_b64 s[10:11], 0
	s_waitcnt vmcnt(0)
	v_ffbh_u32_e32 v1, v17
	v_min_u32_e32 v1, 32, v1
	v_lshlrev_b64 v[16:17], v1, v[16:17]
	v_min_u32_e32 v3, 1, v16
	v_or_b32_e32 v3, v17, v3
	v_cvt_f32_u32_e32 v3, v3
	v_sub_u32_e32 v1, 32, v1
	v_ldexp_f32 v1, v3, v1
	s_branch .LBB31_1637
.LBB31_1635:
	s_mov_b64 s[0:1], -1
                                        ; implicit-def: $vgpr1
.LBB31_1636:
	s_mov_b64 s[10:11], 0
.LBB31_1637:
	s_and_b64 vcc, exec, s[10:11]
	s_cbranch_vccz .LBB31_1655
; %bb.1638:
	v_mov_b32_e32 v1, 27
	v_cmp_lt_i16_sdwa s[6:7], s18, v1 src0_sel:BYTE_0 src1_sel:DWORD
	s_and_b64 vcc, exec, s[6:7]
	s_cbranch_vccnz .LBB31_1641
; %bb.1639:
	v_cmp_gt_i16_sdwa s[6:7], s18, v1 src0_sel:BYTE_0 src1_sel:DWORD
	s_and_b64 vcc, exec, s[6:7]
	s_cbranch_vccz .LBB31_1642
; %bb.1640:
	global_load_dword v1, v[14:15], off
	s_mov_b64 s[6:7], 0
	s_waitcnt vmcnt(0)
	v_cvt_f32_u32_e32 v1, v1
	s_branch .LBB31_1643
.LBB31_1641:
	s_mov_b64 s[6:7], -1
                                        ; implicit-def: $vgpr1
	s_branch .LBB31_1646
.LBB31_1642:
	s_mov_b64 s[6:7], -1
                                        ; implicit-def: $vgpr1
.LBB31_1643:
	s_andn2_b64 vcc, exec, s[6:7]
	s_cbranch_vccnz .LBB31_1645
; %bb.1644:
	global_load_ushort v1, v[14:15], off
	s_waitcnt vmcnt(0)
	v_cvt_f32_u32_e32 v1, v1
.LBB31_1645:
	s_mov_b64 s[6:7], 0
.LBB31_1646:
	s_andn2_b64 vcc, exec, s[6:7]
	s_cbranch_vccnz .LBB31_1654
; %bb.1647:
	global_load_ubyte v3, v[14:15], off
	s_movk_i32 s6, 0x7f
                                        ; implicit-def: $sgpr14
	s_waitcnt vmcnt(0)
	v_cmp_lt_i16_e32 vcc, s6, v3
	s_mov_b64 s[6:7], 0
	s_and_saveexec_b64 s[10:11], vcc
	s_xor_b64 s[10:11], exec, s[10:11]
	s_cbranch_execz .LBB31_1668
; %bb.1648:
	s_movk_i32 s6, 0x80
	v_cmp_eq_u16_e32 vcc, s6, v3
	s_mov_b64 s[6:7], -1
                                        ; implicit-def: $sgpr14
	s_and_saveexec_b64 s[12:13], vcc
; %bb.1649:
	s_mov_b32 s14, 0x7f800001
	s_xor_b64 s[6:7], exec, -1
; %bb.1650:
	s_or_b64 exec, exec, s[12:13]
	s_and_b64 s[6:7], s[6:7], exec
	s_or_saveexec_b64 s[10:11], s[10:11]
	v_mov_b32_e32 v1, s14
	s_xor_b64 exec, exec, s[10:11]
	s_cbranch_execnz .LBB31_1669
.LBB31_1651:
	s_or_b64 exec, exec, s[10:11]
	s_and_saveexec_b64 s[10:11], s[6:7]
	s_cbranch_execz .LBB31_1653
.LBB31_1652:
	v_lshlrev_b32_e32 v1, 24, v3
	v_and_b32_e32 v3, 0xffff, v3
	v_and_b32_e32 v5, 7, v3
	v_ffbh_u32_e32 v9, v5
	v_min_u32_e32 v9, 32, v9
	v_subrev_u32_e32 v11, 28, v9
	v_bfe_u32 v7, v3, 3, 4
	v_lshlrev_b32_e32 v3, v11, v3
	v_sub_u32_e32 v9, 29, v9
	v_and_b32_e32 v3, 7, v3
	v_cmp_eq_u32_e32 vcc, 0, v7
	v_cndmask_b32_e32 v7, v7, v9, vcc
	v_cndmask_b32_e32 v3, v5, v3, vcc
	v_mov_b32_e32 v5, 0x3b800000
	v_lshlrev_b32_e32 v3, 20, v3
	v_and_b32_e32 v1, 0x80000000, v1
	v_lshl_add_u32 v5, v7, 23, v5
	v_or3_b32 v1, v1, v5, v3
.LBB31_1653:
	s_or_b64 exec, exec, s[10:11]
.LBB31_1654:
	s_mov_b64 s[6:7], -1
.LBB31_1655:
	s_mov_b64 s[10:11], 0
.LBB31_1656:
	s_and_b64 vcc, exec, s[10:11]
	s_cbranch_vccz .LBB31_1689
; %bb.1657:
	v_mov_b32_e32 v1, 22
	v_cmp_gt_i16_sdwa s[4:5], s18, v1 src0_sel:BYTE_0 src1_sel:DWORD
	s_and_b64 vcc, exec, s[4:5]
	s_cbranch_vccz .LBB31_1667
; %bb.1658:
	v_mov_b32_e32 v1, 24
	v_cmp_lt_i16_sdwa s[4:5], s18, v1 src0_sel:BYTE_0 src1_sel:DWORD
	s_and_b64 vcc, exec, s[4:5]
	s_cbranch_vccnz .LBB31_1670
; %bb.1659:
	v_cmp_gt_i16_sdwa s[4:5], s18, v1 src0_sel:BYTE_0 src1_sel:DWORD
	s_and_b64 vcc, exec, s[4:5]
	s_cbranch_vccz .LBB31_1671
; %bb.1660:
	global_load_ubyte v3, v[14:15], off
	s_movk_i32 s4, 0x7f
                                        ; implicit-def: $sgpr12
	s_waitcnt vmcnt(0)
	v_cmp_lt_i16_e32 vcc, s4, v3
	s_mov_b64 s[4:5], 0
	s_and_saveexec_b64 s[6:7], vcc
	s_xor_b64 s[6:7], exec, s[6:7]
	s_cbranch_execz .LBB31_1683
; %bb.1661:
	s_movk_i32 s4, 0x80
	v_cmp_eq_u16_e32 vcc, s4, v3
	s_mov_b64 s[4:5], -1
                                        ; implicit-def: $sgpr12
	s_and_saveexec_b64 s[10:11], vcc
; %bb.1662:
	s_mov_b32 s12, 0x7f800001
	s_xor_b64 s[4:5], exec, -1
; %bb.1663:
	s_or_b64 exec, exec, s[10:11]
	s_and_b64 s[4:5], s[4:5], exec
	s_or_saveexec_b64 s[6:7], s[6:7]
	v_mov_b32_e32 v1, s12
	s_xor_b64 exec, exec, s[6:7]
	s_cbranch_execnz .LBB31_1684
.LBB31_1664:
	s_or_b64 exec, exec, s[6:7]
	s_and_saveexec_b64 s[6:7], s[4:5]
	s_cbranch_execz .LBB31_1666
.LBB31_1665:
	v_lshlrev_b32_e32 v1, 24, v3
	v_and_b32_e32 v3, 0xffff, v3
	v_and_b32_e32 v5, 3, v3
	v_ffbh_u32_e32 v9, v5
	v_min_u32_e32 v9, 32, v9
	v_subrev_u32_e32 v11, 29, v9
	v_bfe_u32 v7, v3, 2, 5
	v_lshlrev_b32_e32 v3, v11, v3
	v_sub_u32_e32 v9, 30, v9
	v_and_b32_e32 v3, 3, v3
	v_cmp_eq_u32_e32 vcc, 0, v7
	v_cndmask_b32_e32 v7, v7, v9, vcc
	v_cndmask_b32_e32 v3, v5, v3, vcc
	v_mov_b32_e32 v5, 0x37800000
	v_lshlrev_b32_e32 v3, 21, v3
	v_and_b32_e32 v1, 0x80000000, v1
	v_lshl_add_u32 v5, v7, 23, v5
	v_or3_b32 v1, v1, v5, v3
.LBB31_1666:
	s_or_b64 exec, exec, s[6:7]
	s_mov_b64 s[4:5], 0
	s_branch .LBB31_1672
.LBB31_1667:
	s_mov_b64 s[4:5], -1
                                        ; implicit-def: $vgpr1
	s_branch .LBB31_1678
.LBB31_1668:
	s_or_saveexec_b64 s[10:11], s[10:11]
	v_mov_b32_e32 v1, s14
	s_xor_b64 exec, exec, s[10:11]
	s_cbranch_execz .LBB31_1651
.LBB31_1669:
	v_cmp_ne_u16_e32 vcc, 0, v3
	s_andn2_b64 s[6:7], s[6:7], exec
	s_and_b64 s[12:13], vcc, exec
	v_mov_b32_e32 v1, 0
	s_or_b64 s[6:7], s[6:7], s[12:13]
	s_or_b64 exec, exec, s[10:11]
	s_and_saveexec_b64 s[10:11], s[6:7]
	s_cbranch_execnz .LBB31_1652
	s_branch .LBB31_1653
.LBB31_1670:
	s_mov_b64 s[4:5], -1
                                        ; implicit-def: $vgpr1
	s_branch .LBB31_1675
.LBB31_1671:
	s_mov_b64 s[4:5], -1
                                        ; implicit-def: $vgpr1
.LBB31_1672:
	s_and_b64 vcc, exec, s[4:5]
	s_cbranch_vccz .LBB31_1674
; %bb.1673:
	global_load_ubyte v1, v[14:15], off
	s_mov_b32 s4, 0x7f800000
	s_waitcnt vmcnt(0)
	v_lshlrev_b32_e32 v1, 24, v1
	v_and_b32_e32 v3, 0x7f000000, v1
	v_ffbh_u32_e32 v5, v3
	v_min_u32_e32 v5, 32, v5
	v_sub_u32_e64 v5, v5, 4 clamp
	v_lshlrev_b32_e32 v9, v5, v3
	v_lshlrev_b32_e32 v5, 23, v5
	v_lshrrev_b32_e32 v9, 4, v9
	v_add_u32_e32 v7, 0x1000000, v3
	v_sub_u32_e32 v5, v9, v5
	v_ashrrev_i32_e32 v7, 8, v7
	v_add_u32_e32 v5, 0x3c000000, v5
	v_and_or_b32 v5, v7, s4, v5
	v_cmp_ne_u32_e32 vcc, 0, v3
	v_cndmask_b32_e32 v3, 0, v5, vcc
	s_brev_b32 s4, 1
	v_and_or_b32 v1, v1, s4, v3
.LBB31_1674:
	s_mov_b64 s[4:5], 0
.LBB31_1675:
	s_andn2_b64 vcc, exec, s[4:5]
	s_cbranch_vccnz .LBB31_1677
; %bb.1676:
	global_load_ubyte v1, v[14:15], off
	s_movk_i32 s4, 0x7f00
	s_brev_b32 s5, 16
	s_waitcnt vmcnt(0)
	v_lshlrev_b16_e32 v3, 8, v1
	v_lshlrev_b32_e32 v1, 25, v1
	v_lshrrev_b32_e32 v5, 4, v1
	v_and_or_b32 v7, v3, s4, 0.5
	v_or_b32_e32 v5, 0x70000000, v5
	v_add_f32_e32 v7, -0.5, v7
	v_mul_f32_e32 v5, 0x7800000, v5
	v_cmp_gt_u32_e32 vcc, s5, v1
	v_bfe_i32 v3, v3, 0, 16
	v_cndmask_b32_e32 v1, v5, v7, vcc
	s_brev_b32 s4, 1
	v_and_or_b32 v1, v3, s4, v1
.LBB31_1677:
	s_mov_b64 s[4:5], 0
	s_mov_b64 s[6:7], -1
.LBB31_1678:
	s_andn2_b64 vcc, exec, s[4:5]
	s_mov_b64 s[4:5], 0
	s_cbranch_vccnz .LBB31_1689
; %bb.1679:
	v_mov_b32_e32 v1, 14
	v_cmp_gt_i16_sdwa s[4:5], s18, v1 src0_sel:BYTE_0 src1_sel:DWORD
	s_and_b64 vcc, exec, s[4:5]
	s_cbranch_vccz .LBB31_1682
; %bb.1680:
	v_mov_b32_e32 v1, 15
	v_cmp_eq_u16_sdwa s[0:1], s18, v1 src0_sel:BYTE_0 src1_sel:DWORD
	s_and_b64 vcc, exec, s[0:1]
	s_cbranch_vccz .LBB31_1685
; %bb.1681:
	global_load_ushort v1, v[14:15], off
	s_mov_b64 s[0:1], 0
	s_mov_b64 s[6:7], -1
	s_waitcnt vmcnt(0)
	v_lshlrev_b32_e32 v1, 16, v1
	s_branch .LBB31_1686
.LBB31_1682:
	s_mov_b64 s[10:11], -1
                                        ; implicit-def: $vgpr1
	s_branch .LBB31_1687
.LBB31_1683:
	s_or_saveexec_b64 s[6:7], s[6:7]
	v_mov_b32_e32 v1, s12
	s_xor_b64 exec, exec, s[6:7]
	s_cbranch_execz .LBB31_1664
.LBB31_1684:
	v_cmp_ne_u16_e32 vcc, 0, v3
	s_andn2_b64 s[4:5], s[4:5], exec
	s_and_b64 s[10:11], vcc, exec
	v_mov_b32_e32 v1, 0
	s_or_b64 s[4:5], s[4:5], s[10:11]
	s_or_b64 exec, exec, s[6:7]
	s_and_saveexec_b64 s[6:7], s[4:5]
	s_cbranch_execnz .LBB31_1665
	s_branch .LBB31_1666
.LBB31_1685:
	s_mov_b64 s[0:1], -1
                                        ; implicit-def: $vgpr1
.LBB31_1686:
	s_mov_b64 s[10:11], 0
.LBB31_1687:
	s_mov_b64 s[4:5], 0
	s_and_b64 vcc, exec, s[10:11]
	s_cbranch_vccz .LBB31_1689
; %bb.1688:
	v_mov_b32_e32 v1, 11
	v_cmp_ne_u16_sdwa s[0:1], s18, v1 src0_sel:BYTE_0 src1_sel:DWORD
	s_mov_b64 s[4:5], -1
                                        ; implicit-def: $vgpr1
.LBB31_1689:
	s_and_b64 vcc, exec, s[0:1]
	s_cbranch_vccnz .LBB31_1811
; %bb.1690:
	s_andn2_b64 vcc, exec, s[4:5]
	s_cbranch_vccnz .LBB31_1692
.LBB31_1691:
	global_load_ubyte v1, v[14:15], off
	s_mov_b64 s[6:7], -1
	s_waitcnt vmcnt(0)
	v_cmp_ne_u16_e32 vcc, 0, v1
	v_cndmask_b32_e64 v1, 0, 1.0, vcc
.LBB31_1692:
	s_mov_b64 s[0:1], 0
.LBB31_1693:
	s_and_b64 vcc, exec, s[0:1]
	s_cbranch_vccz .LBB31_1742
; %bb.1694:
	v_mov_b32_e32 v1, 5
	v_cmp_lt_i16_sdwa s[0:1], s18, v1 src0_sel:BYTE_0 src1_sel:DWORD
	s_and_b64 vcc, exec, s[0:1]
	s_cbranch_vccnz .LBB31_1699
; %bb.1695:
	v_mov_b32_e32 v1, 8
	v_cmp_lt_i16_sdwa s[0:1], s18, v1 src0_sel:BYTE_0 src1_sel:DWORD
	s_and_b64 vcc, exec, s[0:1]
	s_cbranch_vccnz .LBB31_1700
	;; [unrolled: 5-line block ×3, first 2 shown]
; %bb.1697:
	v_cmp_gt_i16_sdwa s[0:1], s18, v1 src0_sel:BYTE_0 src1_sel:DWORD
	s_and_b64 vcc, exec, s[0:1]
	s_cbranch_vccz .LBB31_1702
; %bb.1698:
	global_load_dwordx2 v[16:17], v[14:15], off
	s_mov_b64 s[0:1], 0
	s_waitcnt vmcnt(0)
	v_cvt_f32_f64_e32 v1, v[16:17]
	s_branch .LBB31_1703
.LBB31_1699:
	s_mov_b64 s[0:1], -1
                                        ; implicit-def: $vgpr1
	s_branch .LBB31_1721
.LBB31_1700:
	s_mov_b64 s[0:1], -1
                                        ; implicit-def: $vgpr1
	s_branch .LBB31_1709
.LBB31_1701:
	s_mov_b64 s[0:1], -1
                                        ; implicit-def: $vgpr1
	s_branch .LBB31_1706
.LBB31_1702:
	s_mov_b64 s[0:1], -1
                                        ; implicit-def: $vgpr1
.LBB31_1703:
	s_andn2_b64 vcc, exec, s[0:1]
	s_cbranch_vccnz .LBB31_1705
; %bb.1704:
	global_load_dword v1, v[14:15], off
.LBB31_1705:
	s_mov_b64 s[0:1], 0
.LBB31_1706:
	s_andn2_b64 vcc, exec, s[0:1]
	s_cbranch_vccnz .LBB31_1708
; %bb.1707:
	global_load_dword v1, v[14:15], off
	s_waitcnt vmcnt(0)
	v_cvt_f32_f16_e32 v1, v1
.LBB31_1708:
	s_mov_b64 s[0:1], 0
.LBB31_1709:
	s_andn2_b64 vcc, exec, s[0:1]
	s_cbranch_vccnz .LBB31_1720
; %bb.1710:
	s_waitcnt vmcnt(0)
	v_mov_b32_e32 v1, 6
	v_cmp_lt_i16_sdwa s[0:1], s18, v1 src0_sel:BYTE_0 src1_sel:DWORD
	s_and_b64 vcc, exec, s[0:1]
	s_cbranch_vccnz .LBB31_1713
; %bb.1711:
	v_cmp_gt_i16_sdwa s[0:1], s18, v1 src0_sel:BYTE_0 src1_sel:DWORD
	s_and_b64 vcc, exec, s[0:1]
	s_cbranch_vccz .LBB31_1714
; %bb.1712:
	global_load_dwordx2 v[16:17], v[14:15], off
	s_mov_b64 s[0:1], 0
	s_waitcnt vmcnt(0)
	v_cvt_f32_f64_e32 v1, v[16:17]
	s_branch .LBB31_1715
.LBB31_1713:
	s_mov_b64 s[0:1], -1
                                        ; implicit-def: $vgpr1
	s_branch .LBB31_1718
.LBB31_1714:
	s_mov_b64 s[0:1], -1
                                        ; implicit-def: $vgpr1
.LBB31_1715:
	s_andn2_b64 vcc, exec, s[0:1]
	s_cbranch_vccnz .LBB31_1717
; %bb.1716:
	global_load_dword v1, v[14:15], off
.LBB31_1717:
	s_mov_b64 s[0:1], 0
.LBB31_1718:
	s_andn2_b64 vcc, exec, s[0:1]
	s_cbranch_vccnz .LBB31_1720
; %bb.1719:
	global_load_ushort v1, v[14:15], off
	s_waitcnt vmcnt(0)
	v_cvt_f32_f16_e32 v1, v1
.LBB31_1720:
	s_mov_b64 s[0:1], 0
.LBB31_1721:
	s_andn2_b64 vcc, exec, s[0:1]
	s_cbranch_vccnz .LBB31_1741
; %bb.1722:
	s_waitcnt vmcnt(0)
	v_mov_b32_e32 v1, 2
	v_cmp_lt_i16_sdwa s[0:1], s18, v1 src0_sel:BYTE_0 src1_sel:DWORD
	s_and_b64 vcc, exec, s[0:1]
	s_cbranch_vccnz .LBB31_1726
; %bb.1723:
	v_mov_b32_e32 v1, 3
	v_cmp_lt_i16_sdwa s[0:1], s18, v1 src0_sel:BYTE_0 src1_sel:DWORD
	s_and_b64 vcc, exec, s[0:1]
	s_cbranch_vccnz .LBB31_1727
; %bb.1724:
	v_cmp_gt_i16_sdwa s[0:1], s18, v1 src0_sel:BYTE_0 src1_sel:DWORD
	s_and_b64 vcc, exec, s[0:1]
	s_cbranch_vccz .LBB31_1728
; %bb.1725:
	global_load_dwordx2 v[16:17], v[14:15], off
	s_mov_b64 s[0:1], 0
	s_waitcnt vmcnt(0)
	v_xor_b32_e32 v3, v16, v17
	v_ffbh_i32_e32 v1, v17
	v_ashrrev_i32_e32 v3, 31, v3
	v_add_u32_e32 v1, -1, v1
	v_add_u32_e32 v3, 32, v3
	v_min_u32_e32 v1, v1, v3
	v_lshlrev_b64 v[16:17], v1, v[16:17]
	v_min_u32_e32 v3, 1, v16
	v_or_b32_e32 v3, v17, v3
	v_cvt_f32_i32_e32 v3, v3
	v_sub_u32_e32 v1, 32, v1
	v_ldexp_f32 v1, v3, v1
	s_branch .LBB31_1729
.LBB31_1726:
	s_mov_b64 s[0:1], -1
                                        ; implicit-def: $vgpr1
	s_branch .LBB31_1735
.LBB31_1727:
	s_mov_b64 s[0:1], -1
                                        ; implicit-def: $vgpr1
	s_branch .LBB31_1732
.LBB31_1728:
	s_mov_b64 s[0:1], -1
                                        ; implicit-def: $vgpr1
.LBB31_1729:
	s_andn2_b64 vcc, exec, s[0:1]
	s_cbranch_vccnz .LBB31_1731
; %bb.1730:
	global_load_dword v1, v[14:15], off
	s_waitcnt vmcnt(0)
	v_cvt_f32_i32_e32 v1, v1
.LBB31_1731:
	s_mov_b64 s[0:1], 0
.LBB31_1732:
	s_andn2_b64 vcc, exec, s[0:1]
	s_cbranch_vccnz .LBB31_1734
; %bb.1733:
	global_load_sshort v1, v[14:15], off
	s_waitcnt vmcnt(0)
	v_cvt_f32_i32_e32 v1, v1
.LBB31_1734:
	s_mov_b64 s[0:1], 0
.LBB31_1735:
	s_andn2_b64 vcc, exec, s[0:1]
	s_cbranch_vccnz .LBB31_1741
; %bb.1736:
	v_mov_b32_e32 v1, 0
	v_cmp_gt_i16_sdwa s[0:1], s18, v1 src0_sel:BYTE_0 src1_sel:DWORD
	s_and_b64 vcc, exec, s[0:1]
	s_cbranch_vccz .LBB31_1738
; %bb.1737:
	global_load_sbyte v1, v[14:15], off
	s_mov_b64 s[0:1], 0
	s_waitcnt vmcnt(0)
	v_cvt_f32_i32_e32 v1, v1
	s_branch .LBB31_1739
.LBB31_1738:
	s_mov_b64 s[0:1], -1
                                        ; implicit-def: $vgpr1
.LBB31_1739:
	s_andn2_b64 vcc, exec, s[0:1]
	s_cbranch_vccnz .LBB31_1741
; %bb.1740:
	global_load_ubyte v1, v[14:15], off
	s_waitcnt vmcnt(0)
	v_cvt_f32_ubyte0_e32 v1, v1
.LBB31_1741:
	s_mov_b64 s[6:7], -1
.LBB31_1742:
	s_andn2_b64 vcc, exec, s[6:7]
	s_cbranch_vccnz .LBB31_1762
; %bb.1743:
	s_waitcnt vmcnt(0)
	v_trunc_f32_e32 v1, v1
	s_mov_b32 s0, 0x2f800000
	v_mul_f32_e64 v3, |v1|, s0
	v_floor_f32_e32 v3, v3
	s_mov_b32 s0, 0xcf800000
	v_cvt_u32_f32_e32 v5, v3
	v_fma_f32 v3, v3, s0, |v1|
	v_cvt_u32_f32_e32 v3, v3
	v_ashrrev_i32_e32 v1, 31, v1
	v_xor_b32_e32 v5, v5, v1
	v_mov_b32_e32 v14, 0
	v_xor_b32_e32 v3, v3, v1
	v_sub_co_u32_e32 v16, vcc, v3, v1
	v_subb_co_u32_e32 v17, vcc, v5, v1, vcc
	v_cmp_lt_i64_e32 vcc, -1, v[16:17]
	s_and_saveexec_b64 s[0:1], vcc
	s_cbranch_execz .LBB31_1755
; %bb.1744:
	v_cmp_lt_i64_e32 vcc, 0, v[16:17]
	v_mov_b32_e32 v14, 1.0
	s_and_saveexec_b64 s[4:5], vcc
	s_cbranch_execz .LBB31_1754
; %bb.1745:
	v_cmp_ne_u64_e32 vcc, 1, v[16:17]
                                        ; implicit-def: $vgpr14
	s_and_saveexec_b64 s[6:7], vcc
	s_xor_b64 s[6:7], exec, s[6:7]
	s_cbranch_execz .LBB31_1751
; %bb.1746:
	s_mov_b64 s[10:11], 0x81
	v_cmp_gt_u64_e32 vcc, s[10:11], v[16:17]
	v_mov_b32_e32 v14, 0x7fc00000
	s_and_saveexec_b64 s[10:11], vcc
	s_cbranch_execz .LBB31_1750
; %bb.1747:
	s_mov_b64 s[14:15], 1
	s_mov_b64 s[12:13], 0
	s_waitcnt lgkmcnt(0)
	v_mov_b32_e32 v14, s19
	v_mov_b32_e32 v1, 1.0
.LBB31_1748:                            ; =>This Inner Loop Header: Depth=1
	s_flbit_i32_b32 s16, s15
	s_min_u32 s18, s16, 32
	s_lshl_b64 s[16:17], s[14:15], s18
	s_min_u32 s16, s16, 1
	s_or_b32 s16, s17, s16
	v_cvt_f32_u32_e32 v5, s16
	s_sub_i32 s18, 32, s18
	s_add_u32 s14, s14, 1
	s_addc_u32 s15, s15, 0
	v_ldexp_f32 v5, v5, s18
	v_mov_b32_e32 v3, v14
	v_cmp_eq_u64_e32 vcc, s[14:15], v[16:17]
	v_mul_f32_e32 v5, v1, v5
	s_or_b64 s[12:13], vcc, s[12:13]
	v_mov_b32_e32 v1, v14
	v_fma_f32 v14, s19, v3, -v5
	s_andn2_b64 exec, exec, s[12:13]
	s_cbranch_execnz .LBB31_1748
; %bb.1749:
	s_or_b64 exec, exec, s[12:13]
.LBB31_1750:
	s_or_b64 exec, exec, s[10:11]
.LBB31_1751:
	s_andn2_saveexec_b64 s[6:7], s[6:7]
	s_cbranch_execz .LBB31_1753
; %bb.1752:
	s_waitcnt lgkmcnt(0)
	v_mov_b32_e32 v14, s19
.LBB31_1753:
	s_or_b64 exec, exec, s[6:7]
.LBB31_1754:
	s_or_b64 exec, exec, s[4:5]
.LBB31_1755:
	s_or_b64 exec, exec, s[0:1]
	s_load_dword s0, s[34:35], 0x160
	v_mov_b32_e32 v1, s9
	v_add_co_u32_e32 v6, vcc, s8, v6
	v_addc_co_u32_e32 v7, vcc, 0, v1, vcc
	s_waitcnt lgkmcnt(0)
	s_and_b32 s16, s0, 0xff
	v_cmp_lt_i16_e64 s[4:5], s16, 11
	s_and_b64 vcc, exec, s[4:5]
	s_cbranch_vccnz .LBB31_1808
; %bb.1756:
	v_cmp_gt_i16_e64 s[0:1], s16, 25
	s_mov_b64 s[12:13], -1
	s_mov_b64 s[6:7], 0
	s_and_b64 vcc, exec, s[0:1]
	s_mov_b64 s[10:11], 0
	s_mov_b64 s[0:1], 0
	s_cbranch_vccz .LBB31_1840
; %bb.1757:
	v_cmp_gt_i16_e64 s[0:1], s16, 28
	s_and_b64 vcc, exec, s[0:1]
	s_cbranch_vccz .LBB31_1809
; %bb.1758:
	v_cmp_gt_i16_e64 s[0:1], s16, 43
	s_and_b64 vcc, exec, s[0:1]
	s_cbranch_vccz .LBB31_1810
; %bb.1759:
	v_cmp_gt_i16_e64 s[0:1], s16, 45
	s_and_b64 vcc, exec, s[0:1]
	s_cbranch_vccz .LBB31_1812
; %bb.1760:
	v_cmp_eq_u16_e64 s[10:11], s16, 46
	s_mov_b64 s[0:1], -1
	s_mov_b64 s[12:13], 0
	s_and_b64 vcc, exec, s[10:11]
	s_mov_b64 s[10:11], 0
	s_cbranch_vccz .LBB31_1813
; %bb.1761:
	v_bfe_u32 v1, v8, 16, 1
	s_movk_i32 s0, 0x7fff
	v_add3_u32 v1, v8, v1, s0
	v_lshrrev_b32_e32 v1, 16, v1
	v_mov_b32_e32 v3, 0x7fc0
	v_cmp_o_f32_e32 vcc, v8, v8
	v_cndmask_b32_e32 v1, v3, v1, vcc
	global_store_dword v[6:7], v1, off
	s_mov_b64 s[0:1], 0
	s_mov_b64 s[10:11], -1
	s_branch .LBB31_1813
.LBB31_1762:
	s_mov_b64 s[0:1], 0
                                        ; implicit-def: $vgpr0_vgpr1
                                        ; implicit-def: $sgpr16
                                        ; implicit-def: $vgpr14
.LBB31_1763:
	s_mov_b64 s[4:5], 0
.LBB31_1764:
	s_and_b64 s[6:7], s[4:5], exec
	s_andn2_b64 s[4:5], s[28:29], exec
	s_and_b64 s[2:3], s[2:3], exec
	s_and_b64 s[0:1], s[0:1], exec
	s_or_b64 s[28:29], s[4:5], s[2:3]
.LBB31_1765:
	s_or_b64 exec, exec, s[30:31]
	s_and_saveexec_b64 s[2:3], s[28:29]
	s_cbranch_execz .LBB31_1768
; %bb.1766:
	; divergent unreachable
	s_or_b64 exec, exec, s[2:3]
	s_and_saveexec_b64 s[2:3], s[6:7]
	s_xor_b64 s[2:3], exec, s[2:3]
	s_cbranch_execnz .LBB31_1769
.LBB31_1767:
	s_or_b64 exec, exec, s[2:3]
	s_and_saveexec_b64 s[2:3], s[0:1]
	s_cbranch_execnz .LBB31_1770
	s_branch .LBB31_1807
.LBB31_1768:
	s_or_b64 exec, exec, s[2:3]
	s_and_saveexec_b64 s[2:3], s[6:7]
	s_xor_b64 s[2:3], exec, s[2:3]
	s_cbranch_execz .LBB31_1767
.LBB31_1769:
	v_cmp_neq_f32_e32 vcc, 0, v14
	v_cndmask_b32_e64 v2, 0, 1, vcc
	s_waitcnt vmcnt(0)
	global_store_byte v[0:1], v2, off
	s_or_b64 exec, exec, s[2:3]
	s_and_saveexec_b64 s[2:3], s[0:1]
	s_cbranch_execz .LBB31_1807
.LBB31_1770:
	v_cmp_lt_i16_e64 s[2:3], s16, 5
	s_mov_b64 s[0:1], -1
	s_and_b64 vcc, exec, s[2:3]
	s_cbranch_vccnz .LBB31_1791
; %bb.1771:
	v_cmp_lt_i16_e64 s[2:3], s16, 8
	s_and_b64 vcc, exec, s[2:3]
	s_cbranch_vccnz .LBB31_1781
; %bb.1772:
	v_cmp_lt_i16_e64 s[2:3], s16, 9
	s_and_b64 vcc, exec, s[2:3]
	s_cbranch_vccnz .LBB31_1778
; %bb.1773:
	v_cmp_gt_i16_e64 s[2:3], s16, 9
	s_and_b64 vcc, exec, s[2:3]
	s_cbranch_vccz .LBB31_1775
; %bb.1774:
	v_mov_b32_e32 v4, 0
	v_cvt_f64_f32_e32 v[2:3], v14
	v_mov_b32_e32 v5, v4
	s_waitcnt vmcnt(0)
	global_store_dwordx4 v[0:1], v[2:5], off
	s_mov_b64 s[0:1], 0
.LBB31_1775:
	s_andn2_b64 vcc, exec, s[0:1]
	s_cbranch_vccnz .LBB31_1777
; %bb.1776:
	v_mov_b32_e32 v15, 0
	s_waitcnt vmcnt(0)
	global_store_dwordx2 v[0:1], v[14:15], off
.LBB31_1777:
	s_mov_b64 s[0:1], 0
.LBB31_1778:
	s_andn2_b64 vcc, exec, s[0:1]
	s_cbranch_vccnz .LBB31_1780
; %bb.1779:
	v_cvt_f16_f32_e32 v2, v14
	s_waitcnt vmcnt(0)
	global_store_dword v[0:1], v2, off
.LBB31_1780:
	s_mov_b64 s[0:1], 0
.LBB31_1781:
	s_andn2_b64 vcc, exec, s[0:1]
	s_cbranch_vccnz .LBB31_1790
; %bb.1782:
	v_cmp_lt_i16_e64 s[2:3], s16, 6
	s_mov_b64 s[0:1], -1
	s_and_b64 vcc, exec, s[2:3]
	s_cbranch_vccnz .LBB31_1788
; %bb.1783:
	v_cmp_gt_i16_e64 s[2:3], s16, 6
	s_and_b64 vcc, exec, s[2:3]
	s_cbranch_vccz .LBB31_1785
; %bb.1784:
	v_cvt_f64_f32_e32 v[2:3], v14
	s_waitcnt vmcnt(0)
	global_store_dwordx2 v[0:1], v[2:3], off
	s_mov_b64 s[0:1], 0
.LBB31_1785:
	s_andn2_b64 vcc, exec, s[0:1]
	s_cbranch_vccnz .LBB31_1787
; %bb.1786:
	s_waitcnt vmcnt(0)
	global_store_dword v[0:1], v14, off
.LBB31_1787:
	s_mov_b64 s[0:1], 0
.LBB31_1788:
	s_andn2_b64 vcc, exec, s[0:1]
	s_cbranch_vccnz .LBB31_1790
; %bb.1789:
	v_cvt_f16_f32_e32 v2, v14
	s_waitcnt vmcnt(0)
	global_store_short v[0:1], v2, off
.LBB31_1790:
	s_mov_b64 s[0:1], 0
.LBB31_1791:
	s_andn2_b64 vcc, exec, s[0:1]
	s_cbranch_vccnz .LBB31_1807
; %bb.1792:
	v_cmp_lt_i16_e64 s[2:3], s16, 2
	s_mov_b64 s[0:1], -1
	s_and_b64 vcc, exec, s[2:3]
	s_cbranch_vccnz .LBB31_1802
; %bb.1793:
	v_cmp_lt_i16_e64 s[2:3], s16, 3
	s_and_b64 vcc, exec, s[2:3]
	s_cbranch_vccnz .LBB31_1799
; %bb.1794:
	v_cmp_gt_i16_e64 s[2:3], s16, 3
	s_and_b64 vcc, exec, s[2:3]
	s_cbranch_vccz .LBB31_1796
; %bb.1795:
	v_trunc_f32_e32 v2, v14
	s_mov_b32 s0, 0x2f800000
	v_mul_f32_e64 v3, |v2|, s0
	v_floor_f32_e32 v3, v3
	s_mov_b32 s0, 0xcf800000
	v_cvt_u32_f32_e32 v4, v3
	v_fma_f32 v3, v3, s0, |v2|
	v_cvt_u32_f32_e32 v3, v3
	v_ashrrev_i32_e32 v5, 31, v2
	v_xor_b32_e32 v4, v4, v5
	s_mov_b64 s[0:1], 0
	v_xor_b32_e32 v2, v3, v5
	v_sub_co_u32_e32 v2, vcc, v2, v5
	v_subb_co_u32_e32 v3, vcc, v4, v5, vcc
	s_waitcnt vmcnt(0)
	global_store_dwordx2 v[0:1], v[2:3], off
.LBB31_1796:
	s_andn2_b64 vcc, exec, s[0:1]
	s_cbranch_vccnz .LBB31_1798
; %bb.1797:
	v_cvt_i32_f32_e32 v2, v14
	s_waitcnt vmcnt(0)
	global_store_dword v[0:1], v2, off
.LBB31_1798:
	s_mov_b64 s[0:1], 0
.LBB31_1799:
	s_andn2_b64 vcc, exec, s[0:1]
	s_cbranch_vccnz .LBB31_1801
; %bb.1800:
	v_cvt_i32_f32_e32 v2, v14
	s_waitcnt vmcnt(0)
	global_store_short v[0:1], v2, off
.LBB31_1801:
	s_mov_b64 s[0:1], 0
.LBB31_1802:
	s_andn2_b64 vcc, exec, s[0:1]
	s_cbranch_vccnz .LBB31_1807
; %bb.1803:
	v_cmp_gt_i16_e64 s[2:3], s16, 0
	s_mov_b64 s[0:1], -1
	s_and_b64 vcc, exec, s[2:3]
	s_cbranch_vccz .LBB31_1805
; %bb.1804:
	v_cvt_i32_f32_e32 v2, v14
	s_mov_b64 s[0:1], 0
	s_waitcnt vmcnt(0)
	global_store_byte v[0:1], v2, off
.LBB31_1805:
	s_andn2_b64 vcc, exec, s[0:1]
	s_cbranch_vccnz .LBB31_1807
; %bb.1806:
	v_trunc_f32_e32 v2, v14
	s_mov_b32 s0, 0x2f800000
	v_mul_f32_e64 v3, |v2|, s0
	v_floor_f32_e32 v3, v3
	s_mov_b32 s0, 0xcf800000
	v_fma_f32 v3, v3, s0, |v2|
	v_cvt_u32_f32_e32 v3, v3
	v_ashrrev_i32_e32 v2, 31, v2
	v_xor_b32_e32 v3, v3, v2
	v_sub_u32_e32 v2, v3, v2
	s_waitcnt vmcnt(0)
	global_store_byte v[0:1], v2, off
	s_endpgm
.LBB31_1807:
	s_endpgm
.LBB31_1808:
	s_mov_b64 s[0:1], -1
	s_mov_b64 s[10:11], 0
	s_branch .LBB31_1884
.LBB31_1809:
	s_mov_b64 s[0:1], 0
	s_branch .LBB31_1823
.LBB31_1810:
	s_mov_b64 s[0:1], 0
	s_branch .LBB31_1819
.LBB31_1811:
	s_trap 2
	s_or_b64 s[2:3], s[2:3], exec
                                        ; implicit-def: $vgpr1
	s_cbranch_execz .LBB31_1691
	s_branch .LBB31_1692
.LBB31_1812:
	s_mov_b64 s[0:1], 0
.LBB31_1813:
	s_and_b64 vcc, exec, s[12:13]
	s_cbranch_vccz .LBB31_1818
; %bb.1814:
	v_cmp_eq_u16_e64 s[12:13], s16, 44
	s_mov_b64 s[0:1], -1
	s_and_b64 vcc, exec, s[12:13]
	s_cbranch_vccz .LBB31_1818
; %bb.1815:
	v_bfe_u32 v1, v8, 23, 8
	s_movk_i32 s0, 0xff
	v_cmp_ne_u32_e32 vcc, s0, v1
	v_mov_b32_e32 v3, 0xff
	s_and_saveexec_b64 s[10:11], vcc
; %bb.1816:
	s_mov_b32 s0, 0x3fffff
	v_and_b32_e32 v5, 0x400000, v8
	v_and_or_b32 v1, v8, s0, v1
	v_cmp_ne_u32_e32 vcc, 0, v5
	v_cmp_ne_u32_e64 s[0:1], 0, v1
	s_and_b64 s[0:1], vcc, s[0:1]
	v_lshrrev_b32_e32 v3, 23, v8
	v_cndmask_b32_e64 v1, 0, 1, s[0:1]
	v_add_u32_e32 v3, v3, v1
; %bb.1817:
	s_or_b64 exec, exec, s[10:11]
	s_mov_b64 s[0:1], 0
	s_mov_b64 s[10:11], -1
	global_store_byte v[6:7], v3, off
.LBB31_1818:
	s_mov_b64 s[12:13], 0
.LBB31_1819:
	s_and_b64 vcc, exec, s[12:13]
	s_cbranch_vccz .LBB31_1822
; %bb.1820:
	v_cmp_eq_u16_e64 s[12:13], s16, 29
	s_mov_b64 s[0:1], -1
	s_and_b64 vcc, exec, s[12:13]
	s_cbranch_vccz .LBB31_1822
; %bb.1821:
	v_trunc_f32_e32 v1, v8
	v_mul_f32_e32 v3, 0x2f800000, v1
	v_floor_f32_e32 v3, v3
	v_fmac_f32_e32 v1, 0xcf800000, v3
	v_cvt_u32_f32_e32 v17, v3
	v_cvt_u32_f32_e32 v16, v1
	s_mov_b64 s[0:1], 0
	s_mov_b64 s[10:11], -1
	s_mov_b64 s[12:13], 0
	global_store_dwordx2 v[6:7], v[16:17], off
	s_branch .LBB31_1823
.LBB31_1822:
	s_mov_b64 s[12:13], 0
.LBB31_1823:
	s_and_b64 vcc, exec, s[12:13]
	s_cbranch_vccz .LBB31_1839
; %bb.1824:
	v_cmp_lt_i16_e64 s[12:13], s16, 27
	s_mov_b64 s[10:11], -1
	s_and_b64 vcc, exec, s[12:13]
	s_cbranch_vccnz .LBB31_1830
; %bb.1825:
	v_cvt_u32_f32_e32 v1, v8
	v_cmp_gt_i16_e64 s[12:13], s16, 27
	s_and_b64 vcc, exec, s[12:13]
	s_cbranch_vccz .LBB31_1827
; %bb.1826:
	s_mov_b64 s[10:11], 0
	global_store_dword v[6:7], v1, off
.LBB31_1827:
	s_andn2_b64 vcc, exec, s[10:11]
	s_cbranch_vccnz .LBB31_1829
; %bb.1828:
	global_store_short v[6:7], v1, off
.LBB31_1829:
	s_mov_b64 s[10:11], 0
.LBB31_1830:
	s_andn2_b64 vcc, exec, s[10:11]
	s_cbranch_vccnz .LBB31_1838
; %bb.1831:
	v_and_b32_e32 v1, 0x7fffffff, v8
	s_mov_b32 s10, 0x43800000
	v_cmp_gt_u32_e32 vcc, s10, v1
	v_mov_b32_e32 v3, 0x80
	s_and_saveexec_b64 s[10:11], vcc
	s_cbranch_execz .LBB31_1837
; %bb.1832:
	s_mov_b32 s12, 0x3bffffff
	v_cmp_lt_u32_e32 vcc, s12, v1
	s_mov_b64 s[12:13], 0
                                        ; implicit-def: $vgpr1
	s_and_saveexec_b64 s[14:15], vcc
	s_xor_b64 s[14:15], exec, s[14:15]
	s_cbranch_execz .LBB31_1933
; %bb.1833:
	v_bfe_u32 v1, v8, 20, 1
	s_mov_b32 s17, 0x487ffff
	v_add3_u32 v1, v8, v1, s17
	s_mov_b64 s[12:13], exec
	v_lshrrev_b32_e32 v1, 20, v1
	s_or_saveexec_b64 s[14:15], s[14:15]
                                        ; implicit-def: $sgpr17
	s_xor_b64 exec, exec, s[14:15]
	s_cbranch_execnz .LBB31_1934
.LBB31_1834:
	s_or_b64 exec, exec, s[14:15]
	v_mov_b32_e32 v3, s17
	s_and_saveexec_b64 s[14:15], s[12:13]
.LBB31_1835:
	v_lshrrev_b32_e32 v3, 24, v8
	s_movk_i32 s12, 0x80
	v_and_or_b32 v3, v3, s12, v1
.LBB31_1836:
	s_or_b64 exec, exec, s[14:15]
.LBB31_1837:
	s_or_b64 exec, exec, s[10:11]
	global_store_byte v[6:7], v3, off
.LBB31_1838:
	s_mov_b64 s[10:11], -1
.LBB31_1839:
	s_mov_b64 s[12:13], 0
.LBB31_1840:
	s_and_b64 vcc, exec, s[12:13]
	s_cbranch_vccz .LBB31_1880
; %bb.1841:
	v_cmp_gt_i16_e64 s[12:13], s16, 22
	s_mov_b64 s[6:7], -1
	s_and_b64 vcc, exec, s[12:13]
	s_cbranch_vccz .LBB31_1873
; %bb.1842:
	v_cmp_lt_i16_e64 s[10:11], s16, 24
	s_and_b64 vcc, exec, s[10:11]
	s_cbranch_vccnz .LBB31_1862
; %bb.1843:
	v_cmp_gt_i16_e64 s[10:11], s16, 24
	s_and_b64 vcc, exec, s[10:11]
	s_cbranch_vccz .LBB31_1851
; %bb.1844:
	v_and_b32_e32 v1, 0x7fffffff, v8
	s_mov_b32 s6, 0x47800000
	v_cmp_gt_u32_e32 vcc, s6, v1
	v_mov_b32_e32 v3, 0x80
	s_and_saveexec_b64 s[6:7], vcc
	s_cbranch_execz .LBB31_1850
; %bb.1845:
	s_mov_b32 s10, 0x37ffffff
	v_cmp_lt_u32_e32 vcc, s10, v1
	s_mov_b64 s[10:11], 0
                                        ; implicit-def: $vgpr1
	s_and_saveexec_b64 s[12:13], vcc
	s_xor_b64 s[12:13], exec, s[12:13]
	s_cbranch_execz .LBB31_1937
; %bb.1846:
	v_bfe_u32 v1, v8, 21, 1
	s_mov_b32 s14, 0x88fffff
	v_add3_u32 v1, v8, v1, s14
	s_mov_b64 s[10:11], exec
	v_lshrrev_b32_e32 v1, 21, v1
	s_or_saveexec_b64 s[12:13], s[12:13]
                                        ; implicit-def: $sgpr14
	s_xor_b64 exec, exec, s[12:13]
	s_cbranch_execnz .LBB31_1938
.LBB31_1847:
	s_or_b64 exec, exec, s[12:13]
	v_mov_b32_e32 v3, s14
	s_and_saveexec_b64 s[12:13], s[10:11]
.LBB31_1848:
	v_lshrrev_b32_e32 v3, 24, v8
	s_movk_i32 s10, 0x80
	v_and_or_b32 v3, v3, s10, v1
.LBB31_1849:
	s_or_b64 exec, exec, s[12:13]
.LBB31_1850:
	s_or_b64 exec, exec, s[6:7]
	s_mov_b64 s[6:7], 0
	global_store_byte v[6:7], v3, off
.LBB31_1851:
	s_and_b64 vcc, exec, s[6:7]
	s_cbranch_vccz .LBB31_1861
; %bb.1852:
	v_and_b32_e32 v3, 0x7fffffff, v8
	s_mov_b32 s6, 0x43f00000
	v_cmp_gt_u32_e32 vcc, s6, v3
                                        ; implicit-def: $vgpr1
	s_and_saveexec_b64 s[6:7], vcc
	s_xor_b64 s[6:7], exec, s[6:7]
	s_cbranch_execz .LBB31_1858
; %bb.1853:
	s_mov_b32 s10, 0x3c7fffff
	v_cmp_lt_u32_e32 vcc, s10, v3
                                        ; implicit-def: $vgpr1
	s_and_saveexec_b64 s[10:11], vcc
	s_xor_b64 s[10:11], exec, s[10:11]
; %bb.1854:
	v_bfe_u32 v1, v8, 20, 1
	s_mov_b32 s12, 0x407ffff
	v_add3_u32 v1, v8, v1, s12
	v_lshrrev_b32_e32 v3, 20, v1
	v_and_b32_e32 v1, 0xff00000, v1
	s_mov_b32 s12, 0x7f00000
	v_mov_b32_e32 v5, 0x7e
	v_cmp_ne_u32_e32 vcc, s12, v1
	v_cndmask_b32_e32 v1, v5, v3, vcc
; %bb.1855:
	s_andn2_saveexec_b64 s[10:11], s[10:11]
; %bb.1856:
	s_mov_b32 s12, 0x46800000
	v_add_f32_e64 v1, |v8|, s12
; %bb.1857:
	s_or_b64 exec, exec, s[10:11]
                                        ; implicit-def: $vgpr3
.LBB31_1858:
	s_andn2_saveexec_b64 s[6:7], s[6:7]
; %bb.1859:
	s_mov_b32 s10, 0x7f800000
	v_mov_b32_e32 v1, 0x7e
	v_mov_b32_e32 v5, 0x7f
	v_cmp_lt_u32_e32 vcc, s10, v3
	v_cndmask_b32_e32 v1, v1, v5, vcc
; %bb.1860:
	s_or_b64 exec, exec, s[6:7]
	v_lshrrev_b32_e32 v3, 24, v8
	s_movk_i32 s6, 0x80
	v_and_or_b32 v1, v3, s6, v1
	global_store_byte v[6:7], v1, off
.LBB31_1861:
	s_mov_b64 s[6:7], 0
.LBB31_1862:
	s_andn2_b64 vcc, exec, s[6:7]
	s_cbranch_vccnz .LBB31_1872
; %bb.1863:
	v_and_b32_e32 v3, 0x7fffffff, v8
	s_mov_b32 s6, 0x47800000
	v_cmp_gt_u32_e32 vcc, s6, v3
                                        ; implicit-def: $vgpr1
	s_and_saveexec_b64 s[6:7], vcc
	s_xor_b64 s[6:7], exec, s[6:7]
	s_cbranch_execz .LBB31_1869
; %bb.1864:
	s_mov_b32 s10, 0x387fffff
	v_cmp_lt_u32_e32 vcc, s10, v3
                                        ; implicit-def: $vgpr1
	s_and_saveexec_b64 s[10:11], vcc
	s_xor_b64 s[10:11], exec, s[10:11]
; %bb.1865:
	v_bfe_u32 v1, v8, 21, 1
	s_mov_b32 s12, 0x80fffff
	v_add3_u32 v1, v8, v1, s12
	v_lshrrev_b32_e32 v1, 21, v1
; %bb.1866:
	s_andn2_saveexec_b64 s[10:11], s[10:11]
; %bb.1867:
	s_mov_b32 s12, 0x43000000
	v_add_f32_e64 v1, |v8|, s12
; %bb.1868:
	s_or_b64 exec, exec, s[10:11]
                                        ; implicit-def: $vgpr3
.LBB31_1869:
	s_andn2_saveexec_b64 s[6:7], s[6:7]
; %bb.1870:
	s_mov_b32 s10, 0x7f800000
	v_mov_b32_e32 v1, 0x7c
	v_mov_b32_e32 v5, 0x7f
	v_cmp_lt_u32_e32 vcc, s10, v3
	v_cndmask_b32_e32 v1, v1, v5, vcc
; %bb.1871:
	s_or_b64 exec, exec, s[6:7]
	v_lshrrev_b32_e32 v3, 24, v8
	s_movk_i32 s6, 0x80
	v_and_or_b32 v1, v3, s6, v1
	global_store_byte v[6:7], v1, off
.LBB31_1872:
	s_mov_b64 s[6:7], 0
	s_mov_b64 s[10:11], -1
.LBB31_1873:
	s_andn2_b64 vcc, exec, s[6:7]
	s_mov_b64 s[6:7], 0
	s_cbranch_vccnz .LBB31_1880
; %bb.1874:
	v_cmp_gt_i16_e64 s[6:7], s16, 14
	s_mov_b64 s[12:13], -1
	s_and_b64 vcc, exec, s[6:7]
	s_cbranch_vccz .LBB31_1878
; %bb.1875:
	v_cmp_eq_u16_e64 s[6:7], s16, 15
	s_mov_b64 s[0:1], -1
	s_and_b64 vcc, exec, s[6:7]
	s_cbranch_vccz .LBB31_1877
; %bb.1876:
	v_bfe_u32 v1, v8, 16, 1
	s_movk_i32 s0, 0x7fff
	v_add3_u32 v1, v8, v1, s0
	v_lshrrev_b32_e32 v1, 16, v1
	v_mov_b32_e32 v3, 0x7fc0
	v_cmp_o_f32_e32 vcc, v8, v8
	v_cndmask_b32_e32 v1, v3, v1, vcc
	global_store_short v[6:7], v1, off
	s_mov_b64 s[0:1], 0
	s_mov_b64 s[10:11], -1
.LBB31_1877:
	s_mov_b64 s[12:13], 0
.LBB31_1878:
	s_mov_b64 s[6:7], 0
	s_and_b64 vcc, exec, s[12:13]
	s_cbranch_vccz .LBB31_1880
; %bb.1879:
	v_cmp_ne_u16_e64 s[0:1], s16, 11
	s_mov_b64 s[6:7], -1
.LBB31_1880:
	s_and_b64 vcc, exec, s[0:1]
	s_cbranch_vccnz .LBB31_1936
; %bb.1881:
	s_andn2_b64 vcc, exec, s[6:7]
	s_cbranch_vccnz .LBB31_1883
.LBB31_1882:
	v_cmp_neq_f32_e32 vcc, 0, v8
	v_cndmask_b32_e64 v1, 0, 1, vcc
	s_mov_b64 s[10:11], -1
	global_store_byte v[6:7], v1, off
.LBB31_1883:
	s_mov_b64 s[0:1], 0
.LBB31_1884:
	s_and_b64 vcc, exec, s[0:1]
	s_cbranch_vccz .LBB31_1923
; %bb.1885:
	v_cmp_lt_i16_e64 s[6:7], s16, 5
	s_mov_b64 s[0:1], -1
	s_and_b64 vcc, exec, s[6:7]
	s_cbranch_vccnz .LBB31_1906
; %bb.1886:
	v_cmp_lt_i16_e64 s[6:7], s16, 8
	s_and_b64 vcc, exec, s[6:7]
	s_cbranch_vccnz .LBB31_1896
; %bb.1887:
	v_cmp_lt_i16_e64 s[6:7], s16, 9
	s_and_b64 vcc, exec, s[6:7]
	s_cbranch_vccnz .LBB31_1893
; %bb.1888:
	v_cmp_gt_i16_e64 s[6:7], s16, 9
	s_and_b64 vcc, exec, s[6:7]
	s_cbranch_vccz .LBB31_1890
; %bb.1889:
	v_mov_b32_e32 v18, 0
	v_cvt_f64_f32_e32 v[16:17], v8
	v_mov_b32_e32 v19, v18
	global_store_dwordx4 v[6:7], v[16:19], off
	s_mov_b64 s[0:1], 0
.LBB31_1890:
	s_andn2_b64 vcc, exec, s[0:1]
	s_cbranch_vccnz .LBB31_1892
; %bb.1891:
	v_mov_b32_e32 v9, 0
	global_store_dwordx2 v[6:7], v[8:9], off
.LBB31_1892:
	s_mov_b64 s[0:1], 0
.LBB31_1893:
	s_andn2_b64 vcc, exec, s[0:1]
	s_cbranch_vccnz .LBB31_1895
; %bb.1894:
	v_cvt_f16_f32_e32 v1, v8
	global_store_dword v[6:7], v1, off
.LBB31_1895:
	s_mov_b64 s[0:1], 0
.LBB31_1896:
	s_andn2_b64 vcc, exec, s[0:1]
	s_cbranch_vccnz .LBB31_1905
; %bb.1897:
	v_cmp_lt_i16_e64 s[6:7], s16, 6
	s_mov_b64 s[0:1], -1
	s_and_b64 vcc, exec, s[6:7]
	s_cbranch_vccnz .LBB31_1903
; %bb.1898:
	v_cmp_gt_i16_e64 s[6:7], s16, 6
	s_and_b64 vcc, exec, s[6:7]
	s_cbranch_vccz .LBB31_1900
; %bb.1899:
	v_cvt_f64_f32_e32 v[16:17], v8
	global_store_dwordx2 v[6:7], v[16:17], off
	s_mov_b64 s[0:1], 0
.LBB31_1900:
	s_andn2_b64 vcc, exec, s[0:1]
	s_cbranch_vccnz .LBB31_1902
; %bb.1901:
	global_store_dword v[6:7], v8, off
.LBB31_1902:
	s_mov_b64 s[0:1], 0
.LBB31_1903:
	s_andn2_b64 vcc, exec, s[0:1]
	s_cbranch_vccnz .LBB31_1905
; %bb.1904:
	v_cvt_f16_f32_e32 v1, v8
	global_store_short v[6:7], v1, off
.LBB31_1905:
	s_mov_b64 s[0:1], 0
.LBB31_1906:
	s_andn2_b64 vcc, exec, s[0:1]
	s_cbranch_vccnz .LBB31_1922
; %bb.1907:
	v_cmp_lt_i16_e64 s[6:7], s16, 2
	s_mov_b64 s[0:1], -1
	s_and_b64 vcc, exec, s[6:7]
	s_cbranch_vccnz .LBB31_1917
; %bb.1908:
	v_cmp_lt_i16_e64 s[6:7], s16, 3
	s_and_b64 vcc, exec, s[6:7]
	s_cbranch_vccnz .LBB31_1914
; %bb.1909:
	v_cmp_gt_i16_e64 s[6:7], s16, 3
	s_and_b64 vcc, exec, s[6:7]
	s_cbranch_vccz .LBB31_1911
; %bb.1910:
	v_trunc_f32_e32 v1, v8
	s_mov_b32 s0, 0x2f800000
	v_mul_f32_e64 v3, |v1|, s0
	v_floor_f32_e32 v3, v3
	s_mov_b32 s0, 0xcf800000
	v_cvt_u32_f32_e32 v5, v3
	v_fma_f32 v3, v3, s0, |v1|
	v_cvt_u32_f32_e32 v3, v3
	v_ashrrev_i32_e32 v1, 31, v1
	v_xor_b32_e32 v5, v5, v1
	s_mov_b64 s[0:1], 0
	v_xor_b32_e32 v3, v3, v1
	v_sub_co_u32_e32 v16, vcc, v3, v1
	v_subb_co_u32_e32 v17, vcc, v5, v1, vcc
	global_store_dwordx2 v[6:7], v[16:17], off
.LBB31_1911:
	s_andn2_b64 vcc, exec, s[0:1]
	s_cbranch_vccnz .LBB31_1913
; %bb.1912:
	v_cvt_i32_f32_e32 v1, v8
	global_store_dword v[6:7], v1, off
.LBB31_1913:
	s_mov_b64 s[0:1], 0
.LBB31_1914:
	s_andn2_b64 vcc, exec, s[0:1]
	s_cbranch_vccnz .LBB31_1916
; %bb.1915:
	v_cvt_i32_f32_e32 v1, v8
	global_store_short v[6:7], v1, off
.LBB31_1916:
	s_mov_b64 s[0:1], 0
.LBB31_1917:
	s_andn2_b64 vcc, exec, s[0:1]
	s_cbranch_vccnz .LBB31_1922
; %bb.1918:
	v_cmp_gt_i16_e64 s[6:7], s16, 0
	s_mov_b64 s[0:1], -1
	s_and_b64 vcc, exec, s[6:7]
	s_cbranch_vccz .LBB31_1920
; %bb.1919:
	v_cvt_i32_f32_e32 v1, v8
	s_mov_b64 s[0:1], 0
	global_store_byte v[6:7], v1, off
.LBB31_1920:
	s_andn2_b64 vcc, exec, s[0:1]
	s_cbranch_vccnz .LBB31_1922
; %bb.1921:
	v_trunc_f32_e32 v1, v8
	s_mov_b32 s0, 0x2f800000
	v_mul_f32_e64 v3, |v1|, s0
	v_floor_f32_e32 v3, v3
	s_mov_b32 s0, 0xcf800000
	v_fma_f32 v3, v3, s0, |v1|
	v_cvt_u32_f32_e32 v3, v3
	v_ashrrev_i32_e32 v1, 31, v1
	v_xor_b32_e32 v3, v3, v1
	v_sub_u32_e32 v1, v3, v1
	global_store_byte v[6:7], v1, off
.LBB31_1922:
	s_mov_b64 s[10:11], -1
.LBB31_1923:
	s_andn2_b64 vcc, exec, s[10:11]
	s_cbranch_vccnz .LBB31_2186
; %bb.1924:
	v_mov_b32_e32 v1, s9
	v_add_co_u32_e32 v4, vcc, s8, v4
	v_addc_co_u32_e32 v5, vcc, 0, v1, vcc
	s_and_b64 vcc, exec, s[4:5]
	s_cbranch_vccnz .LBB31_1931
; %bb.1925:
	v_cmp_gt_i16_e64 s[0:1], s16, 25
	s_mov_b64 s[12:13], -1
	s_mov_b64 s[6:7], 0
	s_and_b64 vcc, exec, s[0:1]
	s_mov_b64 s[10:11], 0
	s_mov_b64 s[0:1], 0
	s_cbranch_vccz .LBB31_1967
; %bb.1926:
	v_cmp_gt_i16_e64 s[0:1], s16, 28
	s_and_b64 vcc, exec, s[0:1]
	s_cbranch_vccz .LBB31_1932
; %bb.1927:
	v_cmp_gt_i16_e64 s[0:1], s16, 43
	s_and_b64 vcc, exec, s[0:1]
	;; [unrolled: 4-line block ×3, first 2 shown]
	s_cbranch_vccz .LBB31_1939
; %bb.1929:
	v_cmp_eq_u16_e64 s[10:11], s16, 46
	s_mov_b64 s[0:1], -1
	s_mov_b64 s[12:13], 0
	s_and_b64 vcc, exec, s[10:11]
	s_mov_b64 s[10:11], 0
	s_cbranch_vccz .LBB31_1940
; %bb.1930:
	v_bfe_u32 v1, v10, 16, 1
	s_movk_i32 s0, 0x7fff
	v_add3_u32 v1, v10, v1, s0
	v_lshrrev_b32_e32 v1, 16, v1
	v_mov_b32_e32 v3, 0x7fc0
	v_cmp_o_f32_e32 vcc, v10, v10
	v_cndmask_b32_e32 v1, v3, v1, vcc
	global_store_dword v[4:5], v1, off
	s_mov_b64 s[0:1], 0
	s_mov_b64 s[10:11], -1
	s_branch .LBB31_1940
.LBB31_1931:
	s_mov_b64 s[0:1], -1
	s_mov_b64 s[10:11], 0
	s_branch .LBB31_2011
.LBB31_1932:
	s_mov_b64 s[0:1], 0
	s_branch .LBB31_1950
.LBB31_1933:
	s_or_saveexec_b64 s[14:15], s[14:15]
                                        ; implicit-def: $sgpr17
	s_xor_b64 exec, exec, s[14:15]
	s_cbranch_execz .LBB31_1834
.LBB31_1934:
	s_mov_b32 s17, 0x46000000
	v_add_f32_e64 v1, |v8|, s17
	v_and_b32_e32 v1, 0xff, v1
	v_cmp_ne_u32_e32 vcc, 0, v1
	s_andn2_b64 s[12:13], s[12:13], exec
	s_and_b64 s[18:19], vcc, exec
	s_mov_b32 s17, 0
	s_or_b64 s[12:13], s[12:13], s[18:19]
	s_or_b64 exec, exec, s[14:15]
	v_mov_b32_e32 v3, s17
	s_and_saveexec_b64 s[14:15], s[12:13]
	s_cbranch_execnz .LBB31_1835
	s_branch .LBB31_1836
.LBB31_1935:
	s_mov_b64 s[0:1], 0
	s_branch .LBB31_1946
.LBB31_1936:
	s_trap 2
	s_or_b64 s[2:3], s[2:3], exec
	s_cbranch_execz .LBB31_1882
	s_branch .LBB31_1883
.LBB31_1937:
	s_or_saveexec_b64 s[12:13], s[12:13]
                                        ; implicit-def: $sgpr14
	s_xor_b64 exec, exec, s[12:13]
	s_cbranch_execz .LBB31_1847
.LBB31_1938:
	s_mov_b32 s14, 0x42800000
	v_add_f32_e64 v1, |v8|, s14
	v_and_b32_e32 v1, 0xff, v1
	v_cmp_ne_u32_e32 vcc, 0, v1
	s_andn2_b64 s[10:11], s[10:11], exec
	s_and_b64 s[18:19], vcc, exec
	s_mov_b32 s14, 0
	s_or_b64 s[10:11], s[10:11], s[18:19]
	s_or_b64 exec, exec, s[12:13]
	v_mov_b32_e32 v3, s14
	s_and_saveexec_b64 s[12:13], s[10:11]
	s_cbranch_execnz .LBB31_1848
	s_branch .LBB31_1849
.LBB31_1939:
	s_mov_b64 s[0:1], 0
.LBB31_1940:
	s_and_b64 vcc, exec, s[12:13]
	s_cbranch_vccz .LBB31_1945
; %bb.1941:
	v_cmp_eq_u16_e64 s[12:13], s16, 44
	s_mov_b64 s[0:1], -1
	s_and_b64 vcc, exec, s[12:13]
	s_cbranch_vccz .LBB31_1945
; %bb.1942:
	v_bfe_u32 v1, v10, 23, 8
	s_movk_i32 s0, 0xff
	v_cmp_ne_u32_e32 vcc, s0, v1
	v_mov_b32_e32 v3, 0xff
	s_and_saveexec_b64 s[10:11], vcc
; %bb.1943:
	s_mov_b32 s0, 0x3fffff
	v_and_b32_e32 v6, 0x400000, v10
	v_and_or_b32 v1, v10, s0, v1
	v_cmp_ne_u32_e32 vcc, 0, v6
	v_cmp_ne_u32_e64 s[0:1], 0, v1
	s_and_b64 s[0:1], vcc, s[0:1]
	v_lshrrev_b32_e32 v3, 23, v10
	v_cndmask_b32_e64 v1, 0, 1, s[0:1]
	v_add_u32_e32 v3, v3, v1
; %bb.1944:
	s_or_b64 exec, exec, s[10:11]
	s_mov_b64 s[0:1], 0
	s_mov_b64 s[10:11], -1
	global_store_byte v[4:5], v3, off
.LBB31_1945:
	s_mov_b64 s[12:13], 0
.LBB31_1946:
	s_and_b64 vcc, exec, s[12:13]
	s_cbranch_vccz .LBB31_1949
; %bb.1947:
	v_cmp_eq_u16_e64 s[12:13], s16, 29
	s_mov_b64 s[0:1], -1
	s_and_b64 vcc, exec, s[12:13]
	s_cbranch_vccz .LBB31_1949
; %bb.1948:
	v_trunc_f32_e32 v1, v10
	v_mul_f32_e32 v3, 0x2f800000, v1
	v_floor_f32_e32 v3, v3
	v_fmac_f32_e32 v1, 0xcf800000, v3
	v_cvt_u32_f32_e32 v7, v3
	v_cvt_u32_f32_e32 v6, v1
	s_mov_b64 s[0:1], 0
	s_mov_b64 s[10:11], -1
	s_mov_b64 s[12:13], 0
	global_store_dwordx2 v[4:5], v[6:7], off
	s_branch .LBB31_1950
.LBB31_1949:
	s_mov_b64 s[12:13], 0
.LBB31_1950:
	s_and_b64 vcc, exec, s[12:13]
	s_cbranch_vccz .LBB31_1966
; %bb.1951:
	v_cmp_lt_i16_e64 s[12:13], s16, 27
	s_mov_b64 s[10:11], -1
	s_and_b64 vcc, exec, s[12:13]
	s_cbranch_vccnz .LBB31_1957
; %bb.1952:
	v_cmp_gt_i16_e64 s[12:13], s16, 27
	s_and_b64 vcc, exec, s[12:13]
	s_cbranch_vccz .LBB31_1954
; %bb.1953:
	v_cvt_u32_f32_e32 v1, v10
	s_mov_b64 s[10:11], 0
	global_store_dword v[4:5], v1, off
.LBB31_1954:
	s_andn2_b64 vcc, exec, s[10:11]
	s_cbranch_vccnz .LBB31_1956
; %bb.1955:
	v_cvt_u32_f32_e32 v1, v10
	global_store_short v[4:5], v1, off
.LBB31_1956:
	s_mov_b64 s[10:11], 0
.LBB31_1957:
	s_andn2_b64 vcc, exec, s[10:11]
	s_cbranch_vccnz .LBB31_1965
; %bb.1958:
	v_and_b32_e32 v1, 0x7fffffff, v10
	s_mov_b32 s10, 0x43800000
	v_cmp_gt_u32_e32 vcc, s10, v1
	v_mov_b32_e32 v3, 0x80
	s_and_saveexec_b64 s[10:11], vcc
	s_cbranch_execz .LBB31_1964
; %bb.1959:
	s_mov_b32 s12, 0x3bffffff
	v_cmp_lt_u32_e32 vcc, s12, v1
	s_mov_b64 s[12:13], 0
                                        ; implicit-def: $vgpr1
	s_and_saveexec_b64 s[14:15], vcc
	s_xor_b64 s[14:15], exec, s[14:15]
	s_cbranch_execz .LBB31_2060
; %bb.1960:
	v_bfe_u32 v1, v10, 20, 1
	s_mov_b32 s17, 0x487ffff
	v_add3_u32 v1, v10, v1, s17
	s_mov_b64 s[12:13], exec
	v_lshrrev_b32_e32 v1, 20, v1
	s_or_saveexec_b64 s[14:15], s[14:15]
                                        ; implicit-def: $sgpr17
	s_xor_b64 exec, exec, s[14:15]
	s_cbranch_execnz .LBB31_2061
.LBB31_1961:
	s_or_b64 exec, exec, s[14:15]
	v_mov_b32_e32 v3, s17
	s_and_saveexec_b64 s[14:15], s[12:13]
.LBB31_1962:
	v_lshrrev_b32_e32 v3, 24, v10
	s_movk_i32 s12, 0x80
	v_and_or_b32 v3, v3, s12, v1
.LBB31_1963:
	s_or_b64 exec, exec, s[14:15]
.LBB31_1964:
	s_or_b64 exec, exec, s[10:11]
	global_store_byte v[4:5], v3, off
.LBB31_1965:
	s_mov_b64 s[10:11], -1
.LBB31_1966:
	s_mov_b64 s[12:13], 0
.LBB31_1967:
	s_and_b64 vcc, exec, s[12:13]
	s_cbranch_vccz .LBB31_2007
; %bb.1968:
	v_cmp_gt_i16_e64 s[12:13], s16, 22
	s_mov_b64 s[6:7], -1
	s_and_b64 vcc, exec, s[12:13]
	s_cbranch_vccz .LBB31_2000
; %bb.1969:
	v_cmp_lt_i16_e64 s[10:11], s16, 24
	s_and_b64 vcc, exec, s[10:11]
	s_cbranch_vccnz .LBB31_1989
; %bb.1970:
	v_cmp_gt_i16_e64 s[10:11], s16, 24
	s_and_b64 vcc, exec, s[10:11]
	s_cbranch_vccz .LBB31_1978
; %bb.1971:
	v_and_b32_e32 v1, 0x7fffffff, v10
	s_mov_b32 s6, 0x47800000
	v_cmp_gt_u32_e32 vcc, s6, v1
	v_mov_b32_e32 v3, 0x80
	s_and_saveexec_b64 s[6:7], vcc
	s_cbranch_execz .LBB31_1977
; %bb.1972:
	s_mov_b32 s10, 0x37ffffff
	v_cmp_lt_u32_e32 vcc, s10, v1
	s_mov_b64 s[10:11], 0
                                        ; implicit-def: $vgpr1
	s_and_saveexec_b64 s[12:13], vcc
	s_xor_b64 s[12:13], exec, s[12:13]
	s_cbranch_execz .LBB31_2064
; %bb.1973:
	v_bfe_u32 v1, v10, 21, 1
	s_mov_b32 s14, 0x88fffff
	v_add3_u32 v1, v10, v1, s14
	s_mov_b64 s[10:11], exec
	v_lshrrev_b32_e32 v1, 21, v1
	s_or_saveexec_b64 s[12:13], s[12:13]
                                        ; implicit-def: $sgpr14
	s_xor_b64 exec, exec, s[12:13]
	s_cbranch_execnz .LBB31_2065
.LBB31_1974:
	s_or_b64 exec, exec, s[12:13]
	v_mov_b32_e32 v3, s14
	s_and_saveexec_b64 s[12:13], s[10:11]
.LBB31_1975:
	v_lshrrev_b32_e32 v3, 24, v10
	s_movk_i32 s10, 0x80
	v_and_or_b32 v3, v3, s10, v1
.LBB31_1976:
	s_or_b64 exec, exec, s[12:13]
.LBB31_1977:
	s_or_b64 exec, exec, s[6:7]
	s_mov_b64 s[6:7], 0
	global_store_byte v[4:5], v3, off
.LBB31_1978:
	s_and_b64 vcc, exec, s[6:7]
	s_cbranch_vccz .LBB31_1988
; %bb.1979:
	v_and_b32_e32 v3, 0x7fffffff, v10
	s_mov_b32 s6, 0x43f00000
	v_cmp_gt_u32_e32 vcc, s6, v3
                                        ; implicit-def: $vgpr1
	s_and_saveexec_b64 s[6:7], vcc
	s_xor_b64 s[6:7], exec, s[6:7]
	s_cbranch_execz .LBB31_1985
; %bb.1980:
	s_mov_b32 s10, 0x3c7fffff
	v_cmp_lt_u32_e32 vcc, s10, v3
                                        ; implicit-def: $vgpr1
	s_and_saveexec_b64 s[10:11], vcc
	s_xor_b64 s[10:11], exec, s[10:11]
; %bb.1981:
	v_bfe_u32 v1, v10, 20, 1
	s_mov_b32 s12, 0x407ffff
	v_add3_u32 v1, v10, v1, s12
	v_lshrrev_b32_e32 v3, 20, v1
	v_and_b32_e32 v1, 0xff00000, v1
	s_mov_b32 s12, 0x7f00000
	v_mov_b32_e32 v6, 0x7e
	v_cmp_ne_u32_e32 vcc, s12, v1
	v_cndmask_b32_e32 v1, v6, v3, vcc
; %bb.1982:
	s_andn2_saveexec_b64 s[10:11], s[10:11]
; %bb.1983:
	s_mov_b32 s12, 0x46800000
	v_add_f32_e64 v1, |v10|, s12
; %bb.1984:
	s_or_b64 exec, exec, s[10:11]
                                        ; implicit-def: $vgpr3
.LBB31_1985:
	s_andn2_saveexec_b64 s[6:7], s[6:7]
; %bb.1986:
	s_mov_b32 s10, 0x7f800000
	v_mov_b32_e32 v1, 0x7e
	v_mov_b32_e32 v6, 0x7f
	v_cmp_lt_u32_e32 vcc, s10, v3
	v_cndmask_b32_e32 v1, v1, v6, vcc
; %bb.1987:
	s_or_b64 exec, exec, s[6:7]
	v_lshrrev_b32_e32 v3, 24, v10
	s_movk_i32 s6, 0x80
	v_and_or_b32 v1, v3, s6, v1
	global_store_byte v[4:5], v1, off
.LBB31_1988:
	s_mov_b64 s[6:7], 0
.LBB31_1989:
	s_andn2_b64 vcc, exec, s[6:7]
	s_cbranch_vccnz .LBB31_1999
; %bb.1990:
	v_and_b32_e32 v3, 0x7fffffff, v10
	s_mov_b32 s6, 0x47800000
	v_cmp_gt_u32_e32 vcc, s6, v3
                                        ; implicit-def: $vgpr1
	s_and_saveexec_b64 s[6:7], vcc
	s_xor_b64 s[6:7], exec, s[6:7]
	s_cbranch_execz .LBB31_1996
; %bb.1991:
	s_mov_b32 s10, 0x387fffff
	v_cmp_lt_u32_e32 vcc, s10, v3
                                        ; implicit-def: $vgpr1
	s_and_saveexec_b64 s[10:11], vcc
	s_xor_b64 s[10:11], exec, s[10:11]
; %bb.1992:
	v_bfe_u32 v1, v10, 21, 1
	s_mov_b32 s12, 0x80fffff
	v_add3_u32 v1, v10, v1, s12
	v_lshrrev_b32_e32 v1, 21, v1
; %bb.1993:
	s_andn2_saveexec_b64 s[10:11], s[10:11]
; %bb.1994:
	s_mov_b32 s12, 0x43000000
	v_add_f32_e64 v1, |v10|, s12
; %bb.1995:
	s_or_b64 exec, exec, s[10:11]
                                        ; implicit-def: $vgpr3
.LBB31_1996:
	s_andn2_saveexec_b64 s[6:7], s[6:7]
; %bb.1997:
	s_mov_b32 s10, 0x7f800000
	v_mov_b32_e32 v1, 0x7c
	v_mov_b32_e32 v6, 0x7f
	v_cmp_lt_u32_e32 vcc, s10, v3
	v_cndmask_b32_e32 v1, v1, v6, vcc
; %bb.1998:
	s_or_b64 exec, exec, s[6:7]
	v_lshrrev_b32_e32 v3, 24, v10
	s_movk_i32 s6, 0x80
	v_and_or_b32 v1, v3, s6, v1
	global_store_byte v[4:5], v1, off
.LBB31_1999:
	s_mov_b64 s[6:7], 0
	s_mov_b64 s[10:11], -1
.LBB31_2000:
	s_andn2_b64 vcc, exec, s[6:7]
	s_mov_b64 s[6:7], 0
	s_cbranch_vccnz .LBB31_2007
; %bb.2001:
	v_cmp_gt_i16_e64 s[6:7], s16, 14
	s_mov_b64 s[12:13], -1
	s_and_b64 vcc, exec, s[6:7]
	s_cbranch_vccz .LBB31_2005
; %bb.2002:
	v_cmp_eq_u16_e64 s[6:7], s16, 15
	s_mov_b64 s[0:1], -1
	s_and_b64 vcc, exec, s[6:7]
	s_cbranch_vccz .LBB31_2004
; %bb.2003:
	v_bfe_u32 v1, v10, 16, 1
	s_movk_i32 s0, 0x7fff
	v_add3_u32 v1, v10, v1, s0
	v_lshrrev_b32_e32 v1, 16, v1
	v_mov_b32_e32 v3, 0x7fc0
	v_cmp_o_f32_e32 vcc, v10, v10
	v_cndmask_b32_e32 v1, v3, v1, vcc
	global_store_short v[4:5], v1, off
	s_mov_b64 s[0:1], 0
	s_mov_b64 s[10:11], -1
.LBB31_2004:
	s_mov_b64 s[12:13], 0
.LBB31_2005:
	s_mov_b64 s[6:7], 0
	s_and_b64 vcc, exec, s[12:13]
	s_cbranch_vccz .LBB31_2007
; %bb.2006:
	v_cmp_ne_u16_e64 s[0:1], s16, 11
	s_mov_b64 s[6:7], -1
.LBB31_2007:
	s_and_b64 vcc, exec, s[0:1]
	s_cbranch_vccnz .LBB31_2063
; %bb.2008:
	s_andn2_b64 vcc, exec, s[6:7]
	s_cbranch_vccnz .LBB31_2010
.LBB31_2009:
	v_cmp_neq_f32_e32 vcc, 0, v10
	v_cndmask_b32_e64 v1, 0, 1, vcc
	s_mov_b64 s[10:11], -1
	global_store_byte v[4:5], v1, off
.LBB31_2010:
	s_mov_b64 s[0:1], 0
.LBB31_2011:
	s_and_b64 vcc, exec, s[0:1]
	s_cbranch_vccz .LBB31_2050
; %bb.2012:
	v_cmp_lt_i16_e64 s[6:7], s16, 5
	s_mov_b64 s[0:1], -1
	s_and_b64 vcc, exec, s[6:7]
	s_cbranch_vccnz .LBB31_2033
; %bb.2013:
	v_cmp_lt_i16_e64 s[6:7], s16, 8
	s_and_b64 vcc, exec, s[6:7]
	s_cbranch_vccnz .LBB31_2023
; %bb.2014:
	v_cmp_lt_i16_e64 s[6:7], s16, 9
	s_and_b64 vcc, exec, s[6:7]
	s_cbranch_vccnz .LBB31_2020
; %bb.2015:
	v_cmp_gt_i16_e64 s[6:7], s16, 9
	s_and_b64 vcc, exec, s[6:7]
	s_cbranch_vccz .LBB31_2017
; %bb.2016:
	v_mov_b32_e32 v8, 0
	v_cvt_f64_f32_e32 v[6:7], v10
	v_mov_b32_e32 v9, v8
	global_store_dwordx4 v[4:5], v[6:9], off
	s_mov_b64 s[0:1], 0
.LBB31_2017:
	s_andn2_b64 vcc, exec, s[0:1]
	s_cbranch_vccnz .LBB31_2019
; %bb.2018:
	v_mov_b32_e32 v11, 0
	global_store_dwordx2 v[4:5], v[10:11], off
.LBB31_2019:
	s_mov_b64 s[0:1], 0
.LBB31_2020:
	s_andn2_b64 vcc, exec, s[0:1]
	s_cbranch_vccnz .LBB31_2022
; %bb.2021:
	v_cvt_f16_f32_e32 v1, v10
	global_store_dword v[4:5], v1, off
.LBB31_2022:
	s_mov_b64 s[0:1], 0
.LBB31_2023:
	s_andn2_b64 vcc, exec, s[0:1]
	s_cbranch_vccnz .LBB31_2032
; %bb.2024:
	v_cmp_lt_i16_e64 s[6:7], s16, 6
	s_mov_b64 s[0:1], -1
	s_and_b64 vcc, exec, s[6:7]
	s_cbranch_vccnz .LBB31_2030
; %bb.2025:
	v_cmp_gt_i16_e64 s[6:7], s16, 6
	s_and_b64 vcc, exec, s[6:7]
	s_cbranch_vccz .LBB31_2027
; %bb.2026:
	v_cvt_f64_f32_e32 v[6:7], v10
	global_store_dwordx2 v[4:5], v[6:7], off
	s_mov_b64 s[0:1], 0
.LBB31_2027:
	s_andn2_b64 vcc, exec, s[0:1]
	s_cbranch_vccnz .LBB31_2029
; %bb.2028:
	global_store_dword v[4:5], v10, off
.LBB31_2029:
	s_mov_b64 s[0:1], 0
.LBB31_2030:
	s_andn2_b64 vcc, exec, s[0:1]
	s_cbranch_vccnz .LBB31_2032
; %bb.2031:
	v_cvt_f16_f32_e32 v1, v10
	global_store_short v[4:5], v1, off
.LBB31_2032:
	s_mov_b64 s[0:1], 0
.LBB31_2033:
	s_andn2_b64 vcc, exec, s[0:1]
	s_cbranch_vccnz .LBB31_2049
; %bb.2034:
	v_cmp_lt_i16_e64 s[6:7], s16, 2
	s_mov_b64 s[0:1], -1
	s_and_b64 vcc, exec, s[6:7]
	s_cbranch_vccnz .LBB31_2044
; %bb.2035:
	v_cmp_lt_i16_e64 s[6:7], s16, 3
	s_and_b64 vcc, exec, s[6:7]
	s_cbranch_vccnz .LBB31_2041
; %bb.2036:
	v_cmp_gt_i16_e64 s[6:7], s16, 3
	s_and_b64 vcc, exec, s[6:7]
	s_cbranch_vccz .LBB31_2038
; %bb.2037:
	v_trunc_f32_e32 v1, v10
	s_mov_b32 s0, 0x2f800000
	v_mul_f32_e64 v3, |v1|, s0
	v_floor_f32_e32 v3, v3
	s_mov_b32 s0, 0xcf800000
	v_cvt_u32_f32_e32 v6, v3
	v_fma_f32 v3, v3, s0, |v1|
	v_cvt_u32_f32_e32 v3, v3
	v_ashrrev_i32_e32 v1, 31, v1
	v_xor_b32_e32 v7, v6, v1
	s_mov_b64 s[0:1], 0
	v_xor_b32_e32 v3, v3, v1
	v_sub_co_u32_e32 v6, vcc, v3, v1
	v_subb_co_u32_e32 v7, vcc, v7, v1, vcc
	global_store_dwordx2 v[4:5], v[6:7], off
.LBB31_2038:
	s_andn2_b64 vcc, exec, s[0:1]
	s_cbranch_vccnz .LBB31_2040
; %bb.2039:
	v_cvt_i32_f32_e32 v1, v10
	global_store_dword v[4:5], v1, off
.LBB31_2040:
	s_mov_b64 s[0:1], 0
.LBB31_2041:
	s_andn2_b64 vcc, exec, s[0:1]
	s_cbranch_vccnz .LBB31_2043
; %bb.2042:
	v_cvt_i32_f32_e32 v1, v10
	global_store_short v[4:5], v1, off
.LBB31_2043:
	s_mov_b64 s[0:1], 0
.LBB31_2044:
	s_andn2_b64 vcc, exec, s[0:1]
	s_cbranch_vccnz .LBB31_2049
; %bb.2045:
	v_cmp_gt_i16_e64 s[6:7], s16, 0
	s_mov_b64 s[0:1], -1
	s_and_b64 vcc, exec, s[6:7]
	s_cbranch_vccz .LBB31_2047
; %bb.2046:
	v_cvt_i32_f32_e32 v1, v10
	s_mov_b64 s[0:1], 0
	global_store_byte v[4:5], v1, off
.LBB31_2047:
	s_andn2_b64 vcc, exec, s[0:1]
	s_cbranch_vccnz .LBB31_2049
; %bb.2048:
	v_trunc_f32_e32 v1, v10
	s_mov_b32 s0, 0x2f800000
	v_mul_f32_e64 v3, |v1|, s0
	v_floor_f32_e32 v3, v3
	s_mov_b32 s0, 0xcf800000
	v_fma_f32 v3, v3, s0, |v1|
	v_cvt_u32_f32_e32 v3, v3
	v_ashrrev_i32_e32 v1, 31, v1
	v_xor_b32_e32 v3, v3, v1
	v_sub_u32_e32 v1, v3, v1
	global_store_byte v[4:5], v1, off
.LBB31_2049:
	s_mov_b64 s[10:11], -1
.LBB31_2050:
	s_andn2_b64 vcc, exec, s[10:11]
	s_cbranch_vccnz .LBB31_2186
; %bb.2051:
	v_mov_b32_e32 v1, s9
	v_add_co_u32_e32 v2, vcc, s8, v2
	v_addc_co_u32_e32 v3, vcc, 0, v1, vcc
	s_and_b64 vcc, exec, s[4:5]
	s_cbranch_vccnz .LBB31_2058
; %bb.2052:
	v_cmp_gt_i16_e64 s[0:1], s16, 25
	s_mov_b64 s[12:13], -1
	s_mov_b64 s[6:7], 0
	s_and_b64 vcc, exec, s[0:1]
	s_mov_b64 s[10:11], 0
	s_mov_b64 s[0:1], 0
	s_cbranch_vccz .LBB31_2094
; %bb.2053:
	v_cmp_gt_i16_e64 s[0:1], s16, 28
	s_and_b64 vcc, exec, s[0:1]
	s_cbranch_vccz .LBB31_2059
; %bb.2054:
	v_cmp_gt_i16_e64 s[0:1], s16, 43
	s_and_b64 vcc, exec, s[0:1]
	;; [unrolled: 4-line block ×3, first 2 shown]
	s_cbranch_vccz .LBB31_2066
; %bb.2056:
	v_cmp_eq_u16_e64 s[10:11], s16, 46
	s_mov_b64 s[0:1], -1
	s_mov_b64 s[12:13], 0
	s_and_b64 vcc, exec, s[10:11]
	s_mov_b64 s[10:11], 0
	s_cbranch_vccz .LBB31_2067
; %bb.2057:
	v_bfe_u32 v1, v12, 16, 1
	s_movk_i32 s0, 0x7fff
	v_add3_u32 v1, v12, v1, s0
	v_lshrrev_b32_e32 v1, 16, v1
	v_mov_b32_e32 v4, 0x7fc0
	v_cmp_o_f32_e32 vcc, v12, v12
	v_cndmask_b32_e32 v1, v4, v1, vcc
	global_store_dword v[2:3], v1, off
	s_mov_b64 s[0:1], 0
	s_mov_b64 s[10:11], -1
	s_branch .LBB31_2067
.LBB31_2058:
	s_mov_b64 s[0:1], -1
	s_mov_b64 s[10:11], 0
	s_branch .LBB31_2138
.LBB31_2059:
	s_mov_b64 s[0:1], 0
	s_branch .LBB31_2077
.LBB31_2060:
	s_or_saveexec_b64 s[14:15], s[14:15]
                                        ; implicit-def: $sgpr17
	s_xor_b64 exec, exec, s[14:15]
	s_cbranch_execz .LBB31_1961
.LBB31_2061:
	s_mov_b32 s17, 0x46000000
	v_add_f32_e64 v1, |v10|, s17
	v_and_b32_e32 v1, 0xff, v1
	v_cmp_ne_u32_e32 vcc, 0, v1
	s_andn2_b64 s[12:13], s[12:13], exec
	s_and_b64 s[18:19], vcc, exec
	s_mov_b32 s17, 0
	s_or_b64 s[12:13], s[12:13], s[18:19]
	s_or_b64 exec, exec, s[14:15]
	v_mov_b32_e32 v3, s17
	s_and_saveexec_b64 s[14:15], s[12:13]
	s_cbranch_execnz .LBB31_1962
	s_branch .LBB31_1963
.LBB31_2062:
	s_mov_b64 s[0:1], 0
	s_branch .LBB31_2073
.LBB31_2063:
	s_trap 2
	s_or_b64 s[2:3], s[2:3], exec
	s_cbranch_execz .LBB31_2009
	s_branch .LBB31_2010
.LBB31_2064:
	s_or_saveexec_b64 s[12:13], s[12:13]
                                        ; implicit-def: $sgpr14
	s_xor_b64 exec, exec, s[12:13]
	s_cbranch_execz .LBB31_1974
.LBB31_2065:
	s_mov_b32 s14, 0x42800000
	v_add_f32_e64 v1, |v10|, s14
	v_and_b32_e32 v1, 0xff, v1
	v_cmp_ne_u32_e32 vcc, 0, v1
	s_andn2_b64 s[10:11], s[10:11], exec
	s_and_b64 s[18:19], vcc, exec
	s_mov_b32 s14, 0
	s_or_b64 s[10:11], s[10:11], s[18:19]
	s_or_b64 exec, exec, s[12:13]
	v_mov_b32_e32 v3, s14
	s_and_saveexec_b64 s[12:13], s[10:11]
	s_cbranch_execnz .LBB31_1975
	s_branch .LBB31_1976
.LBB31_2066:
	s_mov_b64 s[0:1], 0
.LBB31_2067:
	s_and_b64 vcc, exec, s[12:13]
	s_cbranch_vccz .LBB31_2072
; %bb.2068:
	v_cmp_eq_u16_e64 s[12:13], s16, 44
	s_mov_b64 s[0:1], -1
	s_and_b64 vcc, exec, s[12:13]
	s_cbranch_vccz .LBB31_2072
; %bb.2069:
	v_bfe_u32 v1, v12, 23, 8
	s_movk_i32 s0, 0xff
	v_cmp_ne_u32_e32 vcc, s0, v1
	v_mov_b32_e32 v4, 0xff
	s_and_saveexec_b64 s[10:11], vcc
; %bb.2070:
	s_mov_b32 s0, 0x3fffff
	v_and_b32_e32 v5, 0x400000, v12
	v_and_or_b32 v1, v12, s0, v1
	v_cmp_ne_u32_e32 vcc, 0, v5
	v_cmp_ne_u32_e64 s[0:1], 0, v1
	s_and_b64 s[0:1], vcc, s[0:1]
	v_lshrrev_b32_e32 v4, 23, v12
	v_cndmask_b32_e64 v1, 0, 1, s[0:1]
	v_add_u32_e32 v4, v4, v1
; %bb.2071:
	s_or_b64 exec, exec, s[10:11]
	s_mov_b64 s[0:1], 0
	s_mov_b64 s[10:11], -1
	global_store_byte v[2:3], v4, off
.LBB31_2072:
	s_mov_b64 s[12:13], 0
.LBB31_2073:
	s_and_b64 vcc, exec, s[12:13]
	s_cbranch_vccz .LBB31_2076
; %bb.2074:
	v_cmp_eq_u16_e64 s[12:13], s16, 29
	s_mov_b64 s[0:1], -1
	s_and_b64 vcc, exec, s[12:13]
	s_cbranch_vccz .LBB31_2076
; %bb.2075:
	v_trunc_f32_e32 v1, v12
	v_mul_f32_e32 v4, 0x2f800000, v1
	v_floor_f32_e32 v4, v4
	v_fmac_f32_e32 v1, 0xcf800000, v4
	v_cvt_u32_f32_e32 v5, v4
	v_cvt_u32_f32_e32 v4, v1
	s_mov_b64 s[0:1], 0
	s_mov_b64 s[10:11], -1
	s_mov_b64 s[12:13], 0
	global_store_dwordx2 v[2:3], v[4:5], off
	s_branch .LBB31_2077
.LBB31_2076:
	s_mov_b64 s[12:13], 0
.LBB31_2077:
	s_and_b64 vcc, exec, s[12:13]
	s_cbranch_vccz .LBB31_2093
; %bb.2078:
	v_cmp_lt_i16_e64 s[12:13], s16, 27
	s_mov_b64 s[10:11], -1
	s_and_b64 vcc, exec, s[12:13]
	s_cbranch_vccnz .LBB31_2084
; %bb.2079:
	v_cvt_u32_f32_e32 v1, v12
	v_cmp_gt_i16_e64 s[12:13], s16, 27
	s_and_b64 vcc, exec, s[12:13]
	s_cbranch_vccz .LBB31_2081
; %bb.2080:
	s_mov_b64 s[10:11], 0
	global_store_dword v[2:3], v1, off
.LBB31_2081:
	s_andn2_b64 vcc, exec, s[10:11]
	s_cbranch_vccnz .LBB31_2083
; %bb.2082:
	global_store_short v[2:3], v1, off
.LBB31_2083:
	s_mov_b64 s[10:11], 0
.LBB31_2084:
	s_andn2_b64 vcc, exec, s[10:11]
	s_cbranch_vccnz .LBB31_2092
; %bb.2085:
	v_and_b32_e32 v1, 0x7fffffff, v12
	s_mov_b32 s10, 0x43800000
	v_cmp_gt_u32_e32 vcc, s10, v1
	v_mov_b32_e32 v4, 0x80
	s_and_saveexec_b64 s[10:11], vcc
	s_cbranch_execz .LBB31_2091
; %bb.2086:
	s_mov_b32 s12, 0x3bffffff
	v_cmp_lt_u32_e32 vcc, s12, v1
	s_mov_b64 s[12:13], 0
                                        ; implicit-def: $vgpr1
	s_and_saveexec_b64 s[14:15], vcc
	s_xor_b64 s[14:15], exec, s[14:15]
	s_cbranch_execz .LBB31_2189
; %bb.2087:
	v_bfe_u32 v1, v12, 20, 1
	s_mov_b32 s17, 0x487ffff
	v_add3_u32 v1, v12, v1, s17
	s_mov_b64 s[12:13], exec
	v_lshrrev_b32_e32 v1, 20, v1
	s_or_saveexec_b64 s[14:15], s[14:15]
                                        ; implicit-def: $sgpr17
	s_xor_b64 exec, exec, s[14:15]
	s_cbranch_execnz .LBB31_2190
.LBB31_2088:
	s_or_b64 exec, exec, s[14:15]
	v_mov_b32_e32 v4, s17
	s_and_saveexec_b64 s[14:15], s[12:13]
.LBB31_2089:
	v_lshrrev_b32_e32 v4, 24, v12
	s_movk_i32 s12, 0x80
	v_and_or_b32 v4, v4, s12, v1
.LBB31_2090:
	s_or_b64 exec, exec, s[14:15]
.LBB31_2091:
	s_or_b64 exec, exec, s[10:11]
	global_store_byte v[2:3], v4, off
.LBB31_2092:
	s_mov_b64 s[10:11], -1
.LBB31_2093:
	s_mov_b64 s[12:13], 0
.LBB31_2094:
	s_and_b64 vcc, exec, s[12:13]
	s_cbranch_vccz .LBB31_2134
; %bb.2095:
	v_cmp_gt_i16_e64 s[12:13], s16, 22
	s_mov_b64 s[6:7], -1
	s_and_b64 vcc, exec, s[12:13]
	s_cbranch_vccz .LBB31_2127
; %bb.2096:
	v_cmp_lt_i16_e64 s[10:11], s16, 24
	s_and_b64 vcc, exec, s[10:11]
	s_cbranch_vccnz .LBB31_2116
; %bb.2097:
	v_cmp_gt_i16_e64 s[10:11], s16, 24
	s_and_b64 vcc, exec, s[10:11]
	s_cbranch_vccz .LBB31_2105
; %bb.2098:
	v_and_b32_e32 v1, 0x7fffffff, v12
	s_mov_b32 s6, 0x47800000
	v_cmp_gt_u32_e32 vcc, s6, v1
	v_mov_b32_e32 v4, 0x80
	s_and_saveexec_b64 s[6:7], vcc
	s_cbranch_execz .LBB31_2104
; %bb.2099:
	s_mov_b32 s10, 0x37ffffff
	v_cmp_lt_u32_e32 vcc, s10, v1
	s_mov_b64 s[10:11], 0
                                        ; implicit-def: $vgpr1
	s_and_saveexec_b64 s[12:13], vcc
	s_xor_b64 s[12:13], exec, s[12:13]
	s_cbranch_execz .LBB31_2193
; %bb.2100:
	v_bfe_u32 v1, v12, 21, 1
	s_mov_b32 s14, 0x88fffff
	v_add3_u32 v1, v12, v1, s14
	s_mov_b64 s[10:11], exec
	v_lshrrev_b32_e32 v1, 21, v1
	s_or_saveexec_b64 s[12:13], s[12:13]
                                        ; implicit-def: $sgpr14
	s_xor_b64 exec, exec, s[12:13]
	s_cbranch_execnz .LBB31_2194
.LBB31_2101:
	s_or_b64 exec, exec, s[12:13]
	v_mov_b32_e32 v4, s14
	s_and_saveexec_b64 s[12:13], s[10:11]
.LBB31_2102:
	v_lshrrev_b32_e32 v4, 24, v12
	s_movk_i32 s10, 0x80
	v_and_or_b32 v4, v4, s10, v1
.LBB31_2103:
	s_or_b64 exec, exec, s[12:13]
.LBB31_2104:
	s_or_b64 exec, exec, s[6:7]
	s_mov_b64 s[6:7], 0
	global_store_byte v[2:3], v4, off
.LBB31_2105:
	s_and_b64 vcc, exec, s[6:7]
	s_cbranch_vccz .LBB31_2115
; %bb.2106:
	v_and_b32_e32 v4, 0x7fffffff, v12
	s_mov_b32 s6, 0x43f00000
	v_cmp_gt_u32_e32 vcc, s6, v4
                                        ; implicit-def: $vgpr1
	s_and_saveexec_b64 s[6:7], vcc
	s_xor_b64 s[6:7], exec, s[6:7]
	s_cbranch_execz .LBB31_2112
; %bb.2107:
	s_mov_b32 s10, 0x3c7fffff
	v_cmp_lt_u32_e32 vcc, s10, v4
                                        ; implicit-def: $vgpr1
	s_and_saveexec_b64 s[10:11], vcc
	s_xor_b64 s[10:11], exec, s[10:11]
; %bb.2108:
	v_bfe_u32 v1, v12, 20, 1
	s_mov_b32 s12, 0x407ffff
	v_add3_u32 v1, v12, v1, s12
	v_lshrrev_b32_e32 v4, 20, v1
	v_and_b32_e32 v1, 0xff00000, v1
	s_mov_b32 s12, 0x7f00000
	v_mov_b32_e32 v5, 0x7e
	v_cmp_ne_u32_e32 vcc, s12, v1
	v_cndmask_b32_e32 v1, v5, v4, vcc
; %bb.2109:
	s_andn2_saveexec_b64 s[10:11], s[10:11]
; %bb.2110:
	s_mov_b32 s12, 0x46800000
	v_add_f32_e64 v1, |v12|, s12
; %bb.2111:
	s_or_b64 exec, exec, s[10:11]
                                        ; implicit-def: $vgpr4
.LBB31_2112:
	s_andn2_saveexec_b64 s[6:7], s[6:7]
; %bb.2113:
	s_mov_b32 s10, 0x7f800000
	v_mov_b32_e32 v1, 0x7e
	v_mov_b32_e32 v5, 0x7f
	v_cmp_lt_u32_e32 vcc, s10, v4
	v_cndmask_b32_e32 v1, v1, v5, vcc
; %bb.2114:
	s_or_b64 exec, exec, s[6:7]
	v_lshrrev_b32_e32 v4, 24, v12
	s_movk_i32 s6, 0x80
	v_and_or_b32 v1, v4, s6, v1
	global_store_byte v[2:3], v1, off
.LBB31_2115:
	s_mov_b64 s[6:7], 0
.LBB31_2116:
	s_andn2_b64 vcc, exec, s[6:7]
	s_cbranch_vccnz .LBB31_2126
; %bb.2117:
	v_and_b32_e32 v4, 0x7fffffff, v12
	s_mov_b32 s6, 0x47800000
	v_cmp_gt_u32_e32 vcc, s6, v4
                                        ; implicit-def: $vgpr1
	s_and_saveexec_b64 s[6:7], vcc
	s_xor_b64 s[6:7], exec, s[6:7]
	s_cbranch_execz .LBB31_2123
; %bb.2118:
	s_mov_b32 s10, 0x387fffff
	v_cmp_lt_u32_e32 vcc, s10, v4
                                        ; implicit-def: $vgpr1
	s_and_saveexec_b64 s[10:11], vcc
	s_xor_b64 s[10:11], exec, s[10:11]
; %bb.2119:
	v_bfe_u32 v1, v12, 21, 1
	s_mov_b32 s12, 0x80fffff
	v_add3_u32 v1, v12, v1, s12
	v_lshrrev_b32_e32 v1, 21, v1
; %bb.2120:
	s_andn2_saveexec_b64 s[10:11], s[10:11]
; %bb.2121:
	s_mov_b32 s12, 0x43000000
	v_add_f32_e64 v1, |v12|, s12
; %bb.2122:
	s_or_b64 exec, exec, s[10:11]
                                        ; implicit-def: $vgpr4
.LBB31_2123:
	s_andn2_saveexec_b64 s[6:7], s[6:7]
; %bb.2124:
	s_mov_b32 s10, 0x7f800000
	v_mov_b32_e32 v1, 0x7c
	v_mov_b32_e32 v5, 0x7f
	v_cmp_lt_u32_e32 vcc, s10, v4
	v_cndmask_b32_e32 v1, v1, v5, vcc
; %bb.2125:
	s_or_b64 exec, exec, s[6:7]
	v_lshrrev_b32_e32 v4, 24, v12
	s_movk_i32 s6, 0x80
	v_and_or_b32 v1, v4, s6, v1
	global_store_byte v[2:3], v1, off
.LBB31_2126:
	s_mov_b64 s[6:7], 0
	s_mov_b64 s[10:11], -1
.LBB31_2127:
	s_andn2_b64 vcc, exec, s[6:7]
	s_mov_b64 s[6:7], 0
	s_cbranch_vccnz .LBB31_2134
; %bb.2128:
	v_cmp_gt_i16_e64 s[6:7], s16, 14
	s_mov_b64 s[12:13], -1
	s_and_b64 vcc, exec, s[6:7]
	s_cbranch_vccz .LBB31_2132
; %bb.2129:
	v_cmp_eq_u16_e64 s[6:7], s16, 15
	s_mov_b64 s[0:1], -1
	s_and_b64 vcc, exec, s[6:7]
	s_cbranch_vccz .LBB31_2131
; %bb.2130:
	v_bfe_u32 v1, v12, 16, 1
	s_movk_i32 s0, 0x7fff
	v_add3_u32 v1, v12, v1, s0
	v_lshrrev_b32_e32 v1, 16, v1
	v_mov_b32_e32 v4, 0x7fc0
	v_cmp_o_f32_e32 vcc, v12, v12
	v_cndmask_b32_e32 v1, v4, v1, vcc
	global_store_short v[2:3], v1, off
	s_mov_b64 s[0:1], 0
	s_mov_b64 s[10:11], -1
.LBB31_2131:
	s_mov_b64 s[12:13], 0
.LBB31_2132:
	s_mov_b64 s[6:7], 0
	s_and_b64 vcc, exec, s[12:13]
	s_cbranch_vccz .LBB31_2134
; %bb.2133:
	v_cmp_ne_u16_e64 s[0:1], s16, 11
	s_mov_b64 s[6:7], -1
.LBB31_2134:
	s_and_b64 vcc, exec, s[0:1]
	s_cbranch_vccnz .LBB31_2192
; %bb.2135:
	s_andn2_b64 vcc, exec, s[6:7]
	s_cbranch_vccnz .LBB31_2137
.LBB31_2136:
	v_cmp_neq_f32_e32 vcc, 0, v12
	v_cndmask_b32_e64 v1, 0, 1, vcc
	s_mov_b64 s[10:11], -1
	global_store_byte v[2:3], v1, off
.LBB31_2137:
	s_mov_b64 s[0:1], 0
.LBB31_2138:
	s_and_b64 vcc, exec, s[0:1]
	s_cbranch_vccz .LBB31_2177
; %bb.2139:
	v_cmp_lt_i16_e64 s[6:7], s16, 5
	s_mov_b64 s[0:1], -1
	s_and_b64 vcc, exec, s[6:7]
	s_cbranch_vccnz .LBB31_2160
; %bb.2140:
	v_cmp_lt_i16_e64 s[6:7], s16, 8
	s_and_b64 vcc, exec, s[6:7]
	s_cbranch_vccnz .LBB31_2150
; %bb.2141:
	v_cmp_lt_i16_e64 s[6:7], s16, 9
	s_and_b64 vcc, exec, s[6:7]
	s_cbranch_vccnz .LBB31_2147
; %bb.2142:
	v_cmp_gt_i16_e64 s[6:7], s16, 9
	s_and_b64 vcc, exec, s[6:7]
	s_cbranch_vccz .LBB31_2144
; %bb.2143:
	v_mov_b32_e32 v6, 0
	v_cvt_f64_f32_e32 v[4:5], v12
	v_mov_b32_e32 v7, v6
	global_store_dwordx4 v[2:3], v[4:7], off
	s_mov_b64 s[0:1], 0
.LBB31_2144:
	s_andn2_b64 vcc, exec, s[0:1]
	s_cbranch_vccnz .LBB31_2146
; %bb.2145:
	v_mov_b32_e32 v13, 0
	global_store_dwordx2 v[2:3], v[12:13], off
.LBB31_2146:
	s_mov_b64 s[0:1], 0
.LBB31_2147:
	s_andn2_b64 vcc, exec, s[0:1]
	s_cbranch_vccnz .LBB31_2149
; %bb.2148:
	v_cvt_f16_f32_e32 v1, v12
	global_store_dword v[2:3], v1, off
.LBB31_2149:
	s_mov_b64 s[0:1], 0
.LBB31_2150:
	s_andn2_b64 vcc, exec, s[0:1]
	s_cbranch_vccnz .LBB31_2159
; %bb.2151:
	v_cmp_lt_i16_e64 s[6:7], s16, 6
	s_mov_b64 s[0:1], -1
	s_and_b64 vcc, exec, s[6:7]
	s_cbranch_vccnz .LBB31_2157
; %bb.2152:
	v_cmp_gt_i16_e64 s[6:7], s16, 6
	s_and_b64 vcc, exec, s[6:7]
	s_cbranch_vccz .LBB31_2154
; %bb.2153:
	v_cvt_f64_f32_e32 v[4:5], v12
	global_store_dwordx2 v[2:3], v[4:5], off
	s_mov_b64 s[0:1], 0
.LBB31_2154:
	s_andn2_b64 vcc, exec, s[0:1]
	s_cbranch_vccnz .LBB31_2156
; %bb.2155:
	global_store_dword v[2:3], v12, off
.LBB31_2156:
	s_mov_b64 s[0:1], 0
.LBB31_2157:
	s_andn2_b64 vcc, exec, s[0:1]
	s_cbranch_vccnz .LBB31_2159
; %bb.2158:
	v_cvt_f16_f32_e32 v1, v12
	global_store_short v[2:3], v1, off
.LBB31_2159:
	s_mov_b64 s[0:1], 0
.LBB31_2160:
	s_andn2_b64 vcc, exec, s[0:1]
	s_cbranch_vccnz .LBB31_2176
; %bb.2161:
	v_cmp_lt_i16_e64 s[6:7], s16, 2
	s_mov_b64 s[0:1], -1
	s_and_b64 vcc, exec, s[6:7]
	s_cbranch_vccnz .LBB31_2171
; %bb.2162:
	v_cmp_lt_i16_e64 s[6:7], s16, 3
	s_and_b64 vcc, exec, s[6:7]
	s_cbranch_vccnz .LBB31_2168
; %bb.2163:
	v_cmp_gt_i16_e64 s[6:7], s16, 3
	s_and_b64 vcc, exec, s[6:7]
	s_cbranch_vccz .LBB31_2165
; %bb.2164:
	v_trunc_f32_e32 v1, v12
	s_mov_b32 s0, 0x2f800000
	v_mul_f32_e64 v4, |v1|, s0
	v_floor_f32_e32 v4, v4
	s_mov_b32 s0, 0xcf800000
	v_cvt_u32_f32_e32 v5, v4
	v_fma_f32 v4, v4, s0, |v1|
	v_cvt_u32_f32_e32 v4, v4
	v_ashrrev_i32_e32 v1, 31, v1
	v_xor_b32_e32 v5, v5, v1
	s_mov_b64 s[0:1], 0
	v_xor_b32_e32 v4, v4, v1
	v_sub_co_u32_e32 v4, vcc, v4, v1
	v_subb_co_u32_e32 v5, vcc, v5, v1, vcc
	global_store_dwordx2 v[2:3], v[4:5], off
.LBB31_2165:
	s_andn2_b64 vcc, exec, s[0:1]
	s_cbranch_vccnz .LBB31_2167
; %bb.2166:
	v_cvt_i32_f32_e32 v1, v12
	global_store_dword v[2:3], v1, off
.LBB31_2167:
	s_mov_b64 s[0:1], 0
.LBB31_2168:
	s_andn2_b64 vcc, exec, s[0:1]
	s_cbranch_vccnz .LBB31_2170
; %bb.2169:
	v_cvt_i32_f32_e32 v1, v12
	global_store_short v[2:3], v1, off
.LBB31_2170:
	s_mov_b64 s[0:1], 0
.LBB31_2171:
	s_andn2_b64 vcc, exec, s[0:1]
	s_cbranch_vccnz .LBB31_2176
; %bb.2172:
	v_cmp_gt_i16_e64 s[6:7], s16, 0
	s_mov_b64 s[0:1], -1
	s_and_b64 vcc, exec, s[6:7]
	s_cbranch_vccz .LBB31_2174
; %bb.2173:
	v_cvt_i32_f32_e32 v1, v12
	s_mov_b64 s[0:1], 0
	global_store_byte v[2:3], v1, off
.LBB31_2174:
	s_andn2_b64 vcc, exec, s[0:1]
	s_cbranch_vccnz .LBB31_2176
; %bb.2175:
	v_trunc_f32_e32 v1, v12
	s_mov_b32 s0, 0x2f800000
	v_mul_f32_e64 v4, |v1|, s0
	v_floor_f32_e32 v4, v4
	s_mov_b32 s0, 0xcf800000
	v_fma_f32 v4, v4, s0, |v1|
	v_cvt_u32_f32_e32 v4, v4
	v_ashrrev_i32_e32 v1, 31, v1
	v_xor_b32_e32 v4, v4, v1
	v_sub_u32_e32 v1, v4, v1
	global_store_byte v[2:3], v1, off
.LBB31_2176:
	s_mov_b64 s[10:11], -1
.LBB31_2177:
	s_andn2_b64 vcc, exec, s[10:11]
	s_cbranch_vccnz .LBB31_2186
; %bb.2178:
	v_mov_b32_e32 v1, s9
	v_add_co_u32_e32 v0, vcc, s8, v0
	v_addc_co_u32_e32 v1, vcc, 0, v1, vcc
	s_and_b64 vcc, exec, s[4:5]
	s_cbranch_vccnz .LBB31_2187
; %bb.2179:
	v_cmp_gt_i16_e64 s[0:1], s16, 25
	s_mov_b64 s[6:7], -1
	s_mov_b64 s[4:5], 0
	s_and_b64 vcc, exec, s[0:1]
	s_mov_b64 s[0:1], 0
	s_cbranch_vccz .LBB31_2222
; %bb.2180:
	v_cmp_gt_i16_e64 s[0:1], s16, 28
	s_and_b64 vcc, exec, s[0:1]
	s_cbranch_vccz .LBB31_2188
; %bb.2181:
	v_cmp_gt_i16_e64 s[0:1], s16, 43
	s_and_b64 vcc, exec, s[0:1]
	s_cbranch_vccz .LBB31_2191
; %bb.2182:
	v_cmp_gt_i16_e64 s[0:1], s16, 45
	s_and_b64 vcc, exec, s[0:1]
	s_cbranch_vccz .LBB31_2195
; %bb.2183:
	v_cmp_eq_u16_e64 s[6:7], s16, 46
	s_mov_b64 s[0:1], -1
	s_and_b64 vcc, exec, s[6:7]
	s_cbranch_vccz .LBB31_2185
; %bb.2184:
	v_bfe_u32 v2, v14, 16, 1
	s_movk_i32 s0, 0x7fff
	v_add3_u32 v2, v14, v2, s0
	v_lshrrev_b32_e32 v2, 16, v2
	v_mov_b32_e32 v3, 0x7fc0
	v_cmp_o_f32_e32 vcc, v14, v14
	v_cndmask_b32_e32 v2, v3, v2, vcc
	global_store_dword v[0:1], v2, off
	s_mov_b64 s[0:1], 0
.LBB31_2185:
	s_mov_b64 s[6:7], 0
	s_branch .LBB31_2196
.LBB31_2186:
	s_mov_b64 s[0:1], 0
                                        ; implicit-def: $vgpr0_vgpr1
                                        ; implicit-def: $sgpr16
	s_branch .LBB31_1763
.LBB31_2187:
	s_mov_b64 s[4:5], 0
	s_mov_b64 s[0:1], -1
	s_branch .LBB31_1764
.LBB31_2188:
	s_mov_b64 s[0:1], 0
	s_branch .LBB31_2206
.LBB31_2189:
	s_or_saveexec_b64 s[14:15], s[14:15]
                                        ; implicit-def: $sgpr17
	s_xor_b64 exec, exec, s[14:15]
	s_cbranch_execz .LBB31_2088
.LBB31_2190:
	s_mov_b32 s17, 0x46000000
	v_add_f32_e64 v1, |v12|, s17
	v_and_b32_e32 v1, 0xff, v1
	v_cmp_ne_u32_e32 vcc, 0, v1
	s_andn2_b64 s[12:13], s[12:13], exec
	s_and_b64 s[18:19], vcc, exec
	s_mov_b32 s17, 0
	s_or_b64 s[12:13], s[12:13], s[18:19]
	s_or_b64 exec, exec, s[14:15]
	v_mov_b32_e32 v4, s17
	s_and_saveexec_b64 s[14:15], s[12:13]
	s_cbranch_execnz .LBB31_2089
	s_branch .LBB31_2090
.LBB31_2191:
	s_mov_b64 s[0:1], 0
	s_branch .LBB31_2202
.LBB31_2192:
	s_trap 2
	s_or_b64 s[2:3], s[2:3], exec
	s_cbranch_execz .LBB31_2136
	s_branch .LBB31_2137
.LBB31_2193:
	s_or_saveexec_b64 s[12:13], s[12:13]
                                        ; implicit-def: $sgpr14
	s_xor_b64 exec, exec, s[12:13]
	s_cbranch_execz .LBB31_2101
.LBB31_2194:
	s_mov_b32 s14, 0x42800000
	v_add_f32_e64 v1, |v12|, s14
	v_and_b32_e32 v1, 0xff, v1
	v_cmp_ne_u32_e32 vcc, 0, v1
	s_andn2_b64 s[10:11], s[10:11], exec
	s_and_b64 s[18:19], vcc, exec
	s_mov_b32 s14, 0
	s_or_b64 s[10:11], s[10:11], s[18:19]
	s_or_b64 exec, exec, s[12:13]
	v_mov_b32_e32 v4, s14
	s_and_saveexec_b64 s[12:13], s[10:11]
	s_cbranch_execnz .LBB31_2102
	s_branch .LBB31_2103
.LBB31_2195:
	s_mov_b64 s[0:1], 0
.LBB31_2196:
	s_and_b64 vcc, exec, s[6:7]
	s_cbranch_vccz .LBB31_2201
; %bb.2197:
	v_cmp_eq_u16_e64 s[6:7], s16, 44
	s_mov_b64 s[0:1], -1
	s_and_b64 vcc, exec, s[6:7]
	s_cbranch_vccz .LBB31_2201
; %bb.2198:
	v_bfe_u32 v2, v14, 23, 8
	s_movk_i32 s0, 0xff
	v_cmp_ne_u32_e32 vcc, s0, v2
	v_mov_b32_e32 v3, 0xff
	s_and_saveexec_b64 s[6:7], vcc
; %bb.2199:
	s_mov_b32 s0, 0x3fffff
	v_and_b32_e32 v4, 0x400000, v14
	v_and_or_b32 v2, v14, s0, v2
	v_cmp_ne_u32_e32 vcc, 0, v4
	v_cmp_ne_u32_e64 s[0:1], 0, v2
	s_and_b64 s[0:1], vcc, s[0:1]
	v_lshrrev_b32_e32 v3, 23, v14
	v_cndmask_b32_e64 v2, 0, 1, s[0:1]
	v_add_u32_e32 v3, v3, v2
; %bb.2200:
	s_or_b64 exec, exec, s[6:7]
	s_mov_b64 s[0:1], 0
	global_store_byte v[0:1], v3, off
.LBB31_2201:
	s_mov_b64 s[6:7], 0
.LBB31_2202:
	s_and_b64 vcc, exec, s[6:7]
	s_cbranch_vccz .LBB31_2205
; %bb.2203:
	v_cmp_eq_u16_e64 s[6:7], s16, 29
	s_mov_b64 s[0:1], -1
	s_and_b64 vcc, exec, s[6:7]
	s_cbranch_vccz .LBB31_2205
; %bb.2204:
	v_trunc_f32_e32 v2, v14
	v_mul_f32_e32 v3, 0x2f800000, v2
	v_floor_f32_e32 v4, v3
	v_fmac_f32_e32 v2, 0xcf800000, v4
	v_cvt_u32_f32_e32 v3, v4
	v_cvt_u32_f32_e32 v2, v2
	s_mov_b64 s[0:1], 0
	global_store_dwordx2 v[0:1], v[2:3], off
.LBB31_2205:
	s_mov_b64 s[6:7], 0
.LBB31_2206:
	s_and_b64 vcc, exec, s[6:7]
	s_cbranch_vccz .LBB31_2221
; %bb.2207:
	v_cmp_lt_i16_e64 s[8:9], s16, 27
	s_mov_b64 s[6:7], -1
	s_and_b64 vcc, exec, s[8:9]
	s_cbranch_vccnz .LBB31_2213
; %bb.2208:
	v_cmp_gt_i16_e64 s[8:9], s16, 27
	s_and_b64 vcc, exec, s[8:9]
	s_cbranch_vccz .LBB31_2210
; %bb.2209:
	v_cvt_u32_f32_e32 v2, v14
	s_mov_b64 s[6:7], 0
	global_store_dword v[0:1], v2, off
.LBB31_2210:
	s_andn2_b64 vcc, exec, s[6:7]
	s_cbranch_vccnz .LBB31_2212
; %bb.2211:
	v_cvt_u32_f32_e32 v2, v14
	global_store_short v[0:1], v2, off
.LBB31_2212:
	s_mov_b64 s[6:7], 0
.LBB31_2213:
	s_andn2_b64 vcc, exec, s[6:7]
	s_cbranch_vccnz .LBB31_2221
; %bb.2214:
	v_and_b32_e32 v2, 0x7fffffff, v14
	s_mov_b32 s6, 0x43800000
	v_cmp_gt_u32_e32 vcc, s6, v2
	v_mov_b32_e32 v3, 0x80
	s_and_saveexec_b64 s[6:7], vcc
	s_cbranch_execz .LBB31_2220
; %bb.2215:
	s_mov_b32 s8, 0x3bffffff
	v_cmp_lt_u32_e32 vcc, s8, v2
	s_mov_b64 s[8:9], 0
                                        ; implicit-def: $vgpr2
	s_and_saveexec_b64 s[10:11], vcc
	s_xor_b64 s[10:11], exec, s[10:11]
	s_cbranch_execz .LBB31_2264
; %bb.2216:
	v_bfe_u32 v2, v14, 20, 1
	s_mov_b32 s12, 0x487ffff
	v_add3_u32 v2, v14, v2, s12
	s_mov_b64 s[8:9], exec
	v_lshrrev_b32_e32 v2, 20, v2
	s_or_saveexec_b64 s[10:11], s[10:11]
                                        ; implicit-def: $sgpr12
	s_xor_b64 exec, exec, s[10:11]
	s_cbranch_execnz .LBB31_2265
.LBB31_2217:
	s_or_b64 exec, exec, s[10:11]
	v_mov_b32_e32 v3, s12
	s_and_saveexec_b64 s[10:11], s[8:9]
.LBB31_2218:
	v_lshrrev_b32_e32 v3, 24, v14
	s_movk_i32 s8, 0x80
	v_and_or_b32 v3, v3, s8, v2
.LBB31_2219:
	s_or_b64 exec, exec, s[10:11]
.LBB31_2220:
	s_or_b64 exec, exec, s[6:7]
	global_store_byte v[0:1], v3, off
.LBB31_2221:
	s_mov_b64 s[6:7], 0
.LBB31_2222:
	s_and_b64 vcc, exec, s[6:7]
	s_cbranch_vccz .LBB31_2262
; %bb.2223:
	v_cmp_gt_i16_e64 s[6:7], s16, 22
	s_mov_b64 s[4:5], -1
	s_and_b64 vcc, exec, s[6:7]
	s_cbranch_vccz .LBB31_2255
; %bb.2224:
	v_cmp_lt_i16_e64 s[6:7], s16, 24
	s_and_b64 vcc, exec, s[6:7]
	s_cbranch_vccnz .LBB31_2244
; %bb.2225:
	v_cmp_gt_i16_e64 s[6:7], s16, 24
	s_and_b64 vcc, exec, s[6:7]
	s_cbranch_vccz .LBB31_2233
; %bb.2226:
	v_and_b32_e32 v2, 0x7fffffff, v14
	s_mov_b32 s4, 0x47800000
	v_cmp_gt_u32_e32 vcc, s4, v2
	v_mov_b32_e32 v3, 0x80
	s_and_saveexec_b64 s[4:5], vcc
	s_cbranch_execz .LBB31_2232
; %bb.2227:
	s_mov_b32 s6, 0x37ffffff
	v_cmp_lt_u32_e32 vcc, s6, v2
	s_mov_b64 s[6:7], 0
                                        ; implicit-def: $vgpr2
	s_and_saveexec_b64 s[8:9], vcc
	s_xor_b64 s[8:9], exec, s[8:9]
	s_cbranch_execz .LBB31_2267
; %bb.2228:
	v_bfe_u32 v2, v14, 21, 1
	s_mov_b32 s10, 0x88fffff
	v_add3_u32 v2, v14, v2, s10
	s_mov_b64 s[6:7], exec
	v_lshrrev_b32_e32 v2, 21, v2
	s_or_saveexec_b64 s[8:9], s[8:9]
                                        ; implicit-def: $sgpr10
	s_xor_b64 exec, exec, s[8:9]
	s_cbranch_execnz .LBB31_2268
.LBB31_2229:
	s_or_b64 exec, exec, s[8:9]
	v_mov_b32_e32 v3, s10
	s_and_saveexec_b64 s[8:9], s[6:7]
.LBB31_2230:
	v_lshrrev_b32_e32 v3, 24, v14
	s_movk_i32 s6, 0x80
	v_and_or_b32 v3, v3, s6, v2
.LBB31_2231:
	s_or_b64 exec, exec, s[8:9]
.LBB31_2232:
	s_or_b64 exec, exec, s[4:5]
	s_mov_b64 s[4:5], 0
	global_store_byte v[0:1], v3, off
.LBB31_2233:
	s_and_b64 vcc, exec, s[4:5]
	s_cbranch_vccz .LBB31_2243
; %bb.2234:
	v_and_b32_e32 v3, 0x7fffffff, v14
	s_mov_b32 s4, 0x43f00000
	v_cmp_gt_u32_e32 vcc, s4, v3
                                        ; implicit-def: $vgpr2
	s_and_saveexec_b64 s[4:5], vcc
	s_xor_b64 s[4:5], exec, s[4:5]
	s_cbranch_execz .LBB31_2240
; %bb.2235:
	s_mov_b32 s6, 0x3c7fffff
	v_cmp_lt_u32_e32 vcc, s6, v3
                                        ; implicit-def: $vgpr2
	s_and_saveexec_b64 s[6:7], vcc
	s_xor_b64 s[6:7], exec, s[6:7]
; %bb.2236:
	v_bfe_u32 v2, v14, 20, 1
	s_mov_b32 s8, 0x407ffff
	v_add3_u32 v2, v14, v2, s8
	v_lshrrev_b32_e32 v3, 20, v2
	v_and_b32_e32 v2, 0xff00000, v2
	s_mov_b32 s8, 0x7f00000
	v_mov_b32_e32 v4, 0x7e
	v_cmp_ne_u32_e32 vcc, s8, v2
	v_cndmask_b32_e32 v2, v4, v3, vcc
; %bb.2237:
	s_andn2_saveexec_b64 s[6:7], s[6:7]
; %bb.2238:
	s_mov_b32 s8, 0x46800000
	v_add_f32_e64 v2, |v14|, s8
; %bb.2239:
	s_or_b64 exec, exec, s[6:7]
                                        ; implicit-def: $vgpr3
.LBB31_2240:
	s_andn2_saveexec_b64 s[4:5], s[4:5]
; %bb.2241:
	s_mov_b32 s6, 0x7f800000
	v_mov_b32_e32 v2, 0x7e
	v_mov_b32_e32 v4, 0x7f
	v_cmp_lt_u32_e32 vcc, s6, v3
	v_cndmask_b32_e32 v2, v2, v4, vcc
; %bb.2242:
	s_or_b64 exec, exec, s[4:5]
	v_lshrrev_b32_e32 v3, 24, v14
	s_movk_i32 s4, 0x80
	v_and_or_b32 v2, v3, s4, v2
	global_store_byte v[0:1], v2, off
.LBB31_2243:
	s_mov_b64 s[4:5], 0
.LBB31_2244:
	s_andn2_b64 vcc, exec, s[4:5]
	s_cbranch_vccnz .LBB31_2254
; %bb.2245:
	v_and_b32_e32 v3, 0x7fffffff, v14
	s_mov_b32 s4, 0x47800000
	v_cmp_gt_u32_e32 vcc, s4, v3
                                        ; implicit-def: $vgpr2
	s_and_saveexec_b64 s[4:5], vcc
	s_xor_b64 s[4:5], exec, s[4:5]
	s_cbranch_execz .LBB31_2251
; %bb.2246:
	s_mov_b32 s6, 0x387fffff
	v_cmp_lt_u32_e32 vcc, s6, v3
                                        ; implicit-def: $vgpr2
	s_and_saveexec_b64 s[6:7], vcc
	s_xor_b64 s[6:7], exec, s[6:7]
; %bb.2247:
	v_bfe_u32 v2, v14, 21, 1
	s_mov_b32 s8, 0x80fffff
	v_add3_u32 v2, v14, v2, s8
	v_lshrrev_b32_e32 v2, 21, v2
; %bb.2248:
	s_andn2_saveexec_b64 s[6:7], s[6:7]
; %bb.2249:
	s_mov_b32 s8, 0x43000000
	v_add_f32_e64 v2, |v14|, s8
; %bb.2250:
	s_or_b64 exec, exec, s[6:7]
                                        ; implicit-def: $vgpr3
.LBB31_2251:
	s_andn2_saveexec_b64 s[4:5], s[4:5]
; %bb.2252:
	s_mov_b32 s6, 0x7f800000
	v_mov_b32_e32 v2, 0x7c
	v_mov_b32_e32 v4, 0x7f
	v_cmp_lt_u32_e32 vcc, s6, v3
	v_cndmask_b32_e32 v2, v2, v4, vcc
; %bb.2253:
	s_or_b64 exec, exec, s[4:5]
	v_lshrrev_b32_e32 v3, 24, v14
	s_movk_i32 s4, 0x80
	v_and_or_b32 v2, v3, s4, v2
	global_store_byte v[0:1], v2, off
.LBB31_2254:
	s_mov_b64 s[4:5], 0
.LBB31_2255:
	s_andn2_b64 vcc, exec, s[4:5]
	s_mov_b64 s[4:5], 0
	s_cbranch_vccnz .LBB31_2262
; %bb.2256:
	v_cmp_gt_i16_e64 s[4:5], s16, 14
	s_mov_b64 s[6:7], -1
	s_and_b64 vcc, exec, s[4:5]
	s_cbranch_vccz .LBB31_2260
; %bb.2257:
	v_cmp_eq_u16_e64 s[4:5], s16, 15
	s_mov_b64 s[0:1], -1
	s_and_b64 vcc, exec, s[4:5]
	s_cbranch_vccz .LBB31_2259
; %bb.2258:
	v_bfe_u32 v2, v14, 16, 1
	s_movk_i32 s0, 0x7fff
	v_add3_u32 v2, v14, v2, s0
	v_lshrrev_b32_e32 v2, 16, v2
	v_mov_b32_e32 v3, 0x7fc0
	v_cmp_o_f32_e32 vcc, v14, v14
	v_cndmask_b32_e32 v2, v3, v2, vcc
	global_store_short v[0:1], v2, off
	s_mov_b64 s[0:1], 0
.LBB31_2259:
	s_mov_b64 s[6:7], 0
.LBB31_2260:
	s_mov_b64 s[4:5], 0
	s_and_b64 vcc, exec, s[6:7]
	s_cbranch_vccz .LBB31_2262
; %bb.2261:
	v_cmp_ne_u16_e64 s[0:1], s16, 11
	s_mov_b64 s[4:5], -1
.LBB31_2262:
	s_and_b64 vcc, exec, s[0:1]
	s_cbranch_vccnz .LBB31_2266
.LBB31_2263:
	s_mov_b64 s[0:1], 0
	s_branch .LBB31_1764
.LBB31_2264:
	s_or_saveexec_b64 s[10:11], s[10:11]
                                        ; implicit-def: $sgpr12
	s_xor_b64 exec, exec, s[10:11]
	s_cbranch_execz .LBB31_2217
.LBB31_2265:
	s_mov_b32 s12, 0x46000000
	v_add_f32_e64 v2, |v14|, s12
	v_and_b32_e32 v2, 0xff, v2
	v_cmp_ne_u32_e32 vcc, 0, v2
	s_andn2_b64 s[8:9], s[8:9], exec
	s_and_b64 s[14:15], vcc, exec
	s_mov_b32 s12, 0
	s_or_b64 s[8:9], s[8:9], s[14:15]
	s_or_b64 exec, exec, s[10:11]
	v_mov_b32_e32 v3, s12
	s_and_saveexec_b64 s[10:11], s[8:9]
	s_cbranch_execnz .LBB31_2218
	s_branch .LBB31_2219
.LBB31_2266:
	s_mov_b64 s[4:5], 0
	s_or_b64 s[2:3], s[2:3], exec
	s_trap 2
	s_branch .LBB31_2263
.LBB31_2267:
	s_or_saveexec_b64 s[8:9], s[8:9]
                                        ; implicit-def: $sgpr10
	s_xor_b64 exec, exec, s[8:9]
	s_cbranch_execz .LBB31_2229
.LBB31_2268:
	s_mov_b32 s10, 0x42800000
	v_add_f32_e64 v2, |v14|, s10
	v_and_b32_e32 v2, 0xff, v2
	v_cmp_ne_u32_e32 vcc, 0, v2
	s_andn2_b64 s[6:7], s[6:7], exec
	s_and_b64 s[12:13], vcc, exec
	s_mov_b32 s10, 0
	s_or_b64 s[6:7], s[6:7], s[12:13]
	s_or_b64 exec, exec, s[8:9]
	v_mov_b32_e32 v3, s10
	s_and_saveexec_b64 s[8:9], s[6:7]
	s_cbranch_execnz .LBB31_2230
	s_branch .LBB31_2231
	.section	.rodata,"a",@progbits
	.p2align	6, 0x0
	.amdhsa_kernel _ZN2at6native32elementwise_kernel_manual_unrollILi128ELi4EZNS0_15gpu_kernel_implINS0_13AUnaryFunctorIfffZZZNS0_12_GLOBAL__N_133hermite_polynomial_he_kernel_cudaERNS_18TensorIteratorBaseEENKUlvE_clEvENKUlvE0_clEvEUlffE_EEEEvS6_RKT_EUlibE0_EEviT1_
		.amdhsa_group_segment_fixed_size 0
		.amdhsa_private_segment_fixed_size 0
		.amdhsa_kernarg_size 368
		.amdhsa_user_sgpr_count 6
		.amdhsa_user_sgpr_private_segment_buffer 1
		.amdhsa_user_sgpr_dispatch_ptr 0
		.amdhsa_user_sgpr_queue_ptr 0
		.amdhsa_user_sgpr_kernarg_segment_ptr 1
		.amdhsa_user_sgpr_dispatch_id 0
		.amdhsa_user_sgpr_flat_scratch_init 0
		.amdhsa_user_sgpr_kernarg_preload_length 0
		.amdhsa_user_sgpr_kernarg_preload_offset 0
		.amdhsa_user_sgpr_private_segment_size 0
		.amdhsa_uses_dynamic_stack 0
		.amdhsa_system_sgpr_private_segment_wavefront_offset 0
		.amdhsa_system_sgpr_workgroup_id_x 1
		.amdhsa_system_sgpr_workgroup_id_y 0
		.amdhsa_system_sgpr_workgroup_id_z 0
		.amdhsa_system_sgpr_workgroup_info 0
		.amdhsa_system_vgpr_workitem_id 0
		.amdhsa_next_free_vgpr 20
		.amdhsa_next_free_sgpr 78
		.amdhsa_accum_offset 20
		.amdhsa_reserve_vcc 1
		.amdhsa_reserve_flat_scratch 0
		.amdhsa_float_round_mode_32 0
		.amdhsa_float_round_mode_16_64 0
		.amdhsa_float_denorm_mode_32 3
		.amdhsa_float_denorm_mode_16_64 3
		.amdhsa_dx10_clamp 1
		.amdhsa_ieee_mode 1
		.amdhsa_fp16_overflow 0
		.amdhsa_tg_split 0
		.amdhsa_exception_fp_ieee_invalid_op 0
		.amdhsa_exception_fp_denorm_src 0
		.amdhsa_exception_fp_ieee_div_zero 0
		.amdhsa_exception_fp_ieee_overflow 0
		.amdhsa_exception_fp_ieee_underflow 0
		.amdhsa_exception_fp_ieee_inexact 0
		.amdhsa_exception_int_div_zero 0
	.end_amdhsa_kernel
	.section	.text._ZN2at6native32elementwise_kernel_manual_unrollILi128ELi4EZNS0_15gpu_kernel_implINS0_13AUnaryFunctorIfffZZZNS0_12_GLOBAL__N_133hermite_polynomial_he_kernel_cudaERNS_18TensorIteratorBaseEENKUlvE_clEvENKUlvE0_clEvEUlffE_EEEEvS6_RKT_EUlibE0_EEviT1_,"axG",@progbits,_ZN2at6native32elementwise_kernel_manual_unrollILi128ELi4EZNS0_15gpu_kernel_implINS0_13AUnaryFunctorIfffZZZNS0_12_GLOBAL__N_133hermite_polynomial_he_kernel_cudaERNS_18TensorIteratorBaseEENKUlvE_clEvENKUlvE0_clEvEUlffE_EEEEvS6_RKT_EUlibE0_EEviT1_,comdat
.Lfunc_end31:
	.size	_ZN2at6native32elementwise_kernel_manual_unrollILi128ELi4EZNS0_15gpu_kernel_implINS0_13AUnaryFunctorIfffZZZNS0_12_GLOBAL__N_133hermite_polynomial_he_kernel_cudaERNS_18TensorIteratorBaseEENKUlvE_clEvENKUlvE0_clEvEUlffE_EEEEvS6_RKT_EUlibE0_EEviT1_, .Lfunc_end31-_ZN2at6native32elementwise_kernel_manual_unrollILi128ELi4EZNS0_15gpu_kernel_implINS0_13AUnaryFunctorIfffZZZNS0_12_GLOBAL__N_133hermite_polynomial_he_kernel_cudaERNS_18TensorIteratorBaseEENKUlvE_clEvENKUlvE0_clEvEUlffE_EEEEvS6_RKT_EUlibE0_EEviT1_
                                        ; -- End function
	.section	.AMDGPU.csdata,"",@progbits
; Kernel info:
; codeLenInByte = 42700
; NumSgprs: 82
; NumVgprs: 20
; NumAgprs: 0
; TotalNumVgprs: 20
; ScratchSize: 0
; MemoryBound: 1
; FloatMode: 240
; IeeeMode: 1
; LDSByteSize: 0 bytes/workgroup (compile time only)
; SGPRBlocks: 10
; VGPRBlocks: 2
; NumSGPRsForWavesPerEU: 82
; NumVGPRsForWavesPerEU: 20
; AccumOffset: 20
; Occupancy: 8
; WaveLimiterHint : 1
; COMPUTE_PGM_RSRC2:SCRATCH_EN: 0
; COMPUTE_PGM_RSRC2:USER_SGPR: 6
; COMPUTE_PGM_RSRC2:TRAP_HANDLER: 0
; COMPUTE_PGM_RSRC2:TGID_X_EN: 1
; COMPUTE_PGM_RSRC2:TGID_Y_EN: 0
; COMPUTE_PGM_RSRC2:TGID_Z_EN: 0
; COMPUTE_PGM_RSRC2:TIDIG_COMP_CNT: 0
; COMPUTE_PGM_RSRC3_GFX90A:ACCUM_OFFSET: 4
; COMPUTE_PGM_RSRC3_GFX90A:TG_SPLIT: 0
	.section	.text._ZN2at6native29vectorized_elementwise_kernelILi16ENS0_13BUnaryFunctorIfffZZZNS0_12_GLOBAL__N_133hermite_polynomial_he_kernel_cudaERNS_18TensorIteratorBaseEENKUlvE_clEvENKUlvE0_clEvEUlffE_EESt5arrayIPcLm2EEEEviT0_T1_,"axG",@progbits,_ZN2at6native29vectorized_elementwise_kernelILi16ENS0_13BUnaryFunctorIfffZZZNS0_12_GLOBAL__N_133hermite_polynomial_he_kernel_cudaERNS_18TensorIteratorBaseEENKUlvE_clEvENKUlvE0_clEvEUlffE_EESt5arrayIPcLm2EEEEviT0_T1_,comdat
	.globl	_ZN2at6native29vectorized_elementwise_kernelILi16ENS0_13BUnaryFunctorIfffZZZNS0_12_GLOBAL__N_133hermite_polynomial_he_kernel_cudaERNS_18TensorIteratorBaseEENKUlvE_clEvENKUlvE0_clEvEUlffE_EESt5arrayIPcLm2EEEEviT0_T1_ ; -- Begin function _ZN2at6native29vectorized_elementwise_kernelILi16ENS0_13BUnaryFunctorIfffZZZNS0_12_GLOBAL__N_133hermite_polynomial_he_kernel_cudaERNS_18TensorIteratorBaseEENKUlvE_clEvENKUlvE0_clEvEUlffE_EESt5arrayIPcLm2EEEEviT0_T1_
	.p2align	8
	.type	_ZN2at6native29vectorized_elementwise_kernelILi16ENS0_13BUnaryFunctorIfffZZZNS0_12_GLOBAL__N_133hermite_polynomial_he_kernel_cudaERNS_18TensorIteratorBaseEENKUlvE_clEvENKUlvE0_clEvEUlffE_EESt5arrayIPcLm2EEEEviT0_T1_,@function
_ZN2at6native29vectorized_elementwise_kernelILi16ENS0_13BUnaryFunctorIfffZZZNS0_12_GLOBAL__N_133hermite_polynomial_he_kernel_cudaERNS_18TensorIteratorBaseEENKUlvE_clEvENKUlvE0_clEvEUlffE_EESt5arrayIPcLm2EEEEviT0_T1_: ; @_ZN2at6native29vectorized_elementwise_kernelILi16ENS0_13BUnaryFunctorIfffZZZNS0_12_GLOBAL__N_133hermite_polynomial_he_kernel_cudaERNS_18TensorIteratorBaseEENKUlvE_clEvENKUlvE0_clEvEUlffE_EESt5arrayIPcLm2EEEEviT0_T1_
; %bb.0:
	s_load_dword s0, s[4:5], 0x0
	s_load_dword s2, s[4:5], 0x8
	s_load_dwordx4 s[8:11], s[4:5], 0x10
	s_lshl_b32 s6, s6, 10
	s_waitcnt lgkmcnt(0)
	s_sub_i32 s18, s0, s6
	s_mov_b64 s[0:1], -1
	s_cmpk_gt_i32 s18, 0x3ff
	v_trunc_f32_e32 v1, s2
	s_cbranch_scc0 .LBB32_38
; %bb.1:
	s_ashr_i32 s7, s6, 31
	s_lshl_b64 s[4:5], s[6:7], 2
	s_add_u32 s0, s10, s4
	s_addc_u32 s1, s11, s5
	v_lshlrev_b32_e32 v10, 4, v0
	global_load_dwordx4 v[2:5], v10, s[0:1]
	s_mov_b32 s0, 0x2f800000
	v_mul_f32_e64 v6, |v1|, s0
	v_floor_f32_e32 v6, v6
	s_mov_b32 s0, 0xcf800000
	v_fma_f32 v7, v6, s0, |v1|
	v_cvt_u32_f32_e32 v7, v7
	v_cvt_u32_f32_e32 v8, v6
	v_readfirstlane_b32 s2, v1
	s_ashr_i32 s2, s2, 31
	v_readfirstlane_b32 s0, v7
	v_readfirstlane_b32 s1, v8
	s_mov_b32 s3, s2
	s_xor_b64 s[0:1], s[0:1], s[2:3]
	s_sub_u32 s12, s0, s2
	s_subb_u32 s13, s1, s2
	v_mov_b32_e32 v8, 0x81
	v_cmp_lt_i64_e64 s[2:3], s[12:13], 0
	v_mov_b32_e32 v9, 0
	v_mov_b32_e32 v6, 0
	v_cmp_gt_i64_e64 s[16:17], s[12:13], -1
	v_cmp_lt_u64_e64 s[0:1], s[12:13], v[8:9]
	s_and_b64 vcc, exec, s[2:3]
	v_cmp_lt_i64_e64 s[14:15], s[12:13], 1
	s_cbranch_vccnz .LBB32_10
; %bb.2:
	s_and_b64 vcc, exec, s[14:15]
	v_mov_b32_e32 v6, 1.0
	s_cbranch_vccnz .LBB32_10
; %bb.3:
	s_cmp_lg_u64 s[12:13], 1
	s_cbranch_scc0 .LBB32_8
; %bb.4:
	s_andn2_b64 vcc, exec, s[0:1]
	v_mov_b32_e32 v6, 0x7fc00000
	s_cbranch_vccnz .LBB32_7
; %bb.5:
	s_mov_b64 s[2:3], 1
	v_mov_b32_e32 v7, 1.0
	s_waitcnt vmcnt(0)
	v_mov_b32_e32 v6, v2
.LBB32_6:                               ; =>This Inner Loop Header: Depth=1
	s_flbit_i32_b32 s7, s3
	s_min_u32 s7, s7, 32
	s_lshl_b64 s[20:21], s[2:3], s7
	s_min_u32 s19, s20, 1
	s_or_b32 s19, s21, s19
	v_cvt_f32_u32_e32 v8, s19
	s_sub_i32 s7, 32, s7
	s_add_u32 s2, s2, 1
	s_addc_u32 s3, s3, 0
	v_ldexp_f32 v8, v8, s7
	v_mul_f32_e32 v8, v7, v8
	s_cmp_lg_u64 s[12:13], s[2:3]
	v_mov_b32_e32 v7, v6
	v_fma_f32 v6, v2, v6, -v8
	s_cbranch_scc1 .LBB32_6
.LBB32_7:
	s_cbranch_execz .LBB32_9
	s_branch .LBB32_10
.LBB32_8:
                                        ; implicit-def: $vgpr6
.LBB32_9:
	s_waitcnt vmcnt(0)
	v_mov_b32_e32 v6, v2
.LBB32_10:
	s_waitcnt vmcnt(0)
	v_cndmask_b32_e64 v2, 0, 1, s[16:17]
	v_cmp_ne_u32_e64 s[2:3], 1, v2
	s_andn2_b64 vcc, exec, s[16:17]
	v_mov_b32_e32 v7, 0
	s_cbranch_vccnz .LBB32_19
; %bb.11:
	s_and_b64 vcc, exec, s[14:15]
	v_mov_b32_e32 v7, 1.0
	s_cbranch_vccnz .LBB32_19
; %bb.12:
	s_cmp_lg_u64 s[12:13], 1
	s_cbranch_scc0 .LBB32_17
; %bb.13:
	s_andn2_b64 vcc, exec, s[0:1]
	v_mov_b32_e32 v7, 0x7fc00000
	s_cbranch_vccnz .LBB32_16
; %bb.14:
	s_mov_b64 s[16:17], 1
	v_mov_b32_e32 v2, 1.0
	v_mov_b32_e32 v7, v3
.LBB32_15:                              ; =>This Inner Loop Header: Depth=1
	s_flbit_i32_b32 s7, s17
	s_min_u32 s7, s7, 32
	s_lshl_b64 s[20:21], s[16:17], s7
	s_min_u32 s19, s20, 1
	s_or_b32 s19, s21, s19
	v_cvt_f32_u32_e32 v8, s19
	s_sub_i32 s7, 32, s7
	s_add_u32 s16, s16, 1
	s_addc_u32 s17, s17, 0
	v_ldexp_f32 v8, v8, s7
	v_mul_f32_e32 v8, v2, v8
	s_cmp_lg_u64 s[12:13], s[16:17]
	v_mov_b32_e32 v2, v7
	v_fma_f32 v7, v3, v7, -v8
	s_cbranch_scc1 .LBB32_15
.LBB32_16:
	s_cbranch_execz .LBB32_18
	s_branch .LBB32_19
.LBB32_17:
.LBB32_18:
	v_mov_b32_e32 v7, v3
.LBB32_19:
	s_and_b64 vcc, exec, s[2:3]
	v_mov_b32_e32 v8, 0
	s_cbranch_vccnz .LBB32_28
; %bb.20:
	s_and_b64 vcc, exec, s[14:15]
	v_mov_b32_e32 v8, 1.0
	s_cbranch_vccnz .LBB32_28
; %bb.21:
	s_cmp_lg_u64 s[12:13], 1
	s_cbranch_scc0 .LBB32_26
; %bb.22:
	s_andn2_b64 vcc, exec, s[0:1]
	v_mov_b32_e32 v8, 0x7fc00000
	s_cbranch_vccnz .LBB32_25
; %bb.23:
	s_mov_b64 s[16:17], 1
	v_mov_b32_e32 v2, 1.0
	v_mov_b32_e32 v8, v4
.LBB32_24:                              ; =>This Inner Loop Header: Depth=1
	s_flbit_i32_b32 s7, s17
	s_min_u32 s7, s7, 32
	s_lshl_b64 s[20:21], s[16:17], s7
	s_min_u32 s19, s20, 1
	s_or_b32 s19, s21, s19
	v_mov_b32_e32 v3, v8
	v_cvt_f32_u32_e32 v8, s19
	s_sub_i32 s7, 32, s7
	s_add_u32 s16, s16, 1
	s_addc_u32 s17, s17, 0
	v_ldexp_f32 v8, v8, s7
	v_mul_f32_e32 v8, v2, v8
	s_cmp_lg_u64 s[12:13], s[16:17]
	v_mov_b32_e32 v2, v3
	v_fma_f32 v8, v4, v3, -v8
	s_cbranch_scc1 .LBB32_24
.LBB32_25:
	s_cbranch_execz .LBB32_27
	s_branch .LBB32_28
.LBB32_26:
.LBB32_27:
	v_mov_b32_e32 v8, v4
.LBB32_28:
	s_and_b64 vcc, exec, s[2:3]
	v_mov_b32_e32 v9, 0
	s_cbranch_vccnz .LBB32_37
; %bb.29:
	s_and_b64 vcc, exec, s[14:15]
	v_mov_b32_e32 v9, 1.0
	s_cbranch_vccnz .LBB32_37
; %bb.30:
	s_cmp_lg_u64 s[12:13], 1
	s_cbranch_scc0 .LBB32_35
; %bb.31:
	s_andn2_b64 vcc, exec, s[0:1]
	v_mov_b32_e32 v9, 0x7fc00000
	s_cbranch_vccnz .LBB32_34
; %bb.32:
	s_mov_b64 s[0:1], 1
	v_mov_b32_e32 v2, 1.0
	v_mov_b32_e32 v9, v5
.LBB32_33:                              ; =>This Inner Loop Header: Depth=1
	s_flbit_i32_b32 s2, s1
	s_min_u32 s7, s2, 32
	s_lshl_b64 s[2:3], s[0:1], s7
	s_min_u32 s2, s2, 1
	s_or_b32 s2, s3, s2
	v_cvt_f32_u32_e32 v4, s2
	s_sub_i32 s7, 32, s7
	s_add_u32 s0, s0, 1
	v_mov_b32_e32 v3, v9
	v_ldexp_f32 v4, v4, s7
	s_addc_u32 s1, s1, 0
	v_mul_f32_e32 v4, v2, v4
	s_cmp_lg_u64 s[12:13], s[0:1]
	v_mov_b32_e32 v2, v9
	v_fma_f32 v9, v5, v3, -v4
	s_cbranch_scc1 .LBB32_33
.LBB32_34:
	s_cbranch_execz .LBB32_36
	s_branch .LBB32_37
.LBB32_35:
.LBB32_36:
	v_mov_b32_e32 v9, v5
.LBB32_37:
	s_add_u32 s0, s8, s4
	s_addc_u32 s1, s9, s5
	global_store_dwordx4 v10, v[6:9], s[0:1]
	s_mov_b64 s[0:1], 0
.LBB32_38:
	s_and_b64 vcc, exec, s[0:1]
	s_cbranch_vccz .LBB32_96
; %bb.39:
	v_cmp_gt_i32_e64 s[0:1], s18, v0
	v_mov_b32_e32 v9, 0
	v_or_b32_e32 v6, s6, v0
	v_mov_b32_e32 v10, 0
	v_mov_b32_e32 v2, v0
	s_and_saveexec_b64 s[2:3], s[0:1]
	s_cbranch_execz .LBB32_41
; %bb.40:
	v_mov_b32_e32 v7, 0
	v_lshlrev_b64 v[2:3], 2, v[6:7]
	v_mov_b32_e32 v4, s11
	v_add_co_u32_e32 v2, vcc, s10, v2
	v_addc_co_u32_e32 v3, vcc, v4, v3, vcc
	global_load_dword v10, v[2:3], off
	v_or_b32_e32 v2, 0x100, v0
.LBB32_41:
	s_or_b64 exec, exec, s[2:3]
	v_cmp_gt_i32_e32 vcc, s18, v2
	s_and_saveexec_b64 s[2:3], vcc
	s_cbranch_execz .LBB32_43
; %bb.42:
	v_add_u32_e32 v4, s6, v2
	v_mov_b32_e32 v5, 0
	v_lshlrev_b64 v[4:5], 2, v[4:5]
	v_mov_b32_e32 v3, s11
	v_add_co_u32_e32 v4, vcc, s10, v4
	v_addc_co_u32_e32 v5, vcc, v3, v5, vcc
	global_load_dword v9, v[4:5], off
	v_add_u32_e32 v2, 0x100, v2
.LBB32_43:
	s_or_b64 exec, exec, s[2:3]
	v_cmp_gt_i32_e32 vcc, s18, v2
	v_mov_b32_e32 v7, 0
	v_mov_b32_e32 v8, 0
	s_and_saveexec_b64 s[2:3], vcc
	s_cbranch_execz .LBB32_45
; %bb.44:
	v_add_u32_e32 v4, s6, v2
	v_mov_b32_e32 v5, 0
	v_lshlrev_b64 v[4:5], 2, v[4:5]
	v_mov_b32_e32 v3, s11
	v_add_co_u32_e32 v4, vcc, s10, v4
	v_addc_co_u32_e32 v5, vcc, v3, v5, vcc
	global_load_dword v8, v[4:5], off
	v_add_u32_e32 v2, 0x100, v2
.LBB32_45:
	s_or_b64 exec, exec, s[2:3]
	v_cmp_gt_i32_e32 vcc, s18, v2
	s_and_saveexec_b64 s[2:3], vcc
	s_cbranch_execz .LBB32_47
; %bb.46:
	v_add_u32_e32 v2, s6, v2
	v_mov_b32_e32 v3, 0
	v_lshlrev_b64 v[2:3], 2, v[2:3]
	v_mov_b32_e32 v4, s11
	v_add_co_u32_e32 v2, vcc, s10, v2
	v_addc_co_u32_e32 v3, vcc, v4, v3, vcc
	global_load_dword v7, v[2:3], off
.LBB32_47:
	s_or_b64 exec, exec, s[2:3]
	s_mov_b32 s2, 0x2f800000
	v_mul_f32_e64 v2, |v1|, s2
	v_floor_f32_e32 v2, v2
	s_mov_b32 s2, 0xcf800000
	v_cvt_u32_f32_e32 v3, v2
	v_fma_f32 v2, v2, s2, |v1|
	v_cvt_u32_f32_e32 v2, v2
	v_readfirstlane_b32 s4, v1
	s_ashr_i32 s4, s4, 31
	v_readfirstlane_b32 s3, v3
	v_readfirstlane_b32 s2, v2
	s_mov_b32 s5, s4
	s_xor_b64 s[2:3], s[2:3], s[4:5]
	s_sub_u32 s10, s2, s4
	s_subb_u32 s11, s3, s4
	v_mov_b32_e32 v2, 0x81
	v_cmp_gt_i64_e64 s[4:5], s[10:11], -1
	v_mov_b32_e32 v3, 0
	v_cndmask_b32_e64 v1, 0, 1, s[4:5]
	v_cmp_lt_u64_e64 s[2:3], s[10:11], v[2:3]
	v_cmp_ne_u32_e64 s[4:5], 1, v1
                                        ; implicit-def: $vgpr2_vgpr3_vgpr4_vgpr5
	s_and_saveexec_b64 s[12:13], s[0:1]
	s_cbranch_execz .LBB32_58
; %bb.48:
	s_and_b64 vcc, exec, s[4:5]
	v_mov_b32_e32 v2, 0
	s_cbranch_vccnz .LBB32_58
; %bb.49:
	v_cmp_lt_i64_e64 s[14:15], s[10:11], 1
	s_and_b64 vcc, exec, s[14:15]
	v_mov_b32_e32 v2, 1.0
	s_cbranch_vccnz .LBB32_58
; %bb.50:
	s_cmp_lg_u64 s[10:11], 1
	s_cbranch_scc0 .LBB32_55
; %bb.51:
	s_andn2_b64 vcc, exec, s[2:3]
	v_mov_b32_e32 v2, 0x7fc00000
	s_cbranch_vccnz .LBB32_54
; %bb.52:
	s_mov_b64 s[14:15], 1
	v_mov_b32_e32 v1, 1.0
	s_waitcnt vmcnt(0)
	v_mov_b32_e32 v2, v10
.LBB32_53:                              ; =>This Inner Loop Header: Depth=1
	s_flbit_i32_b32 s7, s15
	s_min_u32 s7, s7, 32
	s_lshl_b64 s[16:17], s[14:15], s7
	s_min_u32 s16, s16, 1
	s_or_b32 s16, s17, s16
	v_cvt_f32_u32_e32 v3, s16
	s_sub_i32 s7, 32, s7
	s_add_u32 s14, s14, 1
	s_addc_u32 s15, s15, 0
	v_ldexp_f32 v3, v3, s7
	v_mul_f32_e32 v3, v1, v3
	s_cmp_lg_u64 s[10:11], s[14:15]
	v_mov_b32_e32 v1, v2
	v_fma_f32 v2, v10, v2, -v3
	s_cbranch_scc1 .LBB32_53
.LBB32_54:
	s_mov_b64 s[14:15], 0
	s_branch .LBB32_56
.LBB32_55:
	s_mov_b64 s[14:15], -1
                                        ; implicit-def: $vgpr2
.LBB32_56:
	s_andn2_b64 vcc, exec, s[14:15]
	s_cbranch_vccnz .LBB32_58
; %bb.57:
	s_waitcnt vmcnt(0)
	v_mov_b32_e32 v2, v10
.LBB32_58:
	s_or_b64 exec, exec, s[12:13]
	v_or_b32_e32 v1, 0x100, v0
	v_cmp_gt_i32_e32 vcc, s18, v1
	s_and_saveexec_b64 s[12:13], vcc
	s_cbranch_execz .LBB32_69
; %bb.59:
	s_and_b64 vcc, exec, s[4:5]
	v_mov_b32_e32 v3, 0
	s_cbranch_vccnz .LBB32_69
; %bb.60:
	v_cmp_lt_i64_e64 s[14:15], s[10:11], 1
	s_and_b64 vcc, exec, s[14:15]
	v_mov_b32_e32 v3, 1.0
	s_cbranch_vccnz .LBB32_69
; %bb.61:
	s_cmp_lg_u64 s[10:11], 1
	s_cbranch_scc0 .LBB32_66
; %bb.62:
	s_andn2_b64 vcc, exec, s[2:3]
	v_mov_b32_e32 v3, 0x7fc00000
	s_cbranch_vccnz .LBB32_65
; %bb.63:
	s_mov_b64 s[14:15], 1
	s_waitcnt vmcnt(0)
	v_mov_b32_e32 v10, 1.0
	v_mov_b32_e32 v3, v9
.LBB32_64:                              ; =>This Inner Loop Header: Depth=1
	s_flbit_i32_b32 s7, s15
	s_min_u32 s7, s7, 32
	s_lshl_b64 s[16:17], s[14:15], s7
	s_min_u32 s16, s16, 1
	s_or_b32 s16, s17, s16
	v_cvt_f32_u32_e32 v11, s16
	s_sub_i32 s7, 32, s7
	s_add_u32 s14, s14, 1
	s_addc_u32 s15, s15, 0
	v_ldexp_f32 v11, v11, s7
	v_mul_f32_e32 v11, v10, v11
	s_cmp_lg_u64 s[10:11], s[14:15]
	v_mov_b32_e32 v10, v3
	v_fma_f32 v3, v9, v3, -v11
	s_cbranch_scc1 .LBB32_64
.LBB32_65:
	s_mov_b64 s[14:15], 0
	s_branch .LBB32_67
.LBB32_66:
	s_mov_b64 s[14:15], -1
.LBB32_67:
	s_andn2_b64 vcc, exec, s[14:15]
	s_cbranch_vccnz .LBB32_69
; %bb.68:
	s_waitcnt vmcnt(0)
	v_mov_b32_e32 v3, v9
.LBB32_69:
	s_or_b64 exec, exec, s[12:13]
	s_waitcnt vmcnt(0)
	v_or_b32_e32 v9, 0x200, v0
	v_cmp_gt_i32_e32 vcc, s18, v9
	s_and_saveexec_b64 s[12:13], vcc
	s_cbranch_execz .LBB32_80
; %bb.70:
	s_and_b64 vcc, exec, s[4:5]
	v_mov_b32_e32 v4, 0
	s_cbranch_vccnz .LBB32_80
; %bb.71:
	v_cmp_lt_i64_e64 s[14:15], s[10:11], 1
	s_and_b64 vcc, exec, s[14:15]
	v_mov_b32_e32 v4, 1.0
	s_cbranch_vccnz .LBB32_80
; %bb.72:
	s_cmp_lg_u64 s[10:11], 1
	s_cbranch_scc0 .LBB32_77
; %bb.73:
	s_andn2_b64 vcc, exec, s[2:3]
	v_mov_b32_e32 v4, 0x7fc00000
	s_cbranch_vccnz .LBB32_76
; %bb.74:
	s_mov_b64 s[14:15], 1
	v_mov_b32_e32 v9, 1.0
	v_mov_b32_e32 v4, v8
.LBB32_75:                              ; =>This Inner Loop Header: Depth=1
	s_flbit_i32_b32 s7, s15
	s_min_u32 s7, s7, 32
	s_lshl_b64 s[16:17], s[14:15], s7
	s_min_u32 s16, s16, 1
	s_or_b32 s16, s17, s16
	v_cvt_f32_u32_e32 v10, s16
	s_sub_i32 s7, 32, s7
	s_add_u32 s14, s14, 1
	s_addc_u32 s15, s15, 0
	v_ldexp_f32 v10, v10, s7
	v_mul_f32_e32 v10, v9, v10
	s_cmp_lg_u64 s[10:11], s[14:15]
	v_mov_b32_e32 v9, v4
	v_fma_f32 v4, v8, v4, -v10
	s_cbranch_scc1 .LBB32_75
.LBB32_76:
	s_mov_b64 s[14:15], 0
	s_branch .LBB32_78
.LBB32_77:
	s_mov_b64 s[14:15], -1
.LBB32_78:
	s_andn2_b64 vcc, exec, s[14:15]
	s_cbranch_vccnz .LBB32_80
; %bb.79:
	v_mov_b32_e32 v4, v8
.LBB32_80:
	s_or_b64 exec, exec, s[12:13]
	v_or_b32_e32 v8, 0x300, v0
	v_cmp_gt_i32_e32 vcc, s18, v8
	s_and_saveexec_b64 s[12:13], vcc
	s_cbranch_execz .LBB32_91
; %bb.81:
	s_and_b64 vcc, exec, s[4:5]
	v_mov_b32_e32 v5, 0
	s_cbranch_vccnz .LBB32_91
; %bb.82:
	v_cmp_lt_i64_e64 s[4:5], s[10:11], 1
	s_and_b64 vcc, exec, s[4:5]
	v_mov_b32_e32 v5, 1.0
	s_cbranch_vccnz .LBB32_91
; %bb.83:
	s_cmp_lg_u64 s[10:11], 1
	s_cbranch_scc0 .LBB32_88
; %bb.84:
	s_andn2_b64 vcc, exec, s[2:3]
	v_mov_b32_e32 v5, 0x7fc00000
	s_cbranch_vccnz .LBB32_87
; %bb.85:
	s_mov_b64 s[2:3], 1
	v_mov_b32_e32 v8, 1.0
	v_mov_b32_e32 v5, v7
.LBB32_86:                              ; =>This Inner Loop Header: Depth=1
	s_flbit_i32_b32 s4, s3
	s_min_u32 s7, s4, 32
	s_lshl_b64 s[4:5], s[2:3], s7
	s_min_u32 s4, s4, 1
	s_or_b32 s4, s5, s4
	v_cvt_f32_u32_e32 v9, s4
	s_sub_i32 s7, 32, s7
	s_add_u32 s2, s2, 1
	s_addc_u32 s3, s3, 0
	v_ldexp_f32 v9, v9, s7
	v_mul_f32_e32 v9, v8, v9
	s_cmp_lg_u64 s[10:11], s[2:3]
	v_mov_b32_e32 v8, v5
	v_fma_f32 v5, v7, v5, -v9
	s_cbranch_scc1 .LBB32_86
.LBB32_87:
	s_mov_b64 s[2:3], 0
	s_branch .LBB32_89
.LBB32_88:
	s_mov_b64 s[2:3], -1
.LBB32_89:
	s_andn2_b64 vcc, exec, s[2:3]
	s_cbranch_vccnz .LBB32_91
; %bb.90:
	v_mov_b32_e32 v5, v7
.LBB32_91:
	s_or_b64 exec, exec, s[12:13]
	s_and_saveexec_b64 s[2:3], s[0:1]
	s_xor_b64 s[0:1], exec, s[2:3]
	s_cbranch_execnz .LBB32_97
; %bb.92:
	s_or_b64 exec, exec, s[0:1]
	v_cmp_gt_i32_e32 vcc, s18, v0
	s_and_saveexec_b64 s[0:1], vcc
	s_cbranch_execnz .LBB32_98
.LBB32_93:
	s_or_b64 exec, exec, s[0:1]
	v_cmp_gt_i32_e32 vcc, s18, v0
	s_and_saveexec_b64 s[0:1], vcc
	s_cbranch_execnz .LBB32_99
.LBB32_94:
	s_or_b64 exec, exec, s[0:1]
	v_cmp_gt_i32_e32 vcc, s18, v0
	s_and_saveexec_b64 s[0:1], vcc
	s_cbranch_execz .LBB32_96
.LBB32_95:
	v_add_u32_e32 v0, s6, v0
	v_mov_b32_e32 v1, 0
	v_lshlrev_b64 v[0:1], 2, v[0:1]
	v_mov_b32_e32 v2, s9
	v_add_co_u32_e32 v0, vcc, s8, v0
	v_addc_co_u32_e32 v1, vcc, v2, v1, vcc
	global_store_dword v[0:1], v5, off
.LBB32_96:
	s_endpgm
.LBB32_97:
	v_mov_b32_e32 v7, 0
	v_lshlrev_b64 v[6:7], 2, v[6:7]
	v_mov_b32_e32 v0, s9
	v_add_co_u32_e32 v6, vcc, s8, v6
	v_addc_co_u32_e32 v7, vcc, v0, v7, vcc
	v_mov_b32_e32 v0, v1
	global_store_dword v[6:7], v2, off
	s_or_b64 exec, exec, s[0:1]
	v_cmp_gt_i32_e32 vcc, s18, v0
	s_and_saveexec_b64 s[0:1], vcc
	s_cbranch_execz .LBB32_93
.LBB32_98:
	v_add_u32_e32 v6, s6, v0
	v_mov_b32_e32 v7, 0
	v_lshlrev_b64 v[6:7], 2, v[6:7]
	v_mov_b32_e32 v1, s9
	v_add_co_u32_e32 v6, vcc, s8, v6
	v_addc_co_u32_e32 v7, vcc, v1, v7, vcc
	v_add_u32_e32 v0, 0x100, v0
	global_store_dword v[6:7], v3, off
	s_or_b64 exec, exec, s[0:1]
	v_cmp_gt_i32_e32 vcc, s18, v0
	s_and_saveexec_b64 s[0:1], vcc
	s_cbranch_execz .LBB32_94
.LBB32_99:
	v_add_u32_e32 v2, s6, v0
	v_mov_b32_e32 v3, 0
	v_lshlrev_b64 v[2:3], 2, v[2:3]
	v_mov_b32_e32 v1, s9
	v_add_co_u32_e32 v2, vcc, s8, v2
	v_addc_co_u32_e32 v3, vcc, v1, v3, vcc
	v_add_u32_e32 v0, 0x100, v0
	global_store_dword v[2:3], v4, off
	s_or_b64 exec, exec, s[0:1]
	v_cmp_gt_i32_e32 vcc, s18, v0
	s_and_saveexec_b64 s[0:1], vcc
	s_cbranch_execnz .LBB32_95
	s_branch .LBB32_96
	.section	.rodata,"a",@progbits
	.p2align	6, 0x0
	.amdhsa_kernel _ZN2at6native29vectorized_elementwise_kernelILi16ENS0_13BUnaryFunctorIfffZZZNS0_12_GLOBAL__N_133hermite_polynomial_he_kernel_cudaERNS_18TensorIteratorBaseEENKUlvE_clEvENKUlvE0_clEvEUlffE_EESt5arrayIPcLm2EEEEviT0_T1_
		.amdhsa_group_segment_fixed_size 0
		.amdhsa_private_segment_fixed_size 0
		.amdhsa_kernarg_size 32
		.amdhsa_user_sgpr_count 6
		.amdhsa_user_sgpr_private_segment_buffer 1
		.amdhsa_user_sgpr_dispatch_ptr 0
		.amdhsa_user_sgpr_queue_ptr 0
		.amdhsa_user_sgpr_kernarg_segment_ptr 1
		.amdhsa_user_sgpr_dispatch_id 0
		.amdhsa_user_sgpr_flat_scratch_init 0
		.amdhsa_user_sgpr_kernarg_preload_length 0
		.amdhsa_user_sgpr_kernarg_preload_offset 0
		.amdhsa_user_sgpr_private_segment_size 0
		.amdhsa_uses_dynamic_stack 0
		.amdhsa_system_sgpr_private_segment_wavefront_offset 0
		.amdhsa_system_sgpr_workgroup_id_x 1
		.amdhsa_system_sgpr_workgroup_id_y 0
		.amdhsa_system_sgpr_workgroup_id_z 0
		.amdhsa_system_sgpr_workgroup_info 0
		.amdhsa_system_vgpr_workitem_id 0
		.amdhsa_next_free_vgpr 12
		.amdhsa_next_free_sgpr 22
		.amdhsa_accum_offset 12
		.amdhsa_reserve_vcc 1
		.amdhsa_reserve_flat_scratch 0
		.amdhsa_float_round_mode_32 0
		.amdhsa_float_round_mode_16_64 0
		.amdhsa_float_denorm_mode_32 3
		.amdhsa_float_denorm_mode_16_64 3
		.amdhsa_dx10_clamp 1
		.amdhsa_ieee_mode 1
		.amdhsa_fp16_overflow 0
		.amdhsa_tg_split 0
		.amdhsa_exception_fp_ieee_invalid_op 0
		.amdhsa_exception_fp_denorm_src 0
		.amdhsa_exception_fp_ieee_div_zero 0
		.amdhsa_exception_fp_ieee_overflow 0
		.amdhsa_exception_fp_ieee_underflow 0
		.amdhsa_exception_fp_ieee_inexact 0
		.amdhsa_exception_int_div_zero 0
	.end_amdhsa_kernel
	.section	.text._ZN2at6native29vectorized_elementwise_kernelILi16ENS0_13BUnaryFunctorIfffZZZNS0_12_GLOBAL__N_133hermite_polynomial_he_kernel_cudaERNS_18TensorIteratorBaseEENKUlvE_clEvENKUlvE0_clEvEUlffE_EESt5arrayIPcLm2EEEEviT0_T1_,"axG",@progbits,_ZN2at6native29vectorized_elementwise_kernelILi16ENS0_13BUnaryFunctorIfffZZZNS0_12_GLOBAL__N_133hermite_polynomial_he_kernel_cudaERNS_18TensorIteratorBaseEENKUlvE_clEvENKUlvE0_clEvEUlffE_EESt5arrayIPcLm2EEEEviT0_T1_,comdat
.Lfunc_end32:
	.size	_ZN2at6native29vectorized_elementwise_kernelILi16ENS0_13BUnaryFunctorIfffZZZNS0_12_GLOBAL__N_133hermite_polynomial_he_kernel_cudaERNS_18TensorIteratorBaseEENKUlvE_clEvENKUlvE0_clEvEUlffE_EESt5arrayIPcLm2EEEEviT0_T1_, .Lfunc_end32-_ZN2at6native29vectorized_elementwise_kernelILi16ENS0_13BUnaryFunctorIfffZZZNS0_12_GLOBAL__N_133hermite_polynomial_he_kernel_cudaERNS_18TensorIteratorBaseEENKUlvE_clEvENKUlvE0_clEvEUlffE_EESt5arrayIPcLm2EEEEviT0_T1_
                                        ; -- End function
	.section	.AMDGPU.csdata,"",@progbits
; Kernel info:
; codeLenInByte = 2220
; NumSgprs: 26
; NumVgprs: 12
; NumAgprs: 0
; TotalNumVgprs: 12
; ScratchSize: 0
; MemoryBound: 0
; FloatMode: 240
; IeeeMode: 1
; LDSByteSize: 0 bytes/workgroup (compile time only)
; SGPRBlocks: 3
; VGPRBlocks: 1
; NumSGPRsForWavesPerEU: 26
; NumVGPRsForWavesPerEU: 12
; AccumOffset: 12
; Occupancy: 8
; WaveLimiterHint : 0
; COMPUTE_PGM_RSRC2:SCRATCH_EN: 0
; COMPUTE_PGM_RSRC2:USER_SGPR: 6
; COMPUTE_PGM_RSRC2:TRAP_HANDLER: 0
; COMPUTE_PGM_RSRC2:TGID_X_EN: 1
; COMPUTE_PGM_RSRC2:TGID_Y_EN: 0
; COMPUTE_PGM_RSRC2:TGID_Z_EN: 0
; COMPUTE_PGM_RSRC2:TIDIG_COMP_CNT: 0
; COMPUTE_PGM_RSRC3_GFX90A:ACCUM_OFFSET: 2
; COMPUTE_PGM_RSRC3_GFX90A:TG_SPLIT: 0
	.section	.text._ZN2at6native29vectorized_elementwise_kernelILi8ENS0_13BUnaryFunctorIfffZZZNS0_12_GLOBAL__N_133hermite_polynomial_he_kernel_cudaERNS_18TensorIteratorBaseEENKUlvE_clEvENKUlvE0_clEvEUlffE_EESt5arrayIPcLm2EEEEviT0_T1_,"axG",@progbits,_ZN2at6native29vectorized_elementwise_kernelILi8ENS0_13BUnaryFunctorIfffZZZNS0_12_GLOBAL__N_133hermite_polynomial_he_kernel_cudaERNS_18TensorIteratorBaseEENKUlvE_clEvENKUlvE0_clEvEUlffE_EESt5arrayIPcLm2EEEEviT0_T1_,comdat
	.globl	_ZN2at6native29vectorized_elementwise_kernelILi8ENS0_13BUnaryFunctorIfffZZZNS0_12_GLOBAL__N_133hermite_polynomial_he_kernel_cudaERNS_18TensorIteratorBaseEENKUlvE_clEvENKUlvE0_clEvEUlffE_EESt5arrayIPcLm2EEEEviT0_T1_ ; -- Begin function _ZN2at6native29vectorized_elementwise_kernelILi8ENS0_13BUnaryFunctorIfffZZZNS0_12_GLOBAL__N_133hermite_polynomial_he_kernel_cudaERNS_18TensorIteratorBaseEENKUlvE_clEvENKUlvE0_clEvEUlffE_EESt5arrayIPcLm2EEEEviT0_T1_
	.p2align	8
	.type	_ZN2at6native29vectorized_elementwise_kernelILi8ENS0_13BUnaryFunctorIfffZZZNS0_12_GLOBAL__N_133hermite_polynomial_he_kernel_cudaERNS_18TensorIteratorBaseEENKUlvE_clEvENKUlvE0_clEvEUlffE_EESt5arrayIPcLm2EEEEviT0_T1_,@function
_ZN2at6native29vectorized_elementwise_kernelILi8ENS0_13BUnaryFunctorIfffZZZNS0_12_GLOBAL__N_133hermite_polynomial_he_kernel_cudaERNS_18TensorIteratorBaseEENKUlvE_clEvENKUlvE0_clEvEUlffE_EESt5arrayIPcLm2EEEEviT0_T1_: ; @_ZN2at6native29vectorized_elementwise_kernelILi8ENS0_13BUnaryFunctorIfffZZZNS0_12_GLOBAL__N_133hermite_polynomial_he_kernel_cudaERNS_18TensorIteratorBaseEENKUlvE_clEvENKUlvE0_clEvEUlffE_EESt5arrayIPcLm2EEEEviT0_T1_
; %bb.0:
	s_load_dword s0, s[4:5], 0x0
	s_load_dword s2, s[4:5], 0x8
	s_load_dwordx4 s[8:11], s[4:5], 0x10
	s_lshl_b32 s6, s6, 10
	s_waitcnt lgkmcnt(0)
	s_sub_i32 s18, s0, s6
	s_mov_b64 s[0:1], -1
	s_cmpk_gt_i32 s18, 0x3ff
	v_trunc_f32_e32 v1, s2
	s_cbranch_scc0 .LBB33_38
; %bb.1:
	s_ashr_i32 s7, s6, 31
	s_lshl_b64 s[4:5], s[6:7], 2
	s_add_u32 s0, s10, s4
	s_addc_u32 s1, s11, s5
	v_lshlrev_b32_e32 v10, 4, v0
	global_load_dwordx4 v[2:5], v10, s[0:1]
	s_mov_b32 s0, 0x2f800000
	v_mul_f32_e64 v6, |v1|, s0
	v_floor_f32_e32 v6, v6
	s_mov_b32 s0, 0xcf800000
	v_fma_f32 v7, v6, s0, |v1|
	v_cvt_u32_f32_e32 v7, v7
	v_cvt_u32_f32_e32 v8, v6
	v_readfirstlane_b32 s2, v1
	s_ashr_i32 s2, s2, 31
	v_readfirstlane_b32 s0, v7
	v_readfirstlane_b32 s1, v8
	s_mov_b32 s3, s2
	s_xor_b64 s[0:1], s[0:1], s[2:3]
	s_sub_u32 s12, s0, s2
	s_subb_u32 s13, s1, s2
	v_mov_b32_e32 v8, 0x81
	v_cmp_lt_i64_e64 s[2:3], s[12:13], 0
	v_mov_b32_e32 v9, 0
	v_mov_b32_e32 v6, 0
	v_cmp_gt_i64_e64 s[16:17], s[12:13], -1
	v_cmp_lt_u64_e64 s[0:1], s[12:13], v[8:9]
	s_and_b64 vcc, exec, s[2:3]
	v_cmp_lt_i64_e64 s[14:15], s[12:13], 1
	s_cbranch_vccnz .LBB33_10
; %bb.2:
	s_and_b64 vcc, exec, s[14:15]
	v_mov_b32_e32 v6, 1.0
	s_cbranch_vccnz .LBB33_10
; %bb.3:
	s_cmp_lg_u64 s[12:13], 1
	s_cbranch_scc0 .LBB33_8
; %bb.4:
	s_andn2_b64 vcc, exec, s[0:1]
	v_mov_b32_e32 v6, 0x7fc00000
	s_cbranch_vccnz .LBB33_7
; %bb.5:
	s_mov_b64 s[2:3], 1
	v_mov_b32_e32 v7, 1.0
	s_waitcnt vmcnt(0)
	v_mov_b32_e32 v6, v2
.LBB33_6:                               ; =>This Inner Loop Header: Depth=1
	s_flbit_i32_b32 s7, s3
	s_min_u32 s7, s7, 32
	s_lshl_b64 s[20:21], s[2:3], s7
	s_min_u32 s19, s20, 1
	s_or_b32 s19, s21, s19
	v_cvt_f32_u32_e32 v8, s19
	s_sub_i32 s7, 32, s7
	s_add_u32 s2, s2, 1
	s_addc_u32 s3, s3, 0
	v_ldexp_f32 v8, v8, s7
	v_mul_f32_e32 v8, v7, v8
	s_cmp_lg_u64 s[12:13], s[2:3]
	v_mov_b32_e32 v7, v6
	v_fma_f32 v6, v2, v6, -v8
	s_cbranch_scc1 .LBB33_6
.LBB33_7:
	s_cbranch_execz .LBB33_9
	s_branch .LBB33_10
.LBB33_8:
                                        ; implicit-def: $vgpr6
.LBB33_9:
	s_waitcnt vmcnt(0)
	v_mov_b32_e32 v6, v2
.LBB33_10:
	s_waitcnt vmcnt(0)
	v_cndmask_b32_e64 v2, 0, 1, s[16:17]
	v_cmp_ne_u32_e64 s[2:3], 1, v2
	s_andn2_b64 vcc, exec, s[16:17]
	v_mov_b32_e32 v7, 0
	s_cbranch_vccnz .LBB33_19
; %bb.11:
	s_and_b64 vcc, exec, s[14:15]
	v_mov_b32_e32 v7, 1.0
	s_cbranch_vccnz .LBB33_19
; %bb.12:
	s_cmp_lg_u64 s[12:13], 1
	s_cbranch_scc0 .LBB33_17
; %bb.13:
	s_andn2_b64 vcc, exec, s[0:1]
	v_mov_b32_e32 v7, 0x7fc00000
	s_cbranch_vccnz .LBB33_16
; %bb.14:
	s_mov_b64 s[16:17], 1
	v_mov_b32_e32 v2, 1.0
	v_mov_b32_e32 v7, v3
.LBB33_15:                              ; =>This Inner Loop Header: Depth=1
	s_flbit_i32_b32 s7, s17
	s_min_u32 s7, s7, 32
	s_lshl_b64 s[20:21], s[16:17], s7
	s_min_u32 s19, s20, 1
	s_or_b32 s19, s21, s19
	v_cvt_f32_u32_e32 v8, s19
	s_sub_i32 s7, 32, s7
	s_add_u32 s16, s16, 1
	s_addc_u32 s17, s17, 0
	v_ldexp_f32 v8, v8, s7
	v_mul_f32_e32 v8, v2, v8
	s_cmp_lg_u64 s[12:13], s[16:17]
	v_mov_b32_e32 v2, v7
	v_fma_f32 v7, v3, v7, -v8
	s_cbranch_scc1 .LBB33_15
.LBB33_16:
	s_cbranch_execz .LBB33_18
	s_branch .LBB33_19
.LBB33_17:
.LBB33_18:
	v_mov_b32_e32 v7, v3
.LBB33_19:
	s_and_b64 vcc, exec, s[2:3]
	v_mov_b32_e32 v8, 0
	s_cbranch_vccnz .LBB33_28
; %bb.20:
	s_and_b64 vcc, exec, s[14:15]
	v_mov_b32_e32 v8, 1.0
	s_cbranch_vccnz .LBB33_28
; %bb.21:
	s_cmp_lg_u64 s[12:13], 1
	s_cbranch_scc0 .LBB33_26
; %bb.22:
	s_andn2_b64 vcc, exec, s[0:1]
	v_mov_b32_e32 v8, 0x7fc00000
	s_cbranch_vccnz .LBB33_25
; %bb.23:
	s_mov_b64 s[16:17], 1
	v_mov_b32_e32 v2, 1.0
	v_mov_b32_e32 v8, v4
.LBB33_24:                              ; =>This Inner Loop Header: Depth=1
	s_flbit_i32_b32 s7, s17
	s_min_u32 s7, s7, 32
	s_lshl_b64 s[20:21], s[16:17], s7
	s_min_u32 s19, s20, 1
	s_or_b32 s19, s21, s19
	v_mov_b32_e32 v3, v8
	v_cvt_f32_u32_e32 v8, s19
	s_sub_i32 s7, 32, s7
	s_add_u32 s16, s16, 1
	s_addc_u32 s17, s17, 0
	v_ldexp_f32 v8, v8, s7
	v_mul_f32_e32 v8, v2, v8
	s_cmp_lg_u64 s[12:13], s[16:17]
	v_mov_b32_e32 v2, v3
	v_fma_f32 v8, v4, v3, -v8
	s_cbranch_scc1 .LBB33_24
.LBB33_25:
	s_cbranch_execz .LBB33_27
	s_branch .LBB33_28
.LBB33_26:
.LBB33_27:
	v_mov_b32_e32 v8, v4
.LBB33_28:
	s_and_b64 vcc, exec, s[2:3]
	v_mov_b32_e32 v9, 0
	s_cbranch_vccnz .LBB33_37
; %bb.29:
	s_and_b64 vcc, exec, s[14:15]
	v_mov_b32_e32 v9, 1.0
	s_cbranch_vccnz .LBB33_37
; %bb.30:
	s_cmp_lg_u64 s[12:13], 1
	s_cbranch_scc0 .LBB33_35
; %bb.31:
	s_andn2_b64 vcc, exec, s[0:1]
	v_mov_b32_e32 v9, 0x7fc00000
	s_cbranch_vccnz .LBB33_34
; %bb.32:
	s_mov_b64 s[0:1], 1
	v_mov_b32_e32 v2, 1.0
	v_mov_b32_e32 v9, v5
.LBB33_33:                              ; =>This Inner Loop Header: Depth=1
	s_flbit_i32_b32 s2, s1
	s_min_u32 s7, s2, 32
	s_lshl_b64 s[2:3], s[0:1], s7
	s_min_u32 s2, s2, 1
	s_or_b32 s2, s3, s2
	v_cvt_f32_u32_e32 v4, s2
	s_sub_i32 s7, 32, s7
	s_add_u32 s0, s0, 1
	v_mov_b32_e32 v3, v9
	v_ldexp_f32 v4, v4, s7
	s_addc_u32 s1, s1, 0
	v_mul_f32_e32 v4, v2, v4
	s_cmp_lg_u64 s[12:13], s[0:1]
	v_mov_b32_e32 v2, v9
	v_fma_f32 v9, v5, v3, -v4
	s_cbranch_scc1 .LBB33_33
.LBB33_34:
	s_cbranch_execz .LBB33_36
	s_branch .LBB33_37
.LBB33_35:
.LBB33_36:
	v_mov_b32_e32 v9, v5
.LBB33_37:
	s_add_u32 s0, s8, s4
	s_addc_u32 s1, s9, s5
	global_store_dwordx4 v10, v[6:9], s[0:1]
	s_mov_b64 s[0:1], 0
.LBB33_38:
	s_and_b64 vcc, exec, s[0:1]
	s_cbranch_vccz .LBB33_96
; %bb.39:
	v_cmp_gt_i32_e64 s[0:1], s18, v0
	v_mov_b32_e32 v9, 0
	v_or_b32_e32 v6, s6, v0
	v_mov_b32_e32 v10, 0
	v_mov_b32_e32 v2, v0
	s_and_saveexec_b64 s[2:3], s[0:1]
	s_cbranch_execz .LBB33_41
; %bb.40:
	v_mov_b32_e32 v7, 0
	v_lshlrev_b64 v[2:3], 2, v[6:7]
	v_mov_b32_e32 v4, s11
	v_add_co_u32_e32 v2, vcc, s10, v2
	v_addc_co_u32_e32 v3, vcc, v4, v3, vcc
	global_load_dword v10, v[2:3], off
	v_or_b32_e32 v2, 0x100, v0
.LBB33_41:
	s_or_b64 exec, exec, s[2:3]
	v_cmp_gt_i32_e32 vcc, s18, v2
	s_and_saveexec_b64 s[2:3], vcc
	s_cbranch_execz .LBB33_43
; %bb.42:
	v_add_u32_e32 v4, s6, v2
	v_mov_b32_e32 v5, 0
	v_lshlrev_b64 v[4:5], 2, v[4:5]
	v_mov_b32_e32 v3, s11
	v_add_co_u32_e32 v4, vcc, s10, v4
	v_addc_co_u32_e32 v5, vcc, v3, v5, vcc
	global_load_dword v9, v[4:5], off
	v_add_u32_e32 v2, 0x100, v2
.LBB33_43:
	s_or_b64 exec, exec, s[2:3]
	v_cmp_gt_i32_e32 vcc, s18, v2
	v_mov_b32_e32 v7, 0
	v_mov_b32_e32 v8, 0
	s_and_saveexec_b64 s[2:3], vcc
	s_cbranch_execz .LBB33_45
; %bb.44:
	v_add_u32_e32 v4, s6, v2
	v_mov_b32_e32 v5, 0
	v_lshlrev_b64 v[4:5], 2, v[4:5]
	v_mov_b32_e32 v3, s11
	v_add_co_u32_e32 v4, vcc, s10, v4
	v_addc_co_u32_e32 v5, vcc, v3, v5, vcc
	global_load_dword v8, v[4:5], off
	v_add_u32_e32 v2, 0x100, v2
.LBB33_45:
	s_or_b64 exec, exec, s[2:3]
	v_cmp_gt_i32_e32 vcc, s18, v2
	s_and_saveexec_b64 s[2:3], vcc
	s_cbranch_execz .LBB33_47
; %bb.46:
	v_add_u32_e32 v2, s6, v2
	v_mov_b32_e32 v3, 0
	v_lshlrev_b64 v[2:3], 2, v[2:3]
	v_mov_b32_e32 v4, s11
	v_add_co_u32_e32 v2, vcc, s10, v2
	v_addc_co_u32_e32 v3, vcc, v4, v3, vcc
	global_load_dword v7, v[2:3], off
.LBB33_47:
	s_or_b64 exec, exec, s[2:3]
	s_mov_b32 s2, 0x2f800000
	v_mul_f32_e64 v2, |v1|, s2
	v_floor_f32_e32 v2, v2
	s_mov_b32 s2, 0xcf800000
	v_cvt_u32_f32_e32 v3, v2
	v_fma_f32 v2, v2, s2, |v1|
	v_cvt_u32_f32_e32 v2, v2
	v_readfirstlane_b32 s4, v1
	s_ashr_i32 s4, s4, 31
	v_readfirstlane_b32 s3, v3
	v_readfirstlane_b32 s2, v2
	s_mov_b32 s5, s4
	s_xor_b64 s[2:3], s[2:3], s[4:5]
	s_sub_u32 s10, s2, s4
	s_subb_u32 s11, s3, s4
	v_mov_b32_e32 v2, 0x81
	v_cmp_gt_i64_e64 s[4:5], s[10:11], -1
	v_mov_b32_e32 v3, 0
	v_cndmask_b32_e64 v1, 0, 1, s[4:5]
	v_cmp_lt_u64_e64 s[2:3], s[10:11], v[2:3]
	v_cmp_ne_u32_e64 s[4:5], 1, v1
                                        ; implicit-def: $vgpr2_vgpr3_vgpr4_vgpr5
	s_and_saveexec_b64 s[12:13], s[0:1]
	s_cbranch_execz .LBB33_58
; %bb.48:
	s_and_b64 vcc, exec, s[4:5]
	v_mov_b32_e32 v2, 0
	s_cbranch_vccnz .LBB33_58
; %bb.49:
	v_cmp_lt_i64_e64 s[14:15], s[10:11], 1
	s_and_b64 vcc, exec, s[14:15]
	v_mov_b32_e32 v2, 1.0
	s_cbranch_vccnz .LBB33_58
; %bb.50:
	s_cmp_lg_u64 s[10:11], 1
	s_cbranch_scc0 .LBB33_55
; %bb.51:
	s_andn2_b64 vcc, exec, s[2:3]
	v_mov_b32_e32 v2, 0x7fc00000
	s_cbranch_vccnz .LBB33_54
; %bb.52:
	s_mov_b64 s[14:15], 1
	v_mov_b32_e32 v1, 1.0
	s_waitcnt vmcnt(0)
	v_mov_b32_e32 v2, v10
.LBB33_53:                              ; =>This Inner Loop Header: Depth=1
	s_flbit_i32_b32 s7, s15
	s_min_u32 s7, s7, 32
	s_lshl_b64 s[16:17], s[14:15], s7
	s_min_u32 s16, s16, 1
	s_or_b32 s16, s17, s16
	v_cvt_f32_u32_e32 v3, s16
	s_sub_i32 s7, 32, s7
	s_add_u32 s14, s14, 1
	s_addc_u32 s15, s15, 0
	v_ldexp_f32 v3, v3, s7
	v_mul_f32_e32 v3, v1, v3
	s_cmp_lg_u64 s[10:11], s[14:15]
	v_mov_b32_e32 v1, v2
	v_fma_f32 v2, v10, v2, -v3
	s_cbranch_scc1 .LBB33_53
.LBB33_54:
	s_mov_b64 s[14:15], 0
	s_branch .LBB33_56
.LBB33_55:
	s_mov_b64 s[14:15], -1
                                        ; implicit-def: $vgpr2
.LBB33_56:
	s_andn2_b64 vcc, exec, s[14:15]
	s_cbranch_vccnz .LBB33_58
; %bb.57:
	s_waitcnt vmcnt(0)
	v_mov_b32_e32 v2, v10
.LBB33_58:
	s_or_b64 exec, exec, s[12:13]
	v_or_b32_e32 v1, 0x100, v0
	v_cmp_gt_i32_e32 vcc, s18, v1
	s_and_saveexec_b64 s[12:13], vcc
	s_cbranch_execz .LBB33_69
; %bb.59:
	s_and_b64 vcc, exec, s[4:5]
	v_mov_b32_e32 v3, 0
	s_cbranch_vccnz .LBB33_69
; %bb.60:
	v_cmp_lt_i64_e64 s[14:15], s[10:11], 1
	s_and_b64 vcc, exec, s[14:15]
	v_mov_b32_e32 v3, 1.0
	s_cbranch_vccnz .LBB33_69
; %bb.61:
	s_cmp_lg_u64 s[10:11], 1
	s_cbranch_scc0 .LBB33_66
; %bb.62:
	s_andn2_b64 vcc, exec, s[2:3]
	v_mov_b32_e32 v3, 0x7fc00000
	s_cbranch_vccnz .LBB33_65
; %bb.63:
	s_mov_b64 s[14:15], 1
	s_waitcnt vmcnt(0)
	v_mov_b32_e32 v10, 1.0
	v_mov_b32_e32 v3, v9
.LBB33_64:                              ; =>This Inner Loop Header: Depth=1
	s_flbit_i32_b32 s7, s15
	s_min_u32 s7, s7, 32
	s_lshl_b64 s[16:17], s[14:15], s7
	s_min_u32 s16, s16, 1
	s_or_b32 s16, s17, s16
	v_cvt_f32_u32_e32 v11, s16
	s_sub_i32 s7, 32, s7
	s_add_u32 s14, s14, 1
	s_addc_u32 s15, s15, 0
	v_ldexp_f32 v11, v11, s7
	v_mul_f32_e32 v11, v10, v11
	s_cmp_lg_u64 s[10:11], s[14:15]
	v_mov_b32_e32 v10, v3
	v_fma_f32 v3, v9, v3, -v11
	s_cbranch_scc1 .LBB33_64
.LBB33_65:
	s_mov_b64 s[14:15], 0
	s_branch .LBB33_67
.LBB33_66:
	s_mov_b64 s[14:15], -1
.LBB33_67:
	s_andn2_b64 vcc, exec, s[14:15]
	s_cbranch_vccnz .LBB33_69
; %bb.68:
	s_waitcnt vmcnt(0)
	v_mov_b32_e32 v3, v9
.LBB33_69:
	s_or_b64 exec, exec, s[12:13]
	s_waitcnt vmcnt(0)
	v_or_b32_e32 v9, 0x200, v0
	v_cmp_gt_i32_e32 vcc, s18, v9
	s_and_saveexec_b64 s[12:13], vcc
	s_cbranch_execz .LBB33_80
; %bb.70:
	s_and_b64 vcc, exec, s[4:5]
	v_mov_b32_e32 v4, 0
	s_cbranch_vccnz .LBB33_80
; %bb.71:
	v_cmp_lt_i64_e64 s[14:15], s[10:11], 1
	s_and_b64 vcc, exec, s[14:15]
	v_mov_b32_e32 v4, 1.0
	s_cbranch_vccnz .LBB33_80
; %bb.72:
	s_cmp_lg_u64 s[10:11], 1
	s_cbranch_scc0 .LBB33_77
; %bb.73:
	s_andn2_b64 vcc, exec, s[2:3]
	v_mov_b32_e32 v4, 0x7fc00000
	s_cbranch_vccnz .LBB33_76
; %bb.74:
	s_mov_b64 s[14:15], 1
	v_mov_b32_e32 v9, 1.0
	v_mov_b32_e32 v4, v8
.LBB33_75:                              ; =>This Inner Loop Header: Depth=1
	s_flbit_i32_b32 s7, s15
	s_min_u32 s7, s7, 32
	s_lshl_b64 s[16:17], s[14:15], s7
	s_min_u32 s16, s16, 1
	s_or_b32 s16, s17, s16
	v_cvt_f32_u32_e32 v10, s16
	s_sub_i32 s7, 32, s7
	s_add_u32 s14, s14, 1
	s_addc_u32 s15, s15, 0
	v_ldexp_f32 v10, v10, s7
	v_mul_f32_e32 v10, v9, v10
	s_cmp_lg_u64 s[10:11], s[14:15]
	v_mov_b32_e32 v9, v4
	v_fma_f32 v4, v8, v4, -v10
	s_cbranch_scc1 .LBB33_75
.LBB33_76:
	s_mov_b64 s[14:15], 0
	s_branch .LBB33_78
.LBB33_77:
	s_mov_b64 s[14:15], -1
.LBB33_78:
	s_andn2_b64 vcc, exec, s[14:15]
	s_cbranch_vccnz .LBB33_80
; %bb.79:
	v_mov_b32_e32 v4, v8
.LBB33_80:
	s_or_b64 exec, exec, s[12:13]
	v_or_b32_e32 v8, 0x300, v0
	v_cmp_gt_i32_e32 vcc, s18, v8
	s_and_saveexec_b64 s[12:13], vcc
	s_cbranch_execz .LBB33_91
; %bb.81:
	s_and_b64 vcc, exec, s[4:5]
	v_mov_b32_e32 v5, 0
	s_cbranch_vccnz .LBB33_91
; %bb.82:
	v_cmp_lt_i64_e64 s[4:5], s[10:11], 1
	s_and_b64 vcc, exec, s[4:5]
	v_mov_b32_e32 v5, 1.0
	s_cbranch_vccnz .LBB33_91
; %bb.83:
	s_cmp_lg_u64 s[10:11], 1
	s_cbranch_scc0 .LBB33_88
; %bb.84:
	s_andn2_b64 vcc, exec, s[2:3]
	v_mov_b32_e32 v5, 0x7fc00000
	s_cbranch_vccnz .LBB33_87
; %bb.85:
	s_mov_b64 s[2:3], 1
	v_mov_b32_e32 v8, 1.0
	v_mov_b32_e32 v5, v7
.LBB33_86:                              ; =>This Inner Loop Header: Depth=1
	s_flbit_i32_b32 s4, s3
	s_min_u32 s7, s4, 32
	s_lshl_b64 s[4:5], s[2:3], s7
	s_min_u32 s4, s4, 1
	s_or_b32 s4, s5, s4
	v_cvt_f32_u32_e32 v9, s4
	s_sub_i32 s7, 32, s7
	s_add_u32 s2, s2, 1
	s_addc_u32 s3, s3, 0
	v_ldexp_f32 v9, v9, s7
	v_mul_f32_e32 v9, v8, v9
	s_cmp_lg_u64 s[10:11], s[2:3]
	v_mov_b32_e32 v8, v5
	v_fma_f32 v5, v7, v5, -v9
	s_cbranch_scc1 .LBB33_86
.LBB33_87:
	s_mov_b64 s[2:3], 0
	s_branch .LBB33_89
.LBB33_88:
	s_mov_b64 s[2:3], -1
.LBB33_89:
	s_andn2_b64 vcc, exec, s[2:3]
	s_cbranch_vccnz .LBB33_91
; %bb.90:
	v_mov_b32_e32 v5, v7
.LBB33_91:
	s_or_b64 exec, exec, s[12:13]
	s_and_saveexec_b64 s[2:3], s[0:1]
	s_xor_b64 s[0:1], exec, s[2:3]
	s_cbranch_execnz .LBB33_97
; %bb.92:
	s_or_b64 exec, exec, s[0:1]
	v_cmp_gt_i32_e32 vcc, s18, v0
	s_and_saveexec_b64 s[0:1], vcc
	s_cbranch_execnz .LBB33_98
.LBB33_93:
	s_or_b64 exec, exec, s[0:1]
	v_cmp_gt_i32_e32 vcc, s18, v0
	s_and_saveexec_b64 s[0:1], vcc
	s_cbranch_execnz .LBB33_99
.LBB33_94:
	s_or_b64 exec, exec, s[0:1]
	v_cmp_gt_i32_e32 vcc, s18, v0
	s_and_saveexec_b64 s[0:1], vcc
	s_cbranch_execz .LBB33_96
.LBB33_95:
	v_add_u32_e32 v0, s6, v0
	v_mov_b32_e32 v1, 0
	v_lshlrev_b64 v[0:1], 2, v[0:1]
	v_mov_b32_e32 v2, s9
	v_add_co_u32_e32 v0, vcc, s8, v0
	v_addc_co_u32_e32 v1, vcc, v2, v1, vcc
	global_store_dword v[0:1], v5, off
.LBB33_96:
	s_endpgm
.LBB33_97:
	v_mov_b32_e32 v7, 0
	v_lshlrev_b64 v[6:7], 2, v[6:7]
	v_mov_b32_e32 v0, s9
	v_add_co_u32_e32 v6, vcc, s8, v6
	v_addc_co_u32_e32 v7, vcc, v0, v7, vcc
	v_mov_b32_e32 v0, v1
	global_store_dword v[6:7], v2, off
	s_or_b64 exec, exec, s[0:1]
	v_cmp_gt_i32_e32 vcc, s18, v0
	s_and_saveexec_b64 s[0:1], vcc
	s_cbranch_execz .LBB33_93
.LBB33_98:
	v_add_u32_e32 v6, s6, v0
	v_mov_b32_e32 v7, 0
	v_lshlrev_b64 v[6:7], 2, v[6:7]
	v_mov_b32_e32 v1, s9
	v_add_co_u32_e32 v6, vcc, s8, v6
	v_addc_co_u32_e32 v7, vcc, v1, v7, vcc
	v_add_u32_e32 v0, 0x100, v0
	global_store_dword v[6:7], v3, off
	s_or_b64 exec, exec, s[0:1]
	v_cmp_gt_i32_e32 vcc, s18, v0
	s_and_saveexec_b64 s[0:1], vcc
	s_cbranch_execz .LBB33_94
.LBB33_99:
	v_add_u32_e32 v2, s6, v0
	v_mov_b32_e32 v3, 0
	v_lshlrev_b64 v[2:3], 2, v[2:3]
	v_mov_b32_e32 v1, s9
	v_add_co_u32_e32 v2, vcc, s8, v2
	v_addc_co_u32_e32 v3, vcc, v1, v3, vcc
	v_add_u32_e32 v0, 0x100, v0
	global_store_dword v[2:3], v4, off
	s_or_b64 exec, exec, s[0:1]
	v_cmp_gt_i32_e32 vcc, s18, v0
	s_and_saveexec_b64 s[0:1], vcc
	s_cbranch_execnz .LBB33_95
	s_branch .LBB33_96
	.section	.rodata,"a",@progbits
	.p2align	6, 0x0
	.amdhsa_kernel _ZN2at6native29vectorized_elementwise_kernelILi8ENS0_13BUnaryFunctorIfffZZZNS0_12_GLOBAL__N_133hermite_polynomial_he_kernel_cudaERNS_18TensorIteratorBaseEENKUlvE_clEvENKUlvE0_clEvEUlffE_EESt5arrayIPcLm2EEEEviT0_T1_
		.amdhsa_group_segment_fixed_size 0
		.amdhsa_private_segment_fixed_size 0
		.amdhsa_kernarg_size 32
		.amdhsa_user_sgpr_count 6
		.amdhsa_user_sgpr_private_segment_buffer 1
		.amdhsa_user_sgpr_dispatch_ptr 0
		.amdhsa_user_sgpr_queue_ptr 0
		.amdhsa_user_sgpr_kernarg_segment_ptr 1
		.amdhsa_user_sgpr_dispatch_id 0
		.amdhsa_user_sgpr_flat_scratch_init 0
		.amdhsa_user_sgpr_kernarg_preload_length 0
		.amdhsa_user_sgpr_kernarg_preload_offset 0
		.amdhsa_user_sgpr_private_segment_size 0
		.amdhsa_uses_dynamic_stack 0
		.amdhsa_system_sgpr_private_segment_wavefront_offset 0
		.amdhsa_system_sgpr_workgroup_id_x 1
		.amdhsa_system_sgpr_workgroup_id_y 0
		.amdhsa_system_sgpr_workgroup_id_z 0
		.amdhsa_system_sgpr_workgroup_info 0
		.amdhsa_system_vgpr_workitem_id 0
		.amdhsa_next_free_vgpr 12
		.amdhsa_next_free_sgpr 22
		.amdhsa_accum_offset 12
		.amdhsa_reserve_vcc 1
		.amdhsa_reserve_flat_scratch 0
		.amdhsa_float_round_mode_32 0
		.amdhsa_float_round_mode_16_64 0
		.amdhsa_float_denorm_mode_32 3
		.amdhsa_float_denorm_mode_16_64 3
		.amdhsa_dx10_clamp 1
		.amdhsa_ieee_mode 1
		.amdhsa_fp16_overflow 0
		.amdhsa_tg_split 0
		.amdhsa_exception_fp_ieee_invalid_op 0
		.amdhsa_exception_fp_denorm_src 0
		.amdhsa_exception_fp_ieee_div_zero 0
		.amdhsa_exception_fp_ieee_overflow 0
		.amdhsa_exception_fp_ieee_underflow 0
		.amdhsa_exception_fp_ieee_inexact 0
		.amdhsa_exception_int_div_zero 0
	.end_amdhsa_kernel
	.section	.text._ZN2at6native29vectorized_elementwise_kernelILi8ENS0_13BUnaryFunctorIfffZZZNS0_12_GLOBAL__N_133hermite_polynomial_he_kernel_cudaERNS_18TensorIteratorBaseEENKUlvE_clEvENKUlvE0_clEvEUlffE_EESt5arrayIPcLm2EEEEviT0_T1_,"axG",@progbits,_ZN2at6native29vectorized_elementwise_kernelILi8ENS0_13BUnaryFunctorIfffZZZNS0_12_GLOBAL__N_133hermite_polynomial_he_kernel_cudaERNS_18TensorIteratorBaseEENKUlvE_clEvENKUlvE0_clEvEUlffE_EESt5arrayIPcLm2EEEEviT0_T1_,comdat
.Lfunc_end33:
	.size	_ZN2at6native29vectorized_elementwise_kernelILi8ENS0_13BUnaryFunctorIfffZZZNS0_12_GLOBAL__N_133hermite_polynomial_he_kernel_cudaERNS_18TensorIteratorBaseEENKUlvE_clEvENKUlvE0_clEvEUlffE_EESt5arrayIPcLm2EEEEviT0_T1_, .Lfunc_end33-_ZN2at6native29vectorized_elementwise_kernelILi8ENS0_13BUnaryFunctorIfffZZZNS0_12_GLOBAL__N_133hermite_polynomial_he_kernel_cudaERNS_18TensorIteratorBaseEENKUlvE_clEvENKUlvE0_clEvEUlffE_EESt5arrayIPcLm2EEEEviT0_T1_
                                        ; -- End function
	.section	.AMDGPU.csdata,"",@progbits
; Kernel info:
; codeLenInByte = 2220
; NumSgprs: 26
; NumVgprs: 12
; NumAgprs: 0
; TotalNumVgprs: 12
; ScratchSize: 0
; MemoryBound: 0
; FloatMode: 240
; IeeeMode: 1
; LDSByteSize: 0 bytes/workgroup (compile time only)
; SGPRBlocks: 3
; VGPRBlocks: 1
; NumSGPRsForWavesPerEU: 26
; NumVGPRsForWavesPerEU: 12
; AccumOffset: 12
; Occupancy: 8
; WaveLimiterHint : 0
; COMPUTE_PGM_RSRC2:SCRATCH_EN: 0
; COMPUTE_PGM_RSRC2:USER_SGPR: 6
; COMPUTE_PGM_RSRC2:TRAP_HANDLER: 0
; COMPUTE_PGM_RSRC2:TGID_X_EN: 1
; COMPUTE_PGM_RSRC2:TGID_Y_EN: 0
; COMPUTE_PGM_RSRC2:TGID_Z_EN: 0
; COMPUTE_PGM_RSRC2:TIDIG_COMP_CNT: 0
; COMPUTE_PGM_RSRC3_GFX90A:ACCUM_OFFSET: 2
; COMPUTE_PGM_RSRC3_GFX90A:TG_SPLIT: 0
	.section	.text._ZN2at6native29vectorized_elementwise_kernelILi4ENS0_13BUnaryFunctorIfffZZZNS0_12_GLOBAL__N_133hermite_polynomial_he_kernel_cudaERNS_18TensorIteratorBaseEENKUlvE_clEvENKUlvE0_clEvEUlffE_EESt5arrayIPcLm2EEEEviT0_T1_,"axG",@progbits,_ZN2at6native29vectorized_elementwise_kernelILi4ENS0_13BUnaryFunctorIfffZZZNS0_12_GLOBAL__N_133hermite_polynomial_he_kernel_cudaERNS_18TensorIteratorBaseEENKUlvE_clEvENKUlvE0_clEvEUlffE_EESt5arrayIPcLm2EEEEviT0_T1_,comdat
	.globl	_ZN2at6native29vectorized_elementwise_kernelILi4ENS0_13BUnaryFunctorIfffZZZNS0_12_GLOBAL__N_133hermite_polynomial_he_kernel_cudaERNS_18TensorIteratorBaseEENKUlvE_clEvENKUlvE0_clEvEUlffE_EESt5arrayIPcLm2EEEEviT0_T1_ ; -- Begin function _ZN2at6native29vectorized_elementwise_kernelILi4ENS0_13BUnaryFunctorIfffZZZNS0_12_GLOBAL__N_133hermite_polynomial_he_kernel_cudaERNS_18TensorIteratorBaseEENKUlvE_clEvENKUlvE0_clEvEUlffE_EESt5arrayIPcLm2EEEEviT0_T1_
	.p2align	8
	.type	_ZN2at6native29vectorized_elementwise_kernelILi4ENS0_13BUnaryFunctorIfffZZZNS0_12_GLOBAL__N_133hermite_polynomial_he_kernel_cudaERNS_18TensorIteratorBaseEENKUlvE_clEvENKUlvE0_clEvEUlffE_EESt5arrayIPcLm2EEEEviT0_T1_,@function
_ZN2at6native29vectorized_elementwise_kernelILi4ENS0_13BUnaryFunctorIfffZZZNS0_12_GLOBAL__N_133hermite_polynomial_he_kernel_cudaERNS_18TensorIteratorBaseEENKUlvE_clEvENKUlvE0_clEvEUlffE_EESt5arrayIPcLm2EEEEviT0_T1_: ; @_ZN2at6native29vectorized_elementwise_kernelILi4ENS0_13BUnaryFunctorIfffZZZNS0_12_GLOBAL__N_133hermite_polynomial_he_kernel_cudaERNS_18TensorIteratorBaseEENKUlvE_clEvENKUlvE0_clEvEUlffE_EESt5arrayIPcLm2EEEEviT0_T1_
; %bb.0:
	s_load_dword s0, s[4:5], 0x0
	s_load_dword s2, s[4:5], 0x8
	s_load_dwordx4 s[8:11], s[4:5], 0x10
	s_lshl_b32 s6, s6, 10
	s_waitcnt lgkmcnt(0)
	s_sub_i32 s18, s0, s6
	s_mov_b64 s[0:1], -1
	s_cmpk_gt_i32 s18, 0x3ff
	v_trunc_f32_e32 v1, s2
	s_cbranch_scc0 .LBB34_38
; %bb.1:
	s_ashr_i32 s7, s6, 31
	s_lshl_b64 s[4:5], s[6:7], 2
	s_add_u32 s0, s10, s4
	s_addc_u32 s1, s11, s5
	v_lshlrev_b32_e32 v10, 4, v0
	global_load_dwordx4 v[2:5], v10, s[0:1]
	s_mov_b32 s0, 0x2f800000
	v_mul_f32_e64 v6, |v1|, s0
	v_floor_f32_e32 v6, v6
	s_mov_b32 s0, 0xcf800000
	v_fma_f32 v7, v6, s0, |v1|
	v_cvt_u32_f32_e32 v7, v7
	v_cvt_u32_f32_e32 v8, v6
	v_readfirstlane_b32 s2, v1
	s_ashr_i32 s2, s2, 31
	v_readfirstlane_b32 s0, v7
	v_readfirstlane_b32 s1, v8
	s_mov_b32 s3, s2
	s_xor_b64 s[0:1], s[0:1], s[2:3]
	s_sub_u32 s12, s0, s2
	s_subb_u32 s13, s1, s2
	v_mov_b32_e32 v8, 0x81
	v_cmp_lt_i64_e64 s[2:3], s[12:13], 0
	v_mov_b32_e32 v9, 0
	v_mov_b32_e32 v6, 0
	v_cmp_gt_i64_e64 s[16:17], s[12:13], -1
	v_cmp_lt_u64_e64 s[0:1], s[12:13], v[8:9]
	s_and_b64 vcc, exec, s[2:3]
	v_cmp_lt_i64_e64 s[14:15], s[12:13], 1
	s_cbranch_vccnz .LBB34_10
; %bb.2:
	s_and_b64 vcc, exec, s[14:15]
	v_mov_b32_e32 v6, 1.0
	s_cbranch_vccnz .LBB34_10
; %bb.3:
	s_cmp_lg_u64 s[12:13], 1
	s_cbranch_scc0 .LBB34_8
; %bb.4:
	s_andn2_b64 vcc, exec, s[0:1]
	v_mov_b32_e32 v6, 0x7fc00000
	s_cbranch_vccnz .LBB34_7
; %bb.5:
	s_mov_b64 s[2:3], 1
	v_mov_b32_e32 v7, 1.0
	s_waitcnt vmcnt(0)
	v_mov_b32_e32 v6, v2
.LBB34_6:                               ; =>This Inner Loop Header: Depth=1
	s_flbit_i32_b32 s7, s3
	s_min_u32 s7, s7, 32
	s_lshl_b64 s[20:21], s[2:3], s7
	s_min_u32 s19, s20, 1
	s_or_b32 s19, s21, s19
	v_cvt_f32_u32_e32 v8, s19
	s_sub_i32 s7, 32, s7
	s_add_u32 s2, s2, 1
	s_addc_u32 s3, s3, 0
	v_ldexp_f32 v8, v8, s7
	v_mul_f32_e32 v8, v7, v8
	s_cmp_lg_u64 s[12:13], s[2:3]
	v_mov_b32_e32 v7, v6
	v_fma_f32 v6, v2, v6, -v8
	s_cbranch_scc1 .LBB34_6
.LBB34_7:
	s_cbranch_execz .LBB34_9
	s_branch .LBB34_10
.LBB34_8:
                                        ; implicit-def: $vgpr6
.LBB34_9:
	s_waitcnt vmcnt(0)
	v_mov_b32_e32 v6, v2
.LBB34_10:
	s_waitcnt vmcnt(0)
	v_cndmask_b32_e64 v2, 0, 1, s[16:17]
	v_cmp_ne_u32_e64 s[2:3], 1, v2
	s_andn2_b64 vcc, exec, s[16:17]
	v_mov_b32_e32 v7, 0
	s_cbranch_vccnz .LBB34_19
; %bb.11:
	s_and_b64 vcc, exec, s[14:15]
	v_mov_b32_e32 v7, 1.0
	s_cbranch_vccnz .LBB34_19
; %bb.12:
	s_cmp_lg_u64 s[12:13], 1
	s_cbranch_scc0 .LBB34_17
; %bb.13:
	s_andn2_b64 vcc, exec, s[0:1]
	v_mov_b32_e32 v7, 0x7fc00000
	s_cbranch_vccnz .LBB34_16
; %bb.14:
	s_mov_b64 s[16:17], 1
	v_mov_b32_e32 v2, 1.0
	v_mov_b32_e32 v7, v3
.LBB34_15:                              ; =>This Inner Loop Header: Depth=1
	s_flbit_i32_b32 s7, s17
	s_min_u32 s7, s7, 32
	s_lshl_b64 s[20:21], s[16:17], s7
	s_min_u32 s19, s20, 1
	s_or_b32 s19, s21, s19
	v_cvt_f32_u32_e32 v8, s19
	s_sub_i32 s7, 32, s7
	s_add_u32 s16, s16, 1
	s_addc_u32 s17, s17, 0
	v_ldexp_f32 v8, v8, s7
	v_mul_f32_e32 v8, v2, v8
	s_cmp_lg_u64 s[12:13], s[16:17]
	v_mov_b32_e32 v2, v7
	v_fma_f32 v7, v3, v7, -v8
	s_cbranch_scc1 .LBB34_15
.LBB34_16:
	s_cbranch_execz .LBB34_18
	s_branch .LBB34_19
.LBB34_17:
.LBB34_18:
	v_mov_b32_e32 v7, v3
.LBB34_19:
	s_and_b64 vcc, exec, s[2:3]
	v_mov_b32_e32 v8, 0
	s_cbranch_vccnz .LBB34_28
; %bb.20:
	s_and_b64 vcc, exec, s[14:15]
	v_mov_b32_e32 v8, 1.0
	s_cbranch_vccnz .LBB34_28
; %bb.21:
	s_cmp_lg_u64 s[12:13], 1
	s_cbranch_scc0 .LBB34_26
; %bb.22:
	s_andn2_b64 vcc, exec, s[0:1]
	v_mov_b32_e32 v8, 0x7fc00000
	s_cbranch_vccnz .LBB34_25
; %bb.23:
	s_mov_b64 s[16:17], 1
	v_mov_b32_e32 v2, 1.0
	v_mov_b32_e32 v8, v4
.LBB34_24:                              ; =>This Inner Loop Header: Depth=1
	s_flbit_i32_b32 s7, s17
	s_min_u32 s7, s7, 32
	s_lshl_b64 s[20:21], s[16:17], s7
	s_min_u32 s19, s20, 1
	s_or_b32 s19, s21, s19
	v_mov_b32_e32 v3, v8
	v_cvt_f32_u32_e32 v8, s19
	s_sub_i32 s7, 32, s7
	s_add_u32 s16, s16, 1
	s_addc_u32 s17, s17, 0
	v_ldexp_f32 v8, v8, s7
	v_mul_f32_e32 v8, v2, v8
	s_cmp_lg_u64 s[12:13], s[16:17]
	v_mov_b32_e32 v2, v3
	v_fma_f32 v8, v4, v3, -v8
	s_cbranch_scc1 .LBB34_24
.LBB34_25:
	s_cbranch_execz .LBB34_27
	s_branch .LBB34_28
.LBB34_26:
.LBB34_27:
	v_mov_b32_e32 v8, v4
.LBB34_28:
	s_and_b64 vcc, exec, s[2:3]
	v_mov_b32_e32 v9, 0
	s_cbranch_vccnz .LBB34_37
; %bb.29:
	s_and_b64 vcc, exec, s[14:15]
	v_mov_b32_e32 v9, 1.0
	s_cbranch_vccnz .LBB34_37
; %bb.30:
	s_cmp_lg_u64 s[12:13], 1
	s_cbranch_scc0 .LBB34_35
; %bb.31:
	s_andn2_b64 vcc, exec, s[0:1]
	v_mov_b32_e32 v9, 0x7fc00000
	s_cbranch_vccnz .LBB34_34
; %bb.32:
	s_mov_b64 s[0:1], 1
	v_mov_b32_e32 v2, 1.0
	v_mov_b32_e32 v9, v5
.LBB34_33:                              ; =>This Inner Loop Header: Depth=1
	s_flbit_i32_b32 s2, s1
	s_min_u32 s7, s2, 32
	s_lshl_b64 s[2:3], s[0:1], s7
	s_min_u32 s2, s2, 1
	s_or_b32 s2, s3, s2
	v_cvt_f32_u32_e32 v4, s2
	s_sub_i32 s7, 32, s7
	s_add_u32 s0, s0, 1
	v_mov_b32_e32 v3, v9
	v_ldexp_f32 v4, v4, s7
	s_addc_u32 s1, s1, 0
	v_mul_f32_e32 v4, v2, v4
	s_cmp_lg_u64 s[12:13], s[0:1]
	v_mov_b32_e32 v2, v9
	v_fma_f32 v9, v5, v3, -v4
	s_cbranch_scc1 .LBB34_33
.LBB34_34:
	s_cbranch_execz .LBB34_36
	s_branch .LBB34_37
.LBB34_35:
.LBB34_36:
	v_mov_b32_e32 v9, v5
.LBB34_37:
	s_add_u32 s0, s8, s4
	s_addc_u32 s1, s9, s5
	global_store_dwordx4 v10, v[6:9], s[0:1]
	s_mov_b64 s[0:1], 0
.LBB34_38:
	s_and_b64 vcc, exec, s[0:1]
	s_cbranch_vccz .LBB34_96
; %bb.39:
	v_cmp_gt_i32_e64 s[0:1], s18, v0
	v_mov_b32_e32 v9, 0
	v_or_b32_e32 v6, s6, v0
	v_mov_b32_e32 v10, 0
	v_mov_b32_e32 v2, v0
	s_and_saveexec_b64 s[2:3], s[0:1]
	s_cbranch_execz .LBB34_41
; %bb.40:
	v_mov_b32_e32 v7, 0
	v_lshlrev_b64 v[2:3], 2, v[6:7]
	v_mov_b32_e32 v4, s11
	v_add_co_u32_e32 v2, vcc, s10, v2
	v_addc_co_u32_e32 v3, vcc, v4, v3, vcc
	global_load_dword v10, v[2:3], off
	v_or_b32_e32 v2, 0x100, v0
.LBB34_41:
	s_or_b64 exec, exec, s[2:3]
	v_cmp_gt_i32_e32 vcc, s18, v2
	s_and_saveexec_b64 s[2:3], vcc
	s_cbranch_execz .LBB34_43
; %bb.42:
	v_add_u32_e32 v4, s6, v2
	v_mov_b32_e32 v5, 0
	v_lshlrev_b64 v[4:5], 2, v[4:5]
	v_mov_b32_e32 v3, s11
	v_add_co_u32_e32 v4, vcc, s10, v4
	v_addc_co_u32_e32 v5, vcc, v3, v5, vcc
	global_load_dword v9, v[4:5], off
	v_add_u32_e32 v2, 0x100, v2
.LBB34_43:
	s_or_b64 exec, exec, s[2:3]
	v_cmp_gt_i32_e32 vcc, s18, v2
	v_mov_b32_e32 v7, 0
	v_mov_b32_e32 v8, 0
	s_and_saveexec_b64 s[2:3], vcc
	s_cbranch_execz .LBB34_45
; %bb.44:
	v_add_u32_e32 v4, s6, v2
	v_mov_b32_e32 v5, 0
	v_lshlrev_b64 v[4:5], 2, v[4:5]
	v_mov_b32_e32 v3, s11
	v_add_co_u32_e32 v4, vcc, s10, v4
	v_addc_co_u32_e32 v5, vcc, v3, v5, vcc
	global_load_dword v8, v[4:5], off
	v_add_u32_e32 v2, 0x100, v2
.LBB34_45:
	s_or_b64 exec, exec, s[2:3]
	v_cmp_gt_i32_e32 vcc, s18, v2
	s_and_saveexec_b64 s[2:3], vcc
	s_cbranch_execz .LBB34_47
; %bb.46:
	v_add_u32_e32 v2, s6, v2
	v_mov_b32_e32 v3, 0
	v_lshlrev_b64 v[2:3], 2, v[2:3]
	v_mov_b32_e32 v4, s11
	v_add_co_u32_e32 v2, vcc, s10, v2
	v_addc_co_u32_e32 v3, vcc, v4, v3, vcc
	global_load_dword v7, v[2:3], off
.LBB34_47:
	s_or_b64 exec, exec, s[2:3]
	s_mov_b32 s2, 0x2f800000
	v_mul_f32_e64 v2, |v1|, s2
	v_floor_f32_e32 v2, v2
	s_mov_b32 s2, 0xcf800000
	v_cvt_u32_f32_e32 v3, v2
	v_fma_f32 v2, v2, s2, |v1|
	v_cvt_u32_f32_e32 v2, v2
	v_readfirstlane_b32 s4, v1
	s_ashr_i32 s4, s4, 31
	v_readfirstlane_b32 s3, v3
	v_readfirstlane_b32 s2, v2
	s_mov_b32 s5, s4
	s_xor_b64 s[2:3], s[2:3], s[4:5]
	s_sub_u32 s10, s2, s4
	s_subb_u32 s11, s3, s4
	v_mov_b32_e32 v2, 0x81
	v_cmp_gt_i64_e64 s[4:5], s[10:11], -1
	v_mov_b32_e32 v3, 0
	v_cndmask_b32_e64 v1, 0, 1, s[4:5]
	v_cmp_lt_u64_e64 s[2:3], s[10:11], v[2:3]
	v_cmp_ne_u32_e64 s[4:5], 1, v1
                                        ; implicit-def: $vgpr2_vgpr3_vgpr4_vgpr5
	s_and_saveexec_b64 s[12:13], s[0:1]
	s_cbranch_execz .LBB34_58
; %bb.48:
	s_and_b64 vcc, exec, s[4:5]
	v_mov_b32_e32 v2, 0
	s_cbranch_vccnz .LBB34_58
; %bb.49:
	v_cmp_lt_i64_e64 s[14:15], s[10:11], 1
	s_and_b64 vcc, exec, s[14:15]
	v_mov_b32_e32 v2, 1.0
	s_cbranch_vccnz .LBB34_58
; %bb.50:
	s_cmp_lg_u64 s[10:11], 1
	s_cbranch_scc0 .LBB34_55
; %bb.51:
	s_andn2_b64 vcc, exec, s[2:3]
	v_mov_b32_e32 v2, 0x7fc00000
	s_cbranch_vccnz .LBB34_54
; %bb.52:
	s_mov_b64 s[14:15], 1
	v_mov_b32_e32 v1, 1.0
	s_waitcnt vmcnt(0)
	v_mov_b32_e32 v2, v10
.LBB34_53:                              ; =>This Inner Loop Header: Depth=1
	s_flbit_i32_b32 s7, s15
	s_min_u32 s7, s7, 32
	s_lshl_b64 s[16:17], s[14:15], s7
	s_min_u32 s16, s16, 1
	s_or_b32 s16, s17, s16
	v_cvt_f32_u32_e32 v3, s16
	s_sub_i32 s7, 32, s7
	s_add_u32 s14, s14, 1
	s_addc_u32 s15, s15, 0
	v_ldexp_f32 v3, v3, s7
	v_mul_f32_e32 v3, v1, v3
	s_cmp_lg_u64 s[10:11], s[14:15]
	v_mov_b32_e32 v1, v2
	v_fma_f32 v2, v10, v2, -v3
	s_cbranch_scc1 .LBB34_53
.LBB34_54:
	s_mov_b64 s[14:15], 0
	s_branch .LBB34_56
.LBB34_55:
	s_mov_b64 s[14:15], -1
                                        ; implicit-def: $vgpr2
.LBB34_56:
	s_andn2_b64 vcc, exec, s[14:15]
	s_cbranch_vccnz .LBB34_58
; %bb.57:
	s_waitcnt vmcnt(0)
	v_mov_b32_e32 v2, v10
.LBB34_58:
	s_or_b64 exec, exec, s[12:13]
	v_or_b32_e32 v1, 0x100, v0
	v_cmp_gt_i32_e32 vcc, s18, v1
	s_and_saveexec_b64 s[12:13], vcc
	s_cbranch_execz .LBB34_69
; %bb.59:
	s_and_b64 vcc, exec, s[4:5]
	v_mov_b32_e32 v3, 0
	s_cbranch_vccnz .LBB34_69
; %bb.60:
	v_cmp_lt_i64_e64 s[14:15], s[10:11], 1
	s_and_b64 vcc, exec, s[14:15]
	v_mov_b32_e32 v3, 1.0
	s_cbranch_vccnz .LBB34_69
; %bb.61:
	s_cmp_lg_u64 s[10:11], 1
	s_cbranch_scc0 .LBB34_66
; %bb.62:
	s_andn2_b64 vcc, exec, s[2:3]
	v_mov_b32_e32 v3, 0x7fc00000
	s_cbranch_vccnz .LBB34_65
; %bb.63:
	s_mov_b64 s[14:15], 1
	s_waitcnt vmcnt(0)
	v_mov_b32_e32 v10, 1.0
	v_mov_b32_e32 v3, v9
.LBB34_64:                              ; =>This Inner Loop Header: Depth=1
	s_flbit_i32_b32 s7, s15
	s_min_u32 s7, s7, 32
	s_lshl_b64 s[16:17], s[14:15], s7
	s_min_u32 s16, s16, 1
	s_or_b32 s16, s17, s16
	v_cvt_f32_u32_e32 v11, s16
	s_sub_i32 s7, 32, s7
	s_add_u32 s14, s14, 1
	s_addc_u32 s15, s15, 0
	v_ldexp_f32 v11, v11, s7
	v_mul_f32_e32 v11, v10, v11
	s_cmp_lg_u64 s[10:11], s[14:15]
	v_mov_b32_e32 v10, v3
	v_fma_f32 v3, v9, v3, -v11
	s_cbranch_scc1 .LBB34_64
.LBB34_65:
	s_mov_b64 s[14:15], 0
	s_branch .LBB34_67
.LBB34_66:
	s_mov_b64 s[14:15], -1
.LBB34_67:
	s_andn2_b64 vcc, exec, s[14:15]
	s_cbranch_vccnz .LBB34_69
; %bb.68:
	s_waitcnt vmcnt(0)
	v_mov_b32_e32 v3, v9
.LBB34_69:
	s_or_b64 exec, exec, s[12:13]
	s_waitcnt vmcnt(0)
	v_or_b32_e32 v9, 0x200, v0
	v_cmp_gt_i32_e32 vcc, s18, v9
	s_and_saveexec_b64 s[12:13], vcc
	s_cbranch_execz .LBB34_80
; %bb.70:
	s_and_b64 vcc, exec, s[4:5]
	v_mov_b32_e32 v4, 0
	s_cbranch_vccnz .LBB34_80
; %bb.71:
	v_cmp_lt_i64_e64 s[14:15], s[10:11], 1
	s_and_b64 vcc, exec, s[14:15]
	v_mov_b32_e32 v4, 1.0
	s_cbranch_vccnz .LBB34_80
; %bb.72:
	s_cmp_lg_u64 s[10:11], 1
	s_cbranch_scc0 .LBB34_77
; %bb.73:
	s_andn2_b64 vcc, exec, s[2:3]
	v_mov_b32_e32 v4, 0x7fc00000
	s_cbranch_vccnz .LBB34_76
; %bb.74:
	s_mov_b64 s[14:15], 1
	v_mov_b32_e32 v9, 1.0
	v_mov_b32_e32 v4, v8
.LBB34_75:                              ; =>This Inner Loop Header: Depth=1
	s_flbit_i32_b32 s7, s15
	s_min_u32 s7, s7, 32
	s_lshl_b64 s[16:17], s[14:15], s7
	s_min_u32 s16, s16, 1
	s_or_b32 s16, s17, s16
	v_cvt_f32_u32_e32 v10, s16
	s_sub_i32 s7, 32, s7
	s_add_u32 s14, s14, 1
	s_addc_u32 s15, s15, 0
	v_ldexp_f32 v10, v10, s7
	v_mul_f32_e32 v10, v9, v10
	s_cmp_lg_u64 s[10:11], s[14:15]
	v_mov_b32_e32 v9, v4
	v_fma_f32 v4, v8, v4, -v10
	s_cbranch_scc1 .LBB34_75
.LBB34_76:
	s_mov_b64 s[14:15], 0
	s_branch .LBB34_78
.LBB34_77:
	s_mov_b64 s[14:15], -1
.LBB34_78:
	s_andn2_b64 vcc, exec, s[14:15]
	s_cbranch_vccnz .LBB34_80
; %bb.79:
	v_mov_b32_e32 v4, v8
.LBB34_80:
	s_or_b64 exec, exec, s[12:13]
	v_or_b32_e32 v8, 0x300, v0
	v_cmp_gt_i32_e32 vcc, s18, v8
	s_and_saveexec_b64 s[12:13], vcc
	s_cbranch_execz .LBB34_91
; %bb.81:
	s_and_b64 vcc, exec, s[4:5]
	v_mov_b32_e32 v5, 0
	s_cbranch_vccnz .LBB34_91
; %bb.82:
	v_cmp_lt_i64_e64 s[4:5], s[10:11], 1
	s_and_b64 vcc, exec, s[4:5]
	v_mov_b32_e32 v5, 1.0
	s_cbranch_vccnz .LBB34_91
; %bb.83:
	s_cmp_lg_u64 s[10:11], 1
	s_cbranch_scc0 .LBB34_88
; %bb.84:
	s_andn2_b64 vcc, exec, s[2:3]
	v_mov_b32_e32 v5, 0x7fc00000
	s_cbranch_vccnz .LBB34_87
; %bb.85:
	s_mov_b64 s[2:3], 1
	v_mov_b32_e32 v8, 1.0
	v_mov_b32_e32 v5, v7
.LBB34_86:                              ; =>This Inner Loop Header: Depth=1
	s_flbit_i32_b32 s4, s3
	s_min_u32 s7, s4, 32
	s_lshl_b64 s[4:5], s[2:3], s7
	s_min_u32 s4, s4, 1
	s_or_b32 s4, s5, s4
	v_cvt_f32_u32_e32 v9, s4
	s_sub_i32 s7, 32, s7
	s_add_u32 s2, s2, 1
	s_addc_u32 s3, s3, 0
	v_ldexp_f32 v9, v9, s7
	v_mul_f32_e32 v9, v8, v9
	s_cmp_lg_u64 s[10:11], s[2:3]
	v_mov_b32_e32 v8, v5
	v_fma_f32 v5, v7, v5, -v9
	s_cbranch_scc1 .LBB34_86
.LBB34_87:
	s_mov_b64 s[2:3], 0
	s_branch .LBB34_89
.LBB34_88:
	s_mov_b64 s[2:3], -1
.LBB34_89:
	s_andn2_b64 vcc, exec, s[2:3]
	s_cbranch_vccnz .LBB34_91
; %bb.90:
	v_mov_b32_e32 v5, v7
.LBB34_91:
	s_or_b64 exec, exec, s[12:13]
	s_and_saveexec_b64 s[2:3], s[0:1]
	s_xor_b64 s[0:1], exec, s[2:3]
	s_cbranch_execnz .LBB34_97
; %bb.92:
	s_or_b64 exec, exec, s[0:1]
	v_cmp_gt_i32_e32 vcc, s18, v0
	s_and_saveexec_b64 s[0:1], vcc
	s_cbranch_execnz .LBB34_98
.LBB34_93:
	s_or_b64 exec, exec, s[0:1]
	v_cmp_gt_i32_e32 vcc, s18, v0
	s_and_saveexec_b64 s[0:1], vcc
	s_cbranch_execnz .LBB34_99
.LBB34_94:
	s_or_b64 exec, exec, s[0:1]
	v_cmp_gt_i32_e32 vcc, s18, v0
	s_and_saveexec_b64 s[0:1], vcc
	s_cbranch_execz .LBB34_96
.LBB34_95:
	v_add_u32_e32 v0, s6, v0
	v_mov_b32_e32 v1, 0
	v_lshlrev_b64 v[0:1], 2, v[0:1]
	v_mov_b32_e32 v2, s9
	v_add_co_u32_e32 v0, vcc, s8, v0
	v_addc_co_u32_e32 v1, vcc, v2, v1, vcc
	global_store_dword v[0:1], v5, off
.LBB34_96:
	s_endpgm
.LBB34_97:
	v_mov_b32_e32 v7, 0
	v_lshlrev_b64 v[6:7], 2, v[6:7]
	v_mov_b32_e32 v0, s9
	v_add_co_u32_e32 v6, vcc, s8, v6
	v_addc_co_u32_e32 v7, vcc, v0, v7, vcc
	v_mov_b32_e32 v0, v1
	global_store_dword v[6:7], v2, off
	s_or_b64 exec, exec, s[0:1]
	v_cmp_gt_i32_e32 vcc, s18, v0
	s_and_saveexec_b64 s[0:1], vcc
	s_cbranch_execz .LBB34_93
.LBB34_98:
	v_add_u32_e32 v6, s6, v0
	v_mov_b32_e32 v7, 0
	v_lshlrev_b64 v[6:7], 2, v[6:7]
	v_mov_b32_e32 v1, s9
	v_add_co_u32_e32 v6, vcc, s8, v6
	v_addc_co_u32_e32 v7, vcc, v1, v7, vcc
	v_add_u32_e32 v0, 0x100, v0
	global_store_dword v[6:7], v3, off
	s_or_b64 exec, exec, s[0:1]
	v_cmp_gt_i32_e32 vcc, s18, v0
	s_and_saveexec_b64 s[0:1], vcc
	s_cbranch_execz .LBB34_94
.LBB34_99:
	v_add_u32_e32 v2, s6, v0
	v_mov_b32_e32 v3, 0
	v_lshlrev_b64 v[2:3], 2, v[2:3]
	v_mov_b32_e32 v1, s9
	v_add_co_u32_e32 v2, vcc, s8, v2
	v_addc_co_u32_e32 v3, vcc, v1, v3, vcc
	v_add_u32_e32 v0, 0x100, v0
	global_store_dword v[2:3], v4, off
	s_or_b64 exec, exec, s[0:1]
	v_cmp_gt_i32_e32 vcc, s18, v0
	s_and_saveexec_b64 s[0:1], vcc
	s_cbranch_execnz .LBB34_95
	s_branch .LBB34_96
	.section	.rodata,"a",@progbits
	.p2align	6, 0x0
	.amdhsa_kernel _ZN2at6native29vectorized_elementwise_kernelILi4ENS0_13BUnaryFunctorIfffZZZNS0_12_GLOBAL__N_133hermite_polynomial_he_kernel_cudaERNS_18TensorIteratorBaseEENKUlvE_clEvENKUlvE0_clEvEUlffE_EESt5arrayIPcLm2EEEEviT0_T1_
		.amdhsa_group_segment_fixed_size 0
		.amdhsa_private_segment_fixed_size 0
		.amdhsa_kernarg_size 32
		.amdhsa_user_sgpr_count 6
		.amdhsa_user_sgpr_private_segment_buffer 1
		.amdhsa_user_sgpr_dispatch_ptr 0
		.amdhsa_user_sgpr_queue_ptr 0
		.amdhsa_user_sgpr_kernarg_segment_ptr 1
		.amdhsa_user_sgpr_dispatch_id 0
		.amdhsa_user_sgpr_flat_scratch_init 0
		.amdhsa_user_sgpr_kernarg_preload_length 0
		.amdhsa_user_sgpr_kernarg_preload_offset 0
		.amdhsa_user_sgpr_private_segment_size 0
		.amdhsa_uses_dynamic_stack 0
		.amdhsa_system_sgpr_private_segment_wavefront_offset 0
		.amdhsa_system_sgpr_workgroup_id_x 1
		.amdhsa_system_sgpr_workgroup_id_y 0
		.amdhsa_system_sgpr_workgroup_id_z 0
		.amdhsa_system_sgpr_workgroup_info 0
		.amdhsa_system_vgpr_workitem_id 0
		.amdhsa_next_free_vgpr 12
		.amdhsa_next_free_sgpr 22
		.amdhsa_accum_offset 12
		.amdhsa_reserve_vcc 1
		.amdhsa_reserve_flat_scratch 0
		.amdhsa_float_round_mode_32 0
		.amdhsa_float_round_mode_16_64 0
		.amdhsa_float_denorm_mode_32 3
		.amdhsa_float_denorm_mode_16_64 3
		.amdhsa_dx10_clamp 1
		.amdhsa_ieee_mode 1
		.amdhsa_fp16_overflow 0
		.amdhsa_tg_split 0
		.amdhsa_exception_fp_ieee_invalid_op 0
		.amdhsa_exception_fp_denorm_src 0
		.amdhsa_exception_fp_ieee_div_zero 0
		.amdhsa_exception_fp_ieee_overflow 0
		.amdhsa_exception_fp_ieee_underflow 0
		.amdhsa_exception_fp_ieee_inexact 0
		.amdhsa_exception_int_div_zero 0
	.end_amdhsa_kernel
	.section	.text._ZN2at6native29vectorized_elementwise_kernelILi4ENS0_13BUnaryFunctorIfffZZZNS0_12_GLOBAL__N_133hermite_polynomial_he_kernel_cudaERNS_18TensorIteratorBaseEENKUlvE_clEvENKUlvE0_clEvEUlffE_EESt5arrayIPcLm2EEEEviT0_T1_,"axG",@progbits,_ZN2at6native29vectorized_elementwise_kernelILi4ENS0_13BUnaryFunctorIfffZZZNS0_12_GLOBAL__N_133hermite_polynomial_he_kernel_cudaERNS_18TensorIteratorBaseEENKUlvE_clEvENKUlvE0_clEvEUlffE_EESt5arrayIPcLm2EEEEviT0_T1_,comdat
.Lfunc_end34:
	.size	_ZN2at6native29vectorized_elementwise_kernelILi4ENS0_13BUnaryFunctorIfffZZZNS0_12_GLOBAL__N_133hermite_polynomial_he_kernel_cudaERNS_18TensorIteratorBaseEENKUlvE_clEvENKUlvE0_clEvEUlffE_EESt5arrayIPcLm2EEEEviT0_T1_, .Lfunc_end34-_ZN2at6native29vectorized_elementwise_kernelILi4ENS0_13BUnaryFunctorIfffZZZNS0_12_GLOBAL__N_133hermite_polynomial_he_kernel_cudaERNS_18TensorIteratorBaseEENKUlvE_clEvENKUlvE0_clEvEUlffE_EESt5arrayIPcLm2EEEEviT0_T1_
                                        ; -- End function
	.section	.AMDGPU.csdata,"",@progbits
; Kernel info:
; codeLenInByte = 2220
; NumSgprs: 26
; NumVgprs: 12
; NumAgprs: 0
; TotalNumVgprs: 12
; ScratchSize: 0
; MemoryBound: 0
; FloatMode: 240
; IeeeMode: 1
; LDSByteSize: 0 bytes/workgroup (compile time only)
; SGPRBlocks: 3
; VGPRBlocks: 1
; NumSGPRsForWavesPerEU: 26
; NumVGPRsForWavesPerEU: 12
; AccumOffset: 12
; Occupancy: 8
; WaveLimiterHint : 0
; COMPUTE_PGM_RSRC2:SCRATCH_EN: 0
; COMPUTE_PGM_RSRC2:USER_SGPR: 6
; COMPUTE_PGM_RSRC2:TRAP_HANDLER: 0
; COMPUTE_PGM_RSRC2:TGID_X_EN: 1
; COMPUTE_PGM_RSRC2:TGID_Y_EN: 0
; COMPUTE_PGM_RSRC2:TGID_Z_EN: 0
; COMPUTE_PGM_RSRC2:TIDIG_COMP_CNT: 0
; COMPUTE_PGM_RSRC3_GFX90A:ACCUM_OFFSET: 2
; COMPUTE_PGM_RSRC3_GFX90A:TG_SPLIT: 0
	.section	.text._ZN2at6native29vectorized_elementwise_kernelILi2ENS0_13BUnaryFunctorIfffZZZNS0_12_GLOBAL__N_133hermite_polynomial_he_kernel_cudaERNS_18TensorIteratorBaseEENKUlvE_clEvENKUlvE0_clEvEUlffE_EESt5arrayIPcLm2EEEEviT0_T1_,"axG",@progbits,_ZN2at6native29vectorized_elementwise_kernelILi2ENS0_13BUnaryFunctorIfffZZZNS0_12_GLOBAL__N_133hermite_polynomial_he_kernel_cudaERNS_18TensorIteratorBaseEENKUlvE_clEvENKUlvE0_clEvEUlffE_EESt5arrayIPcLm2EEEEviT0_T1_,comdat
	.globl	_ZN2at6native29vectorized_elementwise_kernelILi2ENS0_13BUnaryFunctorIfffZZZNS0_12_GLOBAL__N_133hermite_polynomial_he_kernel_cudaERNS_18TensorIteratorBaseEENKUlvE_clEvENKUlvE0_clEvEUlffE_EESt5arrayIPcLm2EEEEviT0_T1_ ; -- Begin function _ZN2at6native29vectorized_elementwise_kernelILi2ENS0_13BUnaryFunctorIfffZZZNS0_12_GLOBAL__N_133hermite_polynomial_he_kernel_cudaERNS_18TensorIteratorBaseEENKUlvE_clEvENKUlvE0_clEvEUlffE_EESt5arrayIPcLm2EEEEviT0_T1_
	.p2align	8
	.type	_ZN2at6native29vectorized_elementwise_kernelILi2ENS0_13BUnaryFunctorIfffZZZNS0_12_GLOBAL__N_133hermite_polynomial_he_kernel_cudaERNS_18TensorIteratorBaseEENKUlvE_clEvENKUlvE0_clEvEUlffE_EESt5arrayIPcLm2EEEEviT0_T1_,@function
_ZN2at6native29vectorized_elementwise_kernelILi2ENS0_13BUnaryFunctorIfffZZZNS0_12_GLOBAL__N_133hermite_polynomial_he_kernel_cudaERNS_18TensorIteratorBaseEENKUlvE_clEvENKUlvE0_clEvEUlffE_EESt5arrayIPcLm2EEEEviT0_T1_: ; @_ZN2at6native29vectorized_elementwise_kernelILi2ENS0_13BUnaryFunctorIfffZZZNS0_12_GLOBAL__N_133hermite_polynomial_he_kernel_cudaERNS_18TensorIteratorBaseEENKUlvE_clEvENKUlvE0_clEvEUlffE_EESt5arrayIPcLm2EEEEviT0_T1_
; %bb.0:
	s_load_dword s0, s[4:5], 0x0
	s_load_dword s2, s[4:5], 0x8
	s_load_dwordx4 s[8:11], s[4:5], 0x10
	s_lshl_b32 s6, s6, 10
	s_waitcnt lgkmcnt(0)
	s_sub_i32 s18, s0, s6
	s_mov_b64 s[0:1], -1
	s_cmpk_gt_i32 s18, 0x3ff
	v_trunc_f32_e32 v1, s2
	s_cbranch_scc0 .LBB35_38
; %bb.1:
	s_ashr_i32 s7, s6, 31
	s_lshl_b64 s[4:5], s[6:7], 2
	s_add_u32 s0, s10, s4
	s_addc_u32 s1, s11, s5
	v_lshlrev_b32_e32 v8, 3, v0
	global_load_dwordx2 v[6:7], v8, s[0:1]
	global_load_dwordx2 v[2:3], v8, s[0:1] offset:2048
	s_mov_b32 s0, 0x2f800000
	v_mul_f32_e64 v4, |v1|, s0
	v_floor_f32_e32 v4, v4
	s_mov_b32 s0, 0xcf800000
	v_fma_f32 v5, v4, s0, |v1|
	v_cvt_u32_f32_e32 v5, v5
	v_cvt_u32_f32_e32 v9, v4
	v_readfirstlane_b32 s2, v1
	s_ashr_i32 s2, s2, 31
	v_readfirstlane_b32 s0, v5
	v_readfirstlane_b32 s1, v9
	s_mov_b32 s3, s2
	s_xor_b64 s[0:1], s[0:1], s[2:3]
	s_sub_u32 s12, s0, s2
	s_subb_u32 s13, s1, s2
	v_mov_b32_e32 v10, 0x81
	v_cmp_lt_i64_e64 s[2:3], s[12:13], 0
	v_mov_b32_e32 v11, 0
	v_mov_b32_e32 v4, 0
	v_cmp_gt_i64_e64 s[16:17], s[12:13], -1
	v_cmp_lt_u64_e64 s[0:1], s[12:13], v[10:11]
	s_and_b64 vcc, exec, s[2:3]
	v_cmp_lt_i64_e64 s[14:15], s[12:13], 1
	s_cbranch_vccnz .LBB35_10
; %bb.2:
	s_and_b64 vcc, exec, s[14:15]
	v_mov_b32_e32 v4, 1.0
	s_cbranch_vccnz .LBB35_10
; %bb.3:
	s_cmp_lg_u64 s[12:13], 1
	s_cbranch_scc0 .LBB35_8
; %bb.4:
	s_andn2_b64 vcc, exec, s[0:1]
	v_mov_b32_e32 v4, 0x7fc00000
	s_cbranch_vccnz .LBB35_7
; %bb.5:
	s_mov_b64 s[2:3], 1
	v_mov_b32_e32 v5, 1.0
	s_waitcnt vmcnt(1)
	v_mov_b32_e32 v4, v6
.LBB35_6:                               ; =>This Inner Loop Header: Depth=1
	s_flbit_i32_b32 s7, s3
	s_min_u32 s7, s7, 32
	s_lshl_b64 s[20:21], s[2:3], s7
	s_min_u32 s19, s20, 1
	s_or_b32 s19, s21, s19
	v_cvt_f32_u32_e32 v9, s19
	s_sub_i32 s7, 32, s7
	s_add_u32 s2, s2, 1
	s_addc_u32 s3, s3, 0
	v_ldexp_f32 v9, v9, s7
	v_mul_f32_e32 v9, v5, v9
	s_cmp_lg_u64 s[12:13], s[2:3]
	v_mov_b32_e32 v5, v4
	v_fma_f32 v4, v6, v4, -v9
	s_cbranch_scc1 .LBB35_6
.LBB35_7:
	s_cbranch_execz .LBB35_9
	s_branch .LBB35_10
.LBB35_8:
                                        ; implicit-def: $vgpr4
.LBB35_9:
	s_waitcnt vmcnt(1)
	v_mov_b32_e32 v4, v6
.LBB35_10:
	v_cndmask_b32_e64 v5, 0, 1, s[16:17]
	v_cmp_ne_u32_e64 s[2:3], 1, v5
	s_andn2_b64 vcc, exec, s[16:17]
	v_mov_b32_e32 v5, 0
	s_cbranch_vccnz .LBB35_19
; %bb.11:
	s_and_b64 vcc, exec, s[14:15]
	v_mov_b32_e32 v5, 1.0
	s_cbranch_vccnz .LBB35_19
; %bb.12:
	s_cmp_lg_u64 s[12:13], 1
	s_cbranch_scc0 .LBB35_17
; %bb.13:
	s_andn2_b64 vcc, exec, s[0:1]
	v_mov_b32_e32 v5, 0x7fc00000
	s_cbranch_vccnz .LBB35_16
; %bb.14:
	s_mov_b64 s[16:17], 1
	s_waitcnt vmcnt(1)
	v_mov_b32_e32 v6, 1.0
	v_mov_b32_e32 v5, v7
.LBB35_15:                              ; =>This Inner Loop Header: Depth=1
	s_flbit_i32_b32 s7, s17
	s_min_u32 s7, s7, 32
	s_lshl_b64 s[20:21], s[16:17], s7
	s_min_u32 s19, s20, 1
	s_or_b32 s19, s21, s19
	v_cvt_f32_u32_e32 v9, s19
	s_sub_i32 s7, 32, s7
	s_add_u32 s16, s16, 1
	s_addc_u32 s17, s17, 0
	v_ldexp_f32 v9, v9, s7
	v_mul_f32_e32 v9, v6, v9
	s_cmp_lg_u64 s[12:13], s[16:17]
	v_mov_b32_e32 v6, v5
	v_fma_f32 v5, v7, v5, -v9
	s_cbranch_scc1 .LBB35_15
.LBB35_16:
	s_cbranch_execz .LBB35_18
	s_branch .LBB35_19
.LBB35_17:
.LBB35_18:
	s_waitcnt vmcnt(1)
	v_mov_b32_e32 v5, v7
.LBB35_19:
	s_and_b64 vcc, exec, s[2:3]
	s_waitcnt vmcnt(1)
	v_mov_b32_e32 v6, 0
	s_cbranch_vccnz .LBB35_28
; %bb.20:
	s_and_b64 vcc, exec, s[14:15]
	v_mov_b32_e32 v6, 1.0
	s_cbranch_vccnz .LBB35_28
; %bb.21:
	s_cmp_lg_u64 s[12:13], 1
	s_cbranch_scc0 .LBB35_26
; %bb.22:
	s_andn2_b64 vcc, exec, s[0:1]
	v_mov_b32_e32 v6, 0x7fc00000
	s_cbranch_vccnz .LBB35_25
; %bb.23:
	s_mov_b64 s[16:17], 1
	v_mov_b32_e32 v7, 1.0
	s_waitcnt vmcnt(0)
	v_mov_b32_e32 v6, v2
.LBB35_24:                              ; =>This Inner Loop Header: Depth=1
	s_flbit_i32_b32 s7, s17
	s_min_u32 s7, s7, 32
	s_lshl_b64 s[20:21], s[16:17], s7
	s_min_u32 s19, s20, 1
	s_or_b32 s19, s21, s19
	v_cvt_f32_u32_e32 v9, s19
	s_sub_i32 s7, 32, s7
	s_add_u32 s16, s16, 1
	s_addc_u32 s17, s17, 0
	v_ldexp_f32 v9, v9, s7
	v_mul_f32_e32 v9, v7, v9
	s_cmp_lg_u64 s[12:13], s[16:17]
	v_mov_b32_e32 v7, v6
	v_fma_f32 v6, v2, v6, -v9
	s_cbranch_scc1 .LBB35_24
.LBB35_25:
	s_cbranch_execz .LBB35_27
	s_branch .LBB35_28
.LBB35_26:
                                        ; implicit-def: $vgpr6
.LBB35_27:
	s_waitcnt vmcnt(0)
	v_mov_b32_e32 v6, v2
.LBB35_28:
	s_and_b64 vcc, exec, s[2:3]
	v_mov_b32_e32 v7, 0
	s_cbranch_vccnz .LBB35_37
; %bb.29:
	s_and_b64 vcc, exec, s[14:15]
	v_mov_b32_e32 v7, 1.0
	s_cbranch_vccnz .LBB35_37
; %bb.30:
	s_cmp_lg_u64 s[12:13], 1
	s_cbranch_scc0 .LBB35_35
; %bb.31:
	s_andn2_b64 vcc, exec, s[0:1]
	v_mov_b32_e32 v7, 0x7fc00000
	s_cbranch_vccnz .LBB35_34
; %bb.32:
	s_mov_b64 s[0:1], 1
	s_waitcnt vmcnt(0)
	v_mov_b32_e32 v2, 1.0
	v_mov_b32_e32 v7, v3
.LBB35_33:                              ; =>This Inner Loop Header: Depth=1
	s_flbit_i32_b32 s2, s1
	s_min_u32 s7, s2, 32
	s_lshl_b64 s[2:3], s[0:1], s7
	s_min_u32 s2, s2, 1
	s_or_b32 s2, s3, s2
	v_cvt_f32_u32_e32 v9, s2
	s_sub_i32 s7, 32, s7
	s_add_u32 s0, s0, 1
	s_addc_u32 s1, s1, 0
	v_ldexp_f32 v9, v9, s7
	v_mul_f32_e32 v9, v2, v9
	s_cmp_lg_u64 s[12:13], s[0:1]
	v_mov_b32_e32 v2, v7
	v_fma_f32 v7, v3, v7, -v9
	s_cbranch_scc1 .LBB35_33
.LBB35_34:
	s_cbranch_execz .LBB35_36
	s_branch .LBB35_37
.LBB35_35:
.LBB35_36:
	s_waitcnt vmcnt(0)
	v_mov_b32_e32 v7, v3
.LBB35_37:
	s_add_u32 s0, s8, s4
	s_addc_u32 s1, s9, s5
	global_store_dwordx2 v8, v[4:5], s[0:1]
	global_store_dwordx2 v8, v[6:7], s[0:1] offset:2048
	s_mov_b64 s[0:1], 0
.LBB35_38:
	s_and_b64 vcc, exec, s[0:1]
	s_cbranch_vccz .LBB35_96
; %bb.39:
	v_cmp_gt_i32_e64 s[0:1], s18, v0
	v_mov_b32_e32 v9, 0
	v_or_b32_e32 v6, s6, v0
	v_mov_b32_e32 v10, 0
	s_waitcnt vmcnt(2)
	v_mov_b32_e32 v2, v0
	s_and_saveexec_b64 s[2:3], s[0:1]
	s_cbranch_execz .LBB35_41
; %bb.40:
	v_mov_b32_e32 v7, 0
	v_lshlrev_b64 v[2:3], 2, v[6:7]
	v_mov_b32_e32 v4, s11
	v_add_co_u32_e32 v2, vcc, s10, v2
	v_addc_co_u32_e32 v3, vcc, v4, v3, vcc
	global_load_dword v10, v[2:3], off
	v_or_b32_e32 v2, 0x100, v0
.LBB35_41:
	s_or_b64 exec, exec, s[2:3]
	v_cmp_gt_i32_e32 vcc, s18, v2
	s_and_saveexec_b64 s[2:3], vcc
	s_cbranch_execz .LBB35_43
; %bb.42:
	v_add_u32_e32 v4, s6, v2
	v_mov_b32_e32 v5, 0
	v_lshlrev_b64 v[4:5], 2, v[4:5]
	v_mov_b32_e32 v3, s11
	v_add_co_u32_e32 v4, vcc, s10, v4
	v_addc_co_u32_e32 v5, vcc, v3, v5, vcc
	global_load_dword v9, v[4:5], off
	v_add_u32_e32 v2, 0x100, v2
.LBB35_43:
	s_or_b64 exec, exec, s[2:3]
	v_cmp_gt_i32_e32 vcc, s18, v2
	v_mov_b32_e32 v7, 0
	v_mov_b32_e32 v8, 0
	s_and_saveexec_b64 s[2:3], vcc
	s_cbranch_execz .LBB35_45
; %bb.44:
	v_add_u32_e32 v4, s6, v2
	v_mov_b32_e32 v5, 0
	v_lshlrev_b64 v[4:5], 2, v[4:5]
	v_mov_b32_e32 v3, s11
	v_add_co_u32_e32 v4, vcc, s10, v4
	v_addc_co_u32_e32 v5, vcc, v3, v5, vcc
	global_load_dword v8, v[4:5], off
	v_add_u32_e32 v2, 0x100, v2
.LBB35_45:
	s_or_b64 exec, exec, s[2:3]
	v_cmp_gt_i32_e32 vcc, s18, v2
	s_and_saveexec_b64 s[2:3], vcc
	s_cbranch_execz .LBB35_47
; %bb.46:
	v_add_u32_e32 v2, s6, v2
	v_mov_b32_e32 v3, 0
	v_lshlrev_b64 v[2:3], 2, v[2:3]
	v_mov_b32_e32 v4, s11
	v_add_co_u32_e32 v2, vcc, s10, v2
	v_addc_co_u32_e32 v3, vcc, v4, v3, vcc
	global_load_dword v7, v[2:3], off
.LBB35_47:
	s_or_b64 exec, exec, s[2:3]
	s_mov_b32 s2, 0x2f800000
	v_mul_f32_e64 v2, |v1|, s2
	v_floor_f32_e32 v2, v2
	s_mov_b32 s2, 0xcf800000
	v_cvt_u32_f32_e32 v3, v2
	v_fma_f32 v2, v2, s2, |v1|
	v_cvt_u32_f32_e32 v2, v2
	v_readfirstlane_b32 s4, v1
	s_ashr_i32 s4, s4, 31
	v_readfirstlane_b32 s3, v3
	v_readfirstlane_b32 s2, v2
	s_mov_b32 s5, s4
	s_xor_b64 s[2:3], s[2:3], s[4:5]
	s_sub_u32 s10, s2, s4
	s_subb_u32 s11, s3, s4
	v_mov_b32_e32 v2, 0x81
	v_cmp_gt_i64_e64 s[4:5], s[10:11], -1
	v_mov_b32_e32 v3, 0
	v_cndmask_b32_e64 v1, 0, 1, s[4:5]
	v_cmp_lt_u64_e64 s[2:3], s[10:11], v[2:3]
	v_cmp_ne_u32_e64 s[4:5], 1, v1
                                        ; implicit-def: $vgpr2_vgpr3_vgpr4_vgpr5
	s_and_saveexec_b64 s[12:13], s[0:1]
	s_cbranch_execz .LBB35_58
; %bb.48:
	s_and_b64 vcc, exec, s[4:5]
	v_mov_b32_e32 v2, 0
	s_cbranch_vccnz .LBB35_58
; %bb.49:
	v_cmp_lt_i64_e64 s[14:15], s[10:11], 1
	s_and_b64 vcc, exec, s[14:15]
	v_mov_b32_e32 v2, 1.0
	s_cbranch_vccnz .LBB35_58
; %bb.50:
	s_cmp_lg_u64 s[10:11], 1
	s_cbranch_scc0 .LBB35_55
; %bb.51:
	s_andn2_b64 vcc, exec, s[2:3]
	v_mov_b32_e32 v2, 0x7fc00000
	s_cbranch_vccnz .LBB35_54
; %bb.52:
	s_mov_b64 s[14:15], 1
	v_mov_b32_e32 v1, 1.0
	s_waitcnt vmcnt(0)
	v_mov_b32_e32 v2, v10
.LBB35_53:                              ; =>This Inner Loop Header: Depth=1
	s_flbit_i32_b32 s7, s15
	s_min_u32 s7, s7, 32
	s_lshl_b64 s[16:17], s[14:15], s7
	s_min_u32 s16, s16, 1
	s_or_b32 s16, s17, s16
	v_cvt_f32_u32_e32 v3, s16
	s_sub_i32 s7, 32, s7
	s_add_u32 s14, s14, 1
	s_addc_u32 s15, s15, 0
	v_ldexp_f32 v3, v3, s7
	v_mul_f32_e32 v3, v1, v3
	s_cmp_lg_u64 s[10:11], s[14:15]
	v_mov_b32_e32 v1, v2
	v_fma_f32 v2, v10, v2, -v3
	s_cbranch_scc1 .LBB35_53
.LBB35_54:
	s_mov_b64 s[14:15], 0
	s_branch .LBB35_56
.LBB35_55:
	s_mov_b64 s[14:15], -1
                                        ; implicit-def: $vgpr2
.LBB35_56:
	s_andn2_b64 vcc, exec, s[14:15]
	s_cbranch_vccnz .LBB35_58
; %bb.57:
	s_waitcnt vmcnt(0)
	v_mov_b32_e32 v2, v10
.LBB35_58:
	s_or_b64 exec, exec, s[12:13]
	v_or_b32_e32 v1, 0x100, v0
	v_cmp_gt_i32_e32 vcc, s18, v1
	s_and_saveexec_b64 s[12:13], vcc
	s_cbranch_execz .LBB35_69
; %bb.59:
	s_and_b64 vcc, exec, s[4:5]
	v_mov_b32_e32 v3, 0
	s_cbranch_vccnz .LBB35_69
; %bb.60:
	v_cmp_lt_i64_e64 s[14:15], s[10:11], 1
	s_and_b64 vcc, exec, s[14:15]
	v_mov_b32_e32 v3, 1.0
	s_cbranch_vccnz .LBB35_69
; %bb.61:
	s_cmp_lg_u64 s[10:11], 1
	s_cbranch_scc0 .LBB35_66
; %bb.62:
	s_andn2_b64 vcc, exec, s[2:3]
	v_mov_b32_e32 v3, 0x7fc00000
	s_cbranch_vccnz .LBB35_65
; %bb.63:
	s_mov_b64 s[14:15], 1
	s_waitcnt vmcnt(0)
	v_mov_b32_e32 v10, 1.0
	v_mov_b32_e32 v3, v9
.LBB35_64:                              ; =>This Inner Loop Header: Depth=1
	s_flbit_i32_b32 s7, s15
	s_min_u32 s7, s7, 32
	s_lshl_b64 s[16:17], s[14:15], s7
	s_min_u32 s16, s16, 1
	s_or_b32 s16, s17, s16
	v_cvt_f32_u32_e32 v11, s16
	s_sub_i32 s7, 32, s7
	s_add_u32 s14, s14, 1
	s_addc_u32 s15, s15, 0
	v_ldexp_f32 v11, v11, s7
	v_mul_f32_e32 v11, v10, v11
	s_cmp_lg_u64 s[10:11], s[14:15]
	v_mov_b32_e32 v10, v3
	v_fma_f32 v3, v9, v3, -v11
	s_cbranch_scc1 .LBB35_64
.LBB35_65:
	s_mov_b64 s[14:15], 0
	s_branch .LBB35_67
.LBB35_66:
	s_mov_b64 s[14:15], -1
.LBB35_67:
	s_andn2_b64 vcc, exec, s[14:15]
	s_cbranch_vccnz .LBB35_69
; %bb.68:
	s_waitcnt vmcnt(0)
	v_mov_b32_e32 v3, v9
.LBB35_69:
	s_or_b64 exec, exec, s[12:13]
	s_waitcnt vmcnt(0)
	v_or_b32_e32 v9, 0x200, v0
	v_cmp_gt_i32_e32 vcc, s18, v9
	s_and_saveexec_b64 s[12:13], vcc
	s_cbranch_execz .LBB35_80
; %bb.70:
	s_and_b64 vcc, exec, s[4:5]
	v_mov_b32_e32 v4, 0
	s_cbranch_vccnz .LBB35_80
; %bb.71:
	v_cmp_lt_i64_e64 s[14:15], s[10:11], 1
	s_and_b64 vcc, exec, s[14:15]
	v_mov_b32_e32 v4, 1.0
	s_cbranch_vccnz .LBB35_80
; %bb.72:
	s_cmp_lg_u64 s[10:11], 1
	s_cbranch_scc0 .LBB35_77
; %bb.73:
	s_andn2_b64 vcc, exec, s[2:3]
	v_mov_b32_e32 v4, 0x7fc00000
	s_cbranch_vccnz .LBB35_76
; %bb.74:
	s_mov_b64 s[14:15], 1
	v_mov_b32_e32 v9, 1.0
	v_mov_b32_e32 v4, v8
.LBB35_75:                              ; =>This Inner Loop Header: Depth=1
	s_flbit_i32_b32 s7, s15
	s_min_u32 s7, s7, 32
	s_lshl_b64 s[16:17], s[14:15], s7
	s_min_u32 s16, s16, 1
	s_or_b32 s16, s17, s16
	v_cvt_f32_u32_e32 v10, s16
	s_sub_i32 s7, 32, s7
	s_add_u32 s14, s14, 1
	s_addc_u32 s15, s15, 0
	v_ldexp_f32 v10, v10, s7
	v_mul_f32_e32 v10, v9, v10
	s_cmp_lg_u64 s[10:11], s[14:15]
	v_mov_b32_e32 v9, v4
	v_fma_f32 v4, v8, v4, -v10
	s_cbranch_scc1 .LBB35_75
.LBB35_76:
	s_mov_b64 s[14:15], 0
	s_branch .LBB35_78
.LBB35_77:
	s_mov_b64 s[14:15], -1
.LBB35_78:
	s_andn2_b64 vcc, exec, s[14:15]
	s_cbranch_vccnz .LBB35_80
; %bb.79:
	v_mov_b32_e32 v4, v8
.LBB35_80:
	s_or_b64 exec, exec, s[12:13]
	v_or_b32_e32 v8, 0x300, v0
	v_cmp_gt_i32_e32 vcc, s18, v8
	s_and_saveexec_b64 s[12:13], vcc
	s_cbranch_execz .LBB35_91
; %bb.81:
	s_and_b64 vcc, exec, s[4:5]
	v_mov_b32_e32 v5, 0
	s_cbranch_vccnz .LBB35_91
; %bb.82:
	v_cmp_lt_i64_e64 s[4:5], s[10:11], 1
	s_and_b64 vcc, exec, s[4:5]
	v_mov_b32_e32 v5, 1.0
	s_cbranch_vccnz .LBB35_91
; %bb.83:
	s_cmp_lg_u64 s[10:11], 1
	s_cbranch_scc0 .LBB35_88
; %bb.84:
	s_andn2_b64 vcc, exec, s[2:3]
	v_mov_b32_e32 v5, 0x7fc00000
	s_cbranch_vccnz .LBB35_87
; %bb.85:
	s_mov_b64 s[2:3], 1
	v_mov_b32_e32 v8, 1.0
	v_mov_b32_e32 v5, v7
.LBB35_86:                              ; =>This Inner Loop Header: Depth=1
	s_flbit_i32_b32 s4, s3
	s_min_u32 s7, s4, 32
	s_lshl_b64 s[4:5], s[2:3], s7
	s_min_u32 s4, s4, 1
	s_or_b32 s4, s5, s4
	v_cvt_f32_u32_e32 v9, s4
	s_sub_i32 s7, 32, s7
	s_add_u32 s2, s2, 1
	s_addc_u32 s3, s3, 0
	v_ldexp_f32 v9, v9, s7
	v_mul_f32_e32 v9, v8, v9
	s_cmp_lg_u64 s[10:11], s[2:3]
	v_mov_b32_e32 v8, v5
	v_fma_f32 v5, v7, v5, -v9
	s_cbranch_scc1 .LBB35_86
.LBB35_87:
	s_mov_b64 s[2:3], 0
	s_branch .LBB35_89
.LBB35_88:
	s_mov_b64 s[2:3], -1
.LBB35_89:
	s_andn2_b64 vcc, exec, s[2:3]
	s_cbranch_vccnz .LBB35_91
; %bb.90:
	v_mov_b32_e32 v5, v7
.LBB35_91:
	s_or_b64 exec, exec, s[12:13]
	s_and_saveexec_b64 s[2:3], s[0:1]
	s_xor_b64 s[0:1], exec, s[2:3]
	s_cbranch_execnz .LBB35_97
; %bb.92:
	s_or_b64 exec, exec, s[0:1]
	v_cmp_gt_i32_e32 vcc, s18, v0
	s_and_saveexec_b64 s[0:1], vcc
	s_cbranch_execnz .LBB35_98
.LBB35_93:
	s_or_b64 exec, exec, s[0:1]
	v_cmp_gt_i32_e32 vcc, s18, v0
	s_and_saveexec_b64 s[0:1], vcc
	s_cbranch_execnz .LBB35_99
.LBB35_94:
	s_or_b64 exec, exec, s[0:1]
	v_cmp_gt_i32_e32 vcc, s18, v0
	s_and_saveexec_b64 s[0:1], vcc
	s_cbranch_execz .LBB35_96
.LBB35_95:
	v_add_u32_e32 v0, s6, v0
	v_mov_b32_e32 v1, 0
	v_lshlrev_b64 v[0:1], 2, v[0:1]
	v_mov_b32_e32 v2, s9
	v_add_co_u32_e32 v0, vcc, s8, v0
	v_addc_co_u32_e32 v1, vcc, v2, v1, vcc
	global_store_dword v[0:1], v5, off
.LBB35_96:
	s_endpgm
.LBB35_97:
	v_mov_b32_e32 v7, 0
	v_lshlrev_b64 v[6:7], 2, v[6:7]
	v_mov_b32_e32 v0, s9
	v_add_co_u32_e32 v6, vcc, s8, v6
	v_addc_co_u32_e32 v7, vcc, v0, v7, vcc
	v_mov_b32_e32 v0, v1
	global_store_dword v[6:7], v2, off
	s_or_b64 exec, exec, s[0:1]
	v_cmp_gt_i32_e32 vcc, s18, v0
	s_and_saveexec_b64 s[0:1], vcc
	s_cbranch_execz .LBB35_93
.LBB35_98:
	v_add_u32_e32 v6, s6, v0
	v_mov_b32_e32 v7, 0
	v_lshlrev_b64 v[6:7], 2, v[6:7]
	v_mov_b32_e32 v1, s9
	v_add_co_u32_e32 v6, vcc, s8, v6
	v_addc_co_u32_e32 v7, vcc, v1, v7, vcc
	v_add_u32_e32 v0, 0x100, v0
	global_store_dword v[6:7], v3, off
	s_or_b64 exec, exec, s[0:1]
	v_cmp_gt_i32_e32 vcc, s18, v0
	s_and_saveexec_b64 s[0:1], vcc
	s_cbranch_execz .LBB35_94
.LBB35_99:
	v_add_u32_e32 v2, s6, v0
	v_mov_b32_e32 v3, 0
	v_lshlrev_b64 v[2:3], 2, v[2:3]
	v_mov_b32_e32 v1, s9
	v_add_co_u32_e32 v2, vcc, s8, v2
	v_addc_co_u32_e32 v3, vcc, v1, v3, vcc
	v_add_u32_e32 v0, 0x100, v0
	global_store_dword v[2:3], v4, off
	s_or_b64 exec, exec, s[0:1]
	v_cmp_gt_i32_e32 vcc, s18, v0
	s_and_saveexec_b64 s[0:1], vcc
	s_cbranch_execnz .LBB35_95
	s_branch .LBB35_96
	.section	.rodata,"a",@progbits
	.p2align	6, 0x0
	.amdhsa_kernel _ZN2at6native29vectorized_elementwise_kernelILi2ENS0_13BUnaryFunctorIfffZZZNS0_12_GLOBAL__N_133hermite_polynomial_he_kernel_cudaERNS_18TensorIteratorBaseEENKUlvE_clEvENKUlvE0_clEvEUlffE_EESt5arrayIPcLm2EEEEviT0_T1_
		.amdhsa_group_segment_fixed_size 0
		.amdhsa_private_segment_fixed_size 0
		.amdhsa_kernarg_size 32
		.amdhsa_user_sgpr_count 6
		.amdhsa_user_sgpr_private_segment_buffer 1
		.amdhsa_user_sgpr_dispatch_ptr 0
		.amdhsa_user_sgpr_queue_ptr 0
		.amdhsa_user_sgpr_kernarg_segment_ptr 1
		.amdhsa_user_sgpr_dispatch_id 0
		.amdhsa_user_sgpr_flat_scratch_init 0
		.amdhsa_user_sgpr_kernarg_preload_length 0
		.amdhsa_user_sgpr_kernarg_preload_offset 0
		.amdhsa_user_sgpr_private_segment_size 0
		.amdhsa_uses_dynamic_stack 0
		.amdhsa_system_sgpr_private_segment_wavefront_offset 0
		.amdhsa_system_sgpr_workgroup_id_x 1
		.amdhsa_system_sgpr_workgroup_id_y 0
		.amdhsa_system_sgpr_workgroup_id_z 0
		.amdhsa_system_sgpr_workgroup_info 0
		.amdhsa_system_vgpr_workitem_id 0
		.amdhsa_next_free_vgpr 12
		.amdhsa_next_free_sgpr 22
		.amdhsa_accum_offset 12
		.amdhsa_reserve_vcc 1
		.amdhsa_reserve_flat_scratch 0
		.amdhsa_float_round_mode_32 0
		.amdhsa_float_round_mode_16_64 0
		.amdhsa_float_denorm_mode_32 3
		.amdhsa_float_denorm_mode_16_64 3
		.amdhsa_dx10_clamp 1
		.amdhsa_ieee_mode 1
		.amdhsa_fp16_overflow 0
		.amdhsa_tg_split 0
		.amdhsa_exception_fp_ieee_invalid_op 0
		.amdhsa_exception_fp_denorm_src 0
		.amdhsa_exception_fp_ieee_div_zero 0
		.amdhsa_exception_fp_ieee_overflow 0
		.amdhsa_exception_fp_ieee_underflow 0
		.amdhsa_exception_fp_ieee_inexact 0
		.amdhsa_exception_int_div_zero 0
	.end_amdhsa_kernel
	.section	.text._ZN2at6native29vectorized_elementwise_kernelILi2ENS0_13BUnaryFunctorIfffZZZNS0_12_GLOBAL__N_133hermite_polynomial_he_kernel_cudaERNS_18TensorIteratorBaseEENKUlvE_clEvENKUlvE0_clEvEUlffE_EESt5arrayIPcLm2EEEEviT0_T1_,"axG",@progbits,_ZN2at6native29vectorized_elementwise_kernelILi2ENS0_13BUnaryFunctorIfffZZZNS0_12_GLOBAL__N_133hermite_polynomial_he_kernel_cudaERNS_18TensorIteratorBaseEENKUlvE_clEvENKUlvE0_clEvEUlffE_EESt5arrayIPcLm2EEEEviT0_T1_,comdat
.Lfunc_end35:
	.size	_ZN2at6native29vectorized_elementwise_kernelILi2ENS0_13BUnaryFunctorIfffZZZNS0_12_GLOBAL__N_133hermite_polynomial_he_kernel_cudaERNS_18TensorIteratorBaseEENKUlvE_clEvENKUlvE0_clEvEUlffE_EESt5arrayIPcLm2EEEEviT0_T1_, .Lfunc_end35-_ZN2at6native29vectorized_elementwise_kernelILi2ENS0_13BUnaryFunctorIfffZZZNS0_12_GLOBAL__N_133hermite_polynomial_he_kernel_cudaERNS_18TensorIteratorBaseEENKUlvE_clEvENKUlvE0_clEvEUlffE_EESt5arrayIPcLm2EEEEviT0_T1_
                                        ; -- End function
	.section	.AMDGPU.csdata,"",@progbits
; Kernel info:
; codeLenInByte = 2256
; NumSgprs: 26
; NumVgprs: 12
; NumAgprs: 0
; TotalNumVgprs: 12
; ScratchSize: 0
; MemoryBound: 0
; FloatMode: 240
; IeeeMode: 1
; LDSByteSize: 0 bytes/workgroup (compile time only)
; SGPRBlocks: 3
; VGPRBlocks: 1
; NumSGPRsForWavesPerEU: 26
; NumVGPRsForWavesPerEU: 12
; AccumOffset: 12
; Occupancy: 8
; WaveLimiterHint : 1
; COMPUTE_PGM_RSRC2:SCRATCH_EN: 0
; COMPUTE_PGM_RSRC2:USER_SGPR: 6
; COMPUTE_PGM_RSRC2:TRAP_HANDLER: 0
; COMPUTE_PGM_RSRC2:TGID_X_EN: 1
; COMPUTE_PGM_RSRC2:TGID_Y_EN: 0
; COMPUTE_PGM_RSRC2:TGID_Z_EN: 0
; COMPUTE_PGM_RSRC2:TIDIG_COMP_CNT: 0
; COMPUTE_PGM_RSRC3_GFX90A:ACCUM_OFFSET: 2
; COMPUTE_PGM_RSRC3_GFX90A:TG_SPLIT: 0
	.section	.text._ZN2at6native27unrolled_elementwise_kernelINS0_13BUnaryFunctorIfffZZZNS0_12_GLOBAL__N_133hermite_polynomial_he_kernel_cudaERNS_18TensorIteratorBaseEENKUlvE_clEvENKUlvE0_clEvEUlffE_EESt5arrayIPcLm2EELi4E23TrivialOffsetCalculatorILi1EjESE_NS0_6memory15LoadWithoutCastENSF_16StoreWithoutCastEEEviT_T0_T2_T3_T4_T5_,"axG",@progbits,_ZN2at6native27unrolled_elementwise_kernelINS0_13BUnaryFunctorIfffZZZNS0_12_GLOBAL__N_133hermite_polynomial_he_kernel_cudaERNS_18TensorIteratorBaseEENKUlvE_clEvENKUlvE0_clEvEUlffE_EESt5arrayIPcLm2EELi4E23TrivialOffsetCalculatorILi1EjESE_NS0_6memory15LoadWithoutCastENSF_16StoreWithoutCastEEEviT_T0_T2_T3_T4_T5_,comdat
	.globl	_ZN2at6native27unrolled_elementwise_kernelINS0_13BUnaryFunctorIfffZZZNS0_12_GLOBAL__N_133hermite_polynomial_he_kernel_cudaERNS_18TensorIteratorBaseEENKUlvE_clEvENKUlvE0_clEvEUlffE_EESt5arrayIPcLm2EELi4E23TrivialOffsetCalculatorILi1EjESE_NS0_6memory15LoadWithoutCastENSF_16StoreWithoutCastEEEviT_T0_T2_T3_T4_T5_ ; -- Begin function _ZN2at6native27unrolled_elementwise_kernelINS0_13BUnaryFunctorIfffZZZNS0_12_GLOBAL__N_133hermite_polynomial_he_kernel_cudaERNS_18TensorIteratorBaseEENKUlvE_clEvENKUlvE0_clEvEUlffE_EESt5arrayIPcLm2EELi4E23TrivialOffsetCalculatorILi1EjESE_NS0_6memory15LoadWithoutCastENSF_16StoreWithoutCastEEEviT_T0_T2_T3_T4_T5_
	.p2align	8
	.type	_ZN2at6native27unrolled_elementwise_kernelINS0_13BUnaryFunctorIfffZZZNS0_12_GLOBAL__N_133hermite_polynomial_he_kernel_cudaERNS_18TensorIteratorBaseEENKUlvE_clEvENKUlvE0_clEvEUlffE_EESt5arrayIPcLm2EELi4E23TrivialOffsetCalculatorILi1EjESE_NS0_6memory15LoadWithoutCastENSF_16StoreWithoutCastEEEviT_T0_T2_T3_T4_T5_,@function
_ZN2at6native27unrolled_elementwise_kernelINS0_13BUnaryFunctorIfffZZZNS0_12_GLOBAL__N_133hermite_polynomial_he_kernel_cudaERNS_18TensorIteratorBaseEENKUlvE_clEvENKUlvE0_clEvEUlffE_EESt5arrayIPcLm2EELi4E23TrivialOffsetCalculatorILi1EjESE_NS0_6memory15LoadWithoutCastENSF_16StoreWithoutCastEEEviT_T0_T2_T3_T4_T5_: ; @_ZN2at6native27unrolled_elementwise_kernelINS0_13BUnaryFunctorIfffZZZNS0_12_GLOBAL__N_133hermite_polynomial_he_kernel_cudaERNS_18TensorIteratorBaseEENKUlvE_clEvENKUlvE0_clEvEUlffE_EESt5arrayIPcLm2EELi4E23TrivialOffsetCalculatorILi1EjESE_NS0_6memory15LoadWithoutCastENSF_16StoreWithoutCastEEEviT_T0_T2_T3_T4_T5_
; %bb.0:
	s_load_dword s0, s[4:5], 0x0
	s_load_dwordx4 s[8:11], s[4:5], 0x10
	s_lshl_b32 s14, s6, 10
	v_mov_b32_e32 v9, 0
	v_or_b32_e32 v6, s14, v0
	s_waitcnt lgkmcnt(0)
	s_sub_i32 s15, s0, s14
	v_cmp_gt_i32_e64 s[0:1], s15, v0
	v_mov_b32_e32 v8, 0
	v_mov_b32_e32 v2, v0
	s_and_saveexec_b64 s[2:3], s[0:1]
	s_cbranch_execz .LBB36_2
; %bb.1:
	v_mov_b32_e32 v7, 0
	v_lshlrev_b64 v[2:3], 2, v[6:7]
	v_mov_b32_e32 v1, s11
	v_add_co_u32_e32 v2, vcc, s10, v2
	v_addc_co_u32_e32 v3, vcc, v1, v3, vcc
	global_load_dword v8, v[2:3], off
	v_or_b32_e32 v2, 0x100, v0
.LBB36_2:
	s_or_b64 exec, exec, s[2:3]
	v_cmp_gt_i32_e32 vcc, s15, v2
	s_and_saveexec_b64 s[2:3], vcc
	s_cbranch_execz .LBB36_4
; %bb.3:
	v_add_u32_e32 v4, s14, v2
	v_mov_b32_e32 v5, 0
	v_lshlrev_b64 v[4:5], 2, v[4:5]
	v_mov_b32_e32 v1, s11
	v_add_co_u32_e32 v4, vcc, s10, v4
	v_addc_co_u32_e32 v5, vcc, v1, v5, vcc
	global_load_dword v9, v[4:5], off
	v_add_u32_e32 v2, 0x100, v2
.LBB36_4:
	s_or_b64 exec, exec, s[2:3]
	v_cmp_gt_i32_e32 vcc, s15, v2
	v_mov_b32_e32 v1, 0
	v_mov_b32_e32 v7, 0
	s_and_saveexec_b64 s[2:3], vcc
	s_cbranch_execz .LBB36_6
; %bb.5:
	v_add_u32_e32 v4, s14, v2
	v_mov_b32_e32 v5, 0
	v_lshlrev_b64 v[4:5], 2, v[4:5]
	v_mov_b32_e32 v3, s11
	v_add_co_u32_e32 v4, vcc, s10, v4
	v_addc_co_u32_e32 v5, vcc, v3, v5, vcc
	global_load_dword v7, v[4:5], off
	v_add_u32_e32 v2, 0x100, v2
.LBB36_6:
	s_or_b64 exec, exec, s[2:3]
	s_load_dword s4, s[4:5], 0x8
	v_cmp_gt_i32_e32 vcc, s15, v2
	s_and_saveexec_b64 s[2:3], vcc
	s_cbranch_execz .LBB36_8
; %bb.7:
	v_add_u32_e32 v2, s14, v2
	v_mov_b32_e32 v3, 0
	v_lshlrev_b64 v[2:3], 2, v[2:3]
	v_mov_b32_e32 v1, s11
	v_add_co_u32_e32 v2, vcc, s10, v2
	v_addc_co_u32_e32 v3, vcc, v1, v3, vcc
	global_load_dword v1, v[2:3], off
.LBB36_8:
	s_or_b64 exec, exec, s[2:3]
	s_waitcnt lgkmcnt(0)
	v_trunc_f32_e32 v2, s4
	s_mov_b32 s2, 0x2f800000
	v_mul_f32_e64 v3, |v2|, s2
	v_floor_f32_e32 v3, v3
	s_mov_b32 s2, 0xcf800000
	v_fma_f32 v4, v3, s2, |v2|
	v_cvt_u32_f32_e32 v4, v4
	v_cvt_u32_f32_e32 v3, v3
	v_readfirstlane_b32 s4, v2
	s_ashr_i32 s4, s4, 31
	v_readfirstlane_b32 s2, v4
	v_readfirstlane_b32 s3, v3
	s_mov_b32 s5, s4
	s_xor_b64 s[2:3], s[2:3], s[4:5]
	s_sub_u32 s6, s2, s4
	s_subb_u32 s7, s3, s4
	v_mov_b32_e32 v2, 0x81
	v_mov_b32_e32 v3, 0
	v_cmp_gt_i64_e64 s[4:5], s[6:7], -1
	v_cmp_lt_u64_e64 s[2:3], s[6:7], v[2:3]
	v_cndmask_b32_e64 v2, 0, 1, s[4:5]
	v_cmp_ne_u32_e64 s[4:5], 1, v2
                                        ; implicit-def: $vgpr2_vgpr3_vgpr4_vgpr5
	s_and_saveexec_b64 s[10:11], s[0:1]
	s_cbranch_execz .LBB36_18
; %bb.9:
	s_and_b64 vcc, exec, s[4:5]
	v_mov_b32_e32 v2, 0
	s_cbranch_vccnz .LBB36_18
; %bb.10:
	v_cmp_lt_i64_e64 s[12:13], s[6:7], 1
	s_and_b64 vcc, exec, s[12:13]
	v_mov_b32_e32 v2, 1.0
	s_cbranch_vccnz .LBB36_18
; %bb.11:
	s_cmp_lg_u64 s[6:7], 1
	s_cbranch_scc0 .LBB36_16
; %bb.12:
	s_andn2_b64 vcc, exec, s[2:3]
	v_mov_b32_e32 v2, 0x7fc00000
	s_cbranch_vccnz .LBB36_15
; %bb.13:
	s_mov_b64 s[12:13], 1
	v_mov_b32_e32 v3, 1.0
	s_waitcnt vmcnt(0)
	v_mov_b32_e32 v2, v8
.LBB36_14:                              ; =>This Inner Loop Header: Depth=1
	s_flbit_i32_b32 s16, s13
	s_min_u32 s18, s16, 32
	s_lshl_b64 s[16:17], s[12:13], s18
	s_min_u32 s16, s16, 1
	s_or_b32 s16, s17, s16
	v_cvt_f32_u32_e32 v4, s16
	s_sub_i32 s18, 32, s18
	s_add_u32 s12, s12, 1
	s_addc_u32 s13, s13, 0
	v_ldexp_f32 v4, v4, s18
	v_mul_f32_e32 v4, v3, v4
	s_cmp_lg_u64 s[6:7], s[12:13]
	v_mov_b32_e32 v3, v2
	v_fma_f32 v2, v8, v2, -v4
	s_cbranch_scc1 .LBB36_14
.LBB36_15:
	s_cbranch_execz .LBB36_17
	s_branch .LBB36_18
.LBB36_16:
                                        ; implicit-def: $vgpr2
.LBB36_17:
	s_waitcnt vmcnt(0)
	v_mov_b32_e32 v2, v8
.LBB36_18:
	s_or_b64 exec, exec, s[10:11]
	s_waitcnt vmcnt(0)
	v_or_b32_e32 v8, 0x100, v0
	v_cmp_gt_i32_e32 vcc, s15, v8
	s_and_saveexec_b64 s[10:11], vcc
	s_cbranch_execz .LBB36_28
; %bb.19:
	s_and_b64 vcc, exec, s[4:5]
	v_mov_b32_e32 v3, 0
	s_cbranch_vccnz .LBB36_28
; %bb.20:
	v_cmp_lt_i64_e64 s[12:13], s[6:7], 1
	s_and_b64 vcc, exec, s[12:13]
	v_mov_b32_e32 v3, 1.0
	s_cbranch_vccnz .LBB36_28
; %bb.21:
	s_cmp_lg_u64 s[6:7], 1
	s_cbranch_scc0 .LBB36_26
; %bb.22:
	s_andn2_b64 vcc, exec, s[2:3]
	v_mov_b32_e32 v3, 0x7fc00000
	s_cbranch_vccnz .LBB36_25
; %bb.23:
	s_mov_b64 s[12:13], 1
	v_mov_b32_e32 v10, 1.0
	v_mov_b32_e32 v3, v9
.LBB36_24:                              ; =>This Inner Loop Header: Depth=1
	s_flbit_i32_b32 s16, s13
	s_min_u32 s18, s16, 32
	s_lshl_b64 s[16:17], s[12:13], s18
	s_min_u32 s16, s16, 1
	s_or_b32 s16, s17, s16
	v_cvt_f32_u32_e32 v11, s16
	s_sub_i32 s18, 32, s18
	s_add_u32 s12, s12, 1
	s_addc_u32 s13, s13, 0
	v_ldexp_f32 v11, v11, s18
	v_mul_f32_e32 v11, v10, v11
	s_cmp_lg_u64 s[6:7], s[12:13]
	v_mov_b32_e32 v10, v3
	v_fma_f32 v3, v9, v3, -v11
	s_cbranch_scc1 .LBB36_24
.LBB36_25:
	s_cbranch_execz .LBB36_27
	s_branch .LBB36_28
.LBB36_26:
.LBB36_27:
	v_mov_b32_e32 v3, v9
.LBB36_28:
	s_or_b64 exec, exec, s[10:11]
	v_or_b32_e32 v9, 0x200, v0
	v_cmp_gt_i32_e32 vcc, s15, v9
	s_and_saveexec_b64 s[10:11], vcc
	s_cbranch_execz .LBB36_38
; %bb.29:
	s_and_b64 vcc, exec, s[4:5]
	v_mov_b32_e32 v4, 0
	s_cbranch_vccnz .LBB36_38
; %bb.30:
	v_cmp_lt_i64_e64 s[12:13], s[6:7], 1
	s_and_b64 vcc, exec, s[12:13]
	v_mov_b32_e32 v4, 1.0
	s_cbranch_vccnz .LBB36_38
; %bb.31:
	s_cmp_lg_u64 s[6:7], 1
	s_cbranch_scc0 .LBB36_36
; %bb.32:
	s_andn2_b64 vcc, exec, s[2:3]
	v_mov_b32_e32 v4, 0x7fc00000
	s_cbranch_vccnz .LBB36_35
; %bb.33:
	s_mov_b64 s[12:13], 1
	v_mov_b32_e32 v9, 1.0
	v_mov_b32_e32 v4, v7
.LBB36_34:                              ; =>This Inner Loop Header: Depth=1
	s_flbit_i32_b32 s16, s13
	s_min_u32 s18, s16, 32
	s_lshl_b64 s[16:17], s[12:13], s18
	s_min_u32 s16, s16, 1
	s_or_b32 s16, s17, s16
	v_cvt_f32_u32_e32 v10, s16
	s_sub_i32 s18, 32, s18
	s_add_u32 s12, s12, 1
	s_addc_u32 s13, s13, 0
	v_ldexp_f32 v10, v10, s18
	v_mul_f32_e32 v10, v9, v10
	s_cmp_lg_u64 s[6:7], s[12:13]
	v_mov_b32_e32 v9, v4
	v_fma_f32 v4, v7, v4, -v10
	s_cbranch_scc1 .LBB36_34
.LBB36_35:
	s_cbranch_execz .LBB36_37
	s_branch .LBB36_38
.LBB36_36:
.LBB36_37:
	v_mov_b32_e32 v4, v7
.LBB36_38:
	s_or_b64 exec, exec, s[10:11]
	;; [unrolled: 48-line block ×3, first 2 shown]
	s_and_saveexec_b64 s[2:3], s[0:1]
	s_xor_b64 s[0:1], exec, s[2:3]
	s_cbranch_execnz .LBB36_53
; %bb.49:
	s_or_b64 exec, exec, s[0:1]
	v_cmp_gt_i32_e32 vcc, s15, v0
	s_and_saveexec_b64 s[0:1], vcc
	s_cbranch_execnz .LBB36_54
.LBB36_50:
	s_or_b64 exec, exec, s[0:1]
	v_cmp_gt_i32_e32 vcc, s15, v0
	s_and_saveexec_b64 s[0:1], vcc
	s_cbranch_execnz .LBB36_55
.LBB36_51:
	s_or_b64 exec, exec, s[0:1]
	v_cmp_gt_i32_e32 vcc, s15, v0
	s_and_saveexec_b64 s[0:1], vcc
	s_cbranch_execnz .LBB36_56
.LBB36_52:
	s_endpgm
.LBB36_53:
	v_mov_b32_e32 v7, 0
	v_lshlrev_b64 v[0:1], 2, v[6:7]
	v_mov_b32_e32 v6, s9
	v_add_co_u32_e32 v0, vcc, s8, v0
	v_addc_co_u32_e32 v1, vcc, v6, v1, vcc
	global_store_dword v[0:1], v2, off
	v_mov_b32_e32 v0, v8
	s_or_b64 exec, exec, s[0:1]
	v_cmp_gt_i32_e32 vcc, s15, v0
	s_and_saveexec_b64 s[0:1], vcc
	s_cbranch_execz .LBB36_50
.LBB36_54:
	v_add_u32_e32 v2, 0x100, v0
	v_add_u32_e32 v0, s14, v0
	v_mov_b32_e32 v1, 0
	v_lshlrev_b64 v[0:1], 2, v[0:1]
	v_mov_b32_e32 v6, s9
	v_add_co_u32_e32 v0, vcc, s8, v0
	v_addc_co_u32_e32 v1, vcc, v6, v1, vcc
	global_store_dword v[0:1], v3, off
	v_mov_b32_e32 v0, v2
	s_or_b64 exec, exec, s[0:1]
	v_cmp_gt_i32_e32 vcc, s15, v0
	s_and_saveexec_b64 s[0:1], vcc
	s_cbranch_execz .LBB36_51
.LBB36_55:
	v_add_u32_e32 v2, 0x100, v0
	v_add_u32_e32 v0, s14, v0
	v_mov_b32_e32 v1, 0
	v_lshlrev_b64 v[0:1], 2, v[0:1]
	v_mov_b32_e32 v3, s9
	v_add_co_u32_e32 v0, vcc, s8, v0
	v_addc_co_u32_e32 v1, vcc, v3, v1, vcc
	global_store_dword v[0:1], v4, off
	v_mov_b32_e32 v0, v2
	s_or_b64 exec, exec, s[0:1]
	v_cmp_gt_i32_e32 vcc, s15, v0
	s_and_saveexec_b64 s[0:1], vcc
	s_cbranch_execz .LBB36_52
.LBB36_56:
	v_add_u32_e32 v0, s14, v0
	v_mov_b32_e32 v1, 0
	v_lshlrev_b64 v[0:1], 2, v[0:1]
	v_mov_b32_e32 v2, s9
	v_add_co_u32_e32 v0, vcc, s8, v0
	v_addc_co_u32_e32 v1, vcc, v2, v1, vcc
	global_store_dword v[0:1], v5, off
	s_endpgm
	.section	.rodata,"a",@progbits
	.p2align	6, 0x0
	.amdhsa_kernel _ZN2at6native27unrolled_elementwise_kernelINS0_13BUnaryFunctorIfffZZZNS0_12_GLOBAL__N_133hermite_polynomial_he_kernel_cudaERNS_18TensorIteratorBaseEENKUlvE_clEvENKUlvE0_clEvEUlffE_EESt5arrayIPcLm2EELi4E23TrivialOffsetCalculatorILi1EjESE_NS0_6memory15LoadWithoutCastENSF_16StoreWithoutCastEEEviT_T0_T2_T3_T4_T5_
		.amdhsa_group_segment_fixed_size 0
		.amdhsa_private_segment_fixed_size 0
		.amdhsa_kernarg_size 36
		.amdhsa_user_sgpr_count 6
		.amdhsa_user_sgpr_private_segment_buffer 1
		.amdhsa_user_sgpr_dispatch_ptr 0
		.amdhsa_user_sgpr_queue_ptr 0
		.amdhsa_user_sgpr_kernarg_segment_ptr 1
		.amdhsa_user_sgpr_dispatch_id 0
		.amdhsa_user_sgpr_flat_scratch_init 0
		.amdhsa_user_sgpr_kernarg_preload_length 0
		.amdhsa_user_sgpr_kernarg_preload_offset 0
		.amdhsa_user_sgpr_private_segment_size 0
		.amdhsa_uses_dynamic_stack 0
		.amdhsa_system_sgpr_private_segment_wavefront_offset 0
		.amdhsa_system_sgpr_workgroup_id_x 1
		.amdhsa_system_sgpr_workgroup_id_y 0
		.amdhsa_system_sgpr_workgroup_id_z 0
		.amdhsa_system_sgpr_workgroup_info 0
		.amdhsa_system_vgpr_workitem_id 0
		.amdhsa_next_free_vgpr 12
		.amdhsa_next_free_sgpr 19
		.amdhsa_accum_offset 12
		.amdhsa_reserve_vcc 1
		.amdhsa_reserve_flat_scratch 0
		.amdhsa_float_round_mode_32 0
		.amdhsa_float_round_mode_16_64 0
		.amdhsa_float_denorm_mode_32 3
		.amdhsa_float_denorm_mode_16_64 3
		.amdhsa_dx10_clamp 1
		.amdhsa_ieee_mode 1
		.amdhsa_fp16_overflow 0
		.amdhsa_tg_split 0
		.amdhsa_exception_fp_ieee_invalid_op 0
		.amdhsa_exception_fp_denorm_src 0
		.amdhsa_exception_fp_ieee_div_zero 0
		.amdhsa_exception_fp_ieee_overflow 0
		.amdhsa_exception_fp_ieee_underflow 0
		.amdhsa_exception_fp_ieee_inexact 0
		.amdhsa_exception_int_div_zero 0
	.end_amdhsa_kernel
	.section	.text._ZN2at6native27unrolled_elementwise_kernelINS0_13BUnaryFunctorIfffZZZNS0_12_GLOBAL__N_133hermite_polynomial_he_kernel_cudaERNS_18TensorIteratorBaseEENKUlvE_clEvENKUlvE0_clEvEUlffE_EESt5arrayIPcLm2EELi4E23TrivialOffsetCalculatorILi1EjESE_NS0_6memory15LoadWithoutCastENSF_16StoreWithoutCastEEEviT_T0_T2_T3_T4_T5_,"axG",@progbits,_ZN2at6native27unrolled_elementwise_kernelINS0_13BUnaryFunctorIfffZZZNS0_12_GLOBAL__N_133hermite_polynomial_he_kernel_cudaERNS_18TensorIteratorBaseEENKUlvE_clEvENKUlvE0_clEvEUlffE_EESt5arrayIPcLm2EELi4E23TrivialOffsetCalculatorILi1EjESE_NS0_6memory15LoadWithoutCastENSF_16StoreWithoutCastEEEviT_T0_T2_T3_T4_T5_,comdat
.Lfunc_end36:
	.size	_ZN2at6native27unrolled_elementwise_kernelINS0_13BUnaryFunctorIfffZZZNS0_12_GLOBAL__N_133hermite_polynomial_he_kernel_cudaERNS_18TensorIteratorBaseEENKUlvE_clEvENKUlvE0_clEvEUlffE_EESt5arrayIPcLm2EELi4E23TrivialOffsetCalculatorILi1EjESE_NS0_6memory15LoadWithoutCastENSF_16StoreWithoutCastEEEviT_T0_T2_T3_T4_T5_, .Lfunc_end36-_ZN2at6native27unrolled_elementwise_kernelINS0_13BUnaryFunctorIfffZZZNS0_12_GLOBAL__N_133hermite_polynomial_he_kernel_cudaERNS_18TensorIteratorBaseEENKUlvE_clEvENKUlvE0_clEvEUlffE_EESt5arrayIPcLm2EELi4E23TrivialOffsetCalculatorILi1EjESE_NS0_6memory15LoadWithoutCastENSF_16StoreWithoutCastEEEviT_T0_T2_T3_T4_T5_
                                        ; -- End function
	.section	.AMDGPU.csdata,"",@progbits
; Kernel info:
; codeLenInByte = 1392
; NumSgprs: 23
; NumVgprs: 12
; NumAgprs: 0
; TotalNumVgprs: 12
; ScratchSize: 0
; MemoryBound: 0
; FloatMode: 240
; IeeeMode: 1
; LDSByteSize: 0 bytes/workgroup (compile time only)
; SGPRBlocks: 2
; VGPRBlocks: 1
; NumSGPRsForWavesPerEU: 23
; NumVGPRsForWavesPerEU: 12
; AccumOffset: 12
; Occupancy: 8
; WaveLimiterHint : 0
; COMPUTE_PGM_RSRC2:SCRATCH_EN: 0
; COMPUTE_PGM_RSRC2:USER_SGPR: 6
; COMPUTE_PGM_RSRC2:TRAP_HANDLER: 0
; COMPUTE_PGM_RSRC2:TGID_X_EN: 1
; COMPUTE_PGM_RSRC2:TGID_Y_EN: 0
; COMPUTE_PGM_RSRC2:TGID_Z_EN: 0
; COMPUTE_PGM_RSRC2:TIDIG_COMP_CNT: 0
; COMPUTE_PGM_RSRC3_GFX90A:ACCUM_OFFSET: 2
; COMPUTE_PGM_RSRC3_GFX90A:TG_SPLIT: 0
	.section	.text._ZN2at6native32elementwise_kernel_manual_unrollILi128ELi4EZNS0_22gpu_kernel_impl_nocastINS0_13BUnaryFunctorIfffZZZNS0_12_GLOBAL__N_133hermite_polynomial_he_kernel_cudaERNS_18TensorIteratorBaseEENKUlvE_clEvENKUlvE0_clEvEUlffE_EEEEvS6_RKT_EUlibE_EEviT1_,"axG",@progbits,_ZN2at6native32elementwise_kernel_manual_unrollILi128ELi4EZNS0_22gpu_kernel_impl_nocastINS0_13BUnaryFunctorIfffZZZNS0_12_GLOBAL__N_133hermite_polynomial_he_kernel_cudaERNS_18TensorIteratorBaseEENKUlvE_clEvENKUlvE0_clEvEUlffE_EEEEvS6_RKT_EUlibE_EEviT1_,comdat
	.globl	_ZN2at6native32elementwise_kernel_manual_unrollILi128ELi4EZNS0_22gpu_kernel_impl_nocastINS0_13BUnaryFunctorIfffZZZNS0_12_GLOBAL__N_133hermite_polynomial_he_kernel_cudaERNS_18TensorIteratorBaseEENKUlvE_clEvENKUlvE0_clEvEUlffE_EEEEvS6_RKT_EUlibE_EEviT1_ ; -- Begin function _ZN2at6native32elementwise_kernel_manual_unrollILi128ELi4EZNS0_22gpu_kernel_impl_nocastINS0_13BUnaryFunctorIfffZZZNS0_12_GLOBAL__N_133hermite_polynomial_he_kernel_cudaERNS_18TensorIteratorBaseEENKUlvE_clEvENKUlvE0_clEvEUlffE_EEEEvS6_RKT_EUlibE_EEviT1_
	.p2align	8
	.type	_ZN2at6native32elementwise_kernel_manual_unrollILi128ELi4EZNS0_22gpu_kernel_impl_nocastINS0_13BUnaryFunctorIfffZZZNS0_12_GLOBAL__N_133hermite_polynomial_he_kernel_cudaERNS_18TensorIteratorBaseEENKUlvE_clEvENKUlvE0_clEvEUlffE_EEEEvS6_RKT_EUlibE_EEviT1_,@function
_ZN2at6native32elementwise_kernel_manual_unrollILi128ELi4EZNS0_22gpu_kernel_impl_nocastINS0_13BUnaryFunctorIfffZZZNS0_12_GLOBAL__N_133hermite_polynomial_he_kernel_cudaERNS_18TensorIteratorBaseEENKUlvE_clEvENKUlvE0_clEvEUlffE_EEEEvS6_RKT_EUlibE_EEviT1_: ; @_ZN2at6native32elementwise_kernel_manual_unrollILi128ELi4EZNS0_22gpu_kernel_impl_nocastINS0_13BUnaryFunctorIfffZZZNS0_12_GLOBAL__N_133hermite_polynomial_he_kernel_cudaERNS_18TensorIteratorBaseEENKUlvE_clEvENKUlvE0_clEvEUlffE_EEEEvS6_RKT_EUlibE_EEviT1_
; %bb.0:
	s_load_dword s63, s[4:5], 0x0
	s_load_dword s33, s[4:5], 0x8
	s_or_b32 s4, s4, 8
	v_lshl_or_b32 v6, s6, 9, v0
	v_or_b32_e32 v15, 0x180, v6
	s_waitcnt lgkmcnt(0)
	v_cmp_le_i32_e32 vcc, s63, v15
	s_add_i32 s62, s33, -1
	s_cmp_gt_u32 s62, 1
	s_cselect_b64 s[2:3], -1, 0
	s_and_saveexec_b64 s[0:1], vcc
	s_xor_b64 s[6:7], exec, s[0:1]
	s_cbranch_execz .LBB37_8
; %bb.1:
	s_load_dword s0, s[4:5], 0x15c
	s_load_dwordx4 s[28:31], s[4:5], 0x4
	s_load_dwordx2 s[44:45], s[4:5], 0x14
	s_cmp_lg_u32 s33, 0
	s_cselect_b64 s[52:53], -1, 0
	s_waitcnt lgkmcnt(0)
	v_trunc_f32_e32 v0, s0
	s_mov_b32 s0, 0x2f800000
	v_mul_f32_e64 v1, |v0|, s0
	v_floor_f32_e32 v1, v1
	s_mov_b32 s0, 0xcf800000
	v_fma_f32 v2, v1, s0, |v0|
	s_add_u32 s50, s4, 0xc4
	v_cvt_u32_f32_e32 v2, v2
	v_cvt_u32_f32_e32 v1, v1
	s_addc_u32 s51, s5, 0
	s_min_u32 s64, s62, 15
	s_cmp_gt_u32 s33, 1
	v_readfirstlane_b32 s8, v0
	s_cselect_b64 s[48:49], -1, 0
	s_ashr_i32 s8, s8, 31
	s_load_dwordx4 s[36:39], s[4:5], 0xc4
	s_load_dwordx4 s[24:27], s[4:5], 0x148
	v_readfirstlane_b32 s0, v2
	v_readfirstlane_b32 s1, v1
	s_mov_b32 s9, s8
	s_xor_b64 s[0:1], s[0:1], s[8:9]
	s_sub_u32 s34, s0, s8
	v_mov_b32_e32 v0, 0x81
	s_subb_u32 s35, s1, s8
	v_mov_b32_e32 v1, 0
	s_mov_b64 s[8:9], -1
	v_cmp_gt_i64_e64 s[46:47], s[34:35], -1
	v_cmp_lt_u64_e64 s[0:1], s[34:35], v[0:1]
	v_cmp_gt_i32_e32 vcc, s63, v6
	s_and_saveexec_b64 s[54:55], vcc
	s_cbranch_execz .LBB37_16
; %bb.2:
	s_andn2_b64 vcc, exec, s[2:3]
	s_cbranch_vccnz .LBB37_24
; %bb.3:
	s_mov_b32 s56, 0
	s_andn2_b64 vcc, exec, s[52:53]
	v_mov_b32_e32 v2, 0
	v_mov_b32_e32 v0, 0
	s_cbranch_vccnz .LBB37_116
; %bb.4:
	s_add_i32 s65, s64, 1
	s_cmp_eq_u32 s62, 2
	s_cbranch_scc1 .LBB37_111
; %bb.5:
	s_and_b32 s56, s65, 28
	s_mov_b32 s57, 0
	v_mov_b32_e32 v0, 0
	s_mov_b64 s[58:59], s[4:5]
	s_mov_b64 s[60:61], s[50:51]
	v_mov_b32_e32 v3, v6
	v_mov_b32_e32 v2, 0
.LBB37_6:                               ; =>This Inner Loop Header: Depth=1
	s_load_dwordx8 s[16:23], s[58:59], 0x4
	s_load_dwordx4 s[40:43], s[58:59], 0x24
	s_load_dwordx8 s[8:15], s[60:61], 0x0
	s_add_u32 s58, s58, 48
	s_addc_u32 s59, s59, 0
	s_waitcnt lgkmcnt(0)
	v_mul_hi_u32 v1, s17, v3
	v_add_u32_e32 v1, v3, v1
	v_lshrrev_b32_e32 v1, s18, v1
	v_mul_lo_u32 v4, v1, s16
	v_mul_hi_u32 v5, s20, v1
	v_sub_u32_e32 v3, v3, v4
	v_add_u32_e32 v4, v1, v5
	v_lshrrev_b32_e32 v4, s21, v4
	v_mul_lo_u32 v7, v4, s19
	v_mul_hi_u32 v8, s23, v4
	v_sub_u32_e32 v1, v1, v7
	v_add_u32_e32 v7, v4, v8
	v_mul_lo_u32 v5, v3, s9
	v_mul_lo_u32 v3, v3, s8
	;; [unrolled: 1-line block ×4, first 2 shown]
	v_lshrrev_b32_e32 v7, s40, v7
	v_add3_u32 v0, v3, v0, v1
	v_mul_hi_u32 v3, s42, v7
	v_add_u32_e32 v3, v7, v3
	v_lshrrev_b32_e32 v3, s43, v3
	s_add_i32 s57, s57, 4
	v_add3_u32 v1, v5, v2, v8
	v_mul_lo_u32 v2, v7, s22
	v_mul_lo_u32 v5, v3, s41
	s_add_u32 s60, s60, 32
	v_sub_u32_e32 v2, v4, v2
	v_sub_u32_e32 v5, v7, v5
	s_addc_u32 s61, s61, 0
	v_mul_lo_u32 v4, v2, s12
	v_mul_lo_u32 v2, v2, s13
	;; [unrolled: 1-line block ×4, first 2 shown]
	s_cmp_lg_u32 s56, s57
	v_add3_u32 v2, v2, v1, v5
	v_add3_u32 v0, v4, v0, v7
	s_cbranch_scc1 .LBB37_6
; %bb.7:
	v_mov_b32_e32 v1, v2
	s_branch .LBB37_112
.LBB37_8:
	s_andn2_saveexec_b64 s[0:1], s[6:7]
	s_cbranch_execz .LBB37_174
.LBB37_9:
	v_cndmask_b32_e64 v0, 0, 1, s[2:3]
	v_cmp_ne_u32_e64 s[0:1], 1, v0
	s_andn2_b64 vcc, exec, s[2:3]
	s_cbranch_vccnz .LBB37_23
; %bb.10:
	s_mov_b32 s2, 0
	s_cmp_lg_u32 s33, 0
	v_mov_b32_e32 v4, 0
	v_mov_b32_e32 v0, 0
	s_cbranch_scc0 .LBB37_15
; %bb.11:
	s_min_u32 s30, s62, 15
	s_add_i32 s30, s30, 1
	s_cmp_eq_u32 s62, 2
	s_cbranch_scc1 .LBB37_26
; %bb.12:
	s_add_u32 s6, s4, 0xc4
	s_addc_u32 s7, s5, 0
	s_and_b32 s2, s30, 28
	s_mov_b32 s3, 0
	v_mov_b32_e32 v0, 0
	s_mov_b64 s[28:29], s[4:5]
	v_mov_b32_e32 v2, v6
	v_mov_b32_e32 v4, 0
.LBB37_13:                              ; =>This Inner Loop Header: Depth=1
	s_load_dwordx8 s[16:23], s[28:29], 0x4
	s_waitcnt lgkmcnt(0)
	s_load_dwordx4 s[24:27], s[28:29], 0x24
	s_load_dwordx8 s[8:15], s[6:7], 0x0
	s_add_u32 s28, s28, 48
	s_addc_u32 s29, s29, 0
	s_waitcnt vmcnt(1)
	v_mul_hi_u32 v1, s17, v2
	v_add_u32_e32 v1, v2, v1
	v_lshrrev_b32_e32 v1, s18, v1
	v_mul_lo_u32 v3, v1, s16
	v_mul_hi_u32 v5, s20, v1
	v_sub_u32_e32 v2, v2, v3
	v_add_u32_e32 v3, v1, v5
	v_lshrrev_b32_e32 v3, s21, v3
	v_mul_lo_u32 v7, v3, s19
	v_mul_hi_u32 v8, s23, v3
	v_sub_u32_e32 v1, v1, v7
	v_add_u32_e32 v7, v3, v8
	s_waitcnt lgkmcnt(0)
	v_mul_lo_u32 v5, v2, s9
	v_mul_lo_u32 v2, v2, s8
	;; [unrolled: 1-line block ×4, first 2 shown]
	v_lshrrev_b32_e32 v7, s24, v7
	v_add3_u32 v0, v2, v0, v1
	v_add3_u32 v1, v5, v4, v8
	v_mul_lo_u32 v2, v7, s22
	v_mul_hi_u32 v4, s26, v7
	v_sub_u32_e32 v2, v3, v2
	v_add_u32_e32 v3, v7, v4
	v_mul_lo_u32 v5, v2, s12
	v_mul_lo_u32 v4, v2, s13
	v_lshrrev_b32_e32 v2, s27, v3
	s_add_i32 s3, s3, 4
	v_mul_lo_u32 v3, v2, s25
	s_add_u32 s6, s6, 32
	v_sub_u32_e32 v3, v7, v3
	s_addc_u32 s7, s7, 0
	v_mul_lo_u32 v7, v3, s14
	v_mul_lo_u32 v3, v3, s15
	s_cmp_lg_u32 s2, s3
	v_add3_u32 v4, v4, v1, v3
	v_add3_u32 v0, v5, v0, v7
	s_cbranch_scc1 .LBB37_13
; %bb.14:
	v_mov_b32_e32 v1, v4
	s_and_b32 s8, s30, 3
	s_cmp_eq_u32 s8, 0
	s_cbranch_scc0 .LBB37_27
.LBB37_15:
	s_cbranch_execz .LBB37_30
	s_branch .LBB37_32
.LBB37_16:
	s_or_b64 exec, exec, s[54:55]
	v_cmp_gt_i32_e32 vcc, s63, v6
	s_and_saveexec_b64 s[54:55], vcc
	s_cbranch_execz .LBB37_145
.LBB37_17:
	s_andn2_b64 vcc, exec, s[2:3]
	s_cbranch_vccnz .LBB37_25
; %bb.18:
	s_mov_b32 s56, 0
	s_andn2_b64 vcc, exec, s[52:53]
	v_mov_b32_e32 v2, 0
	v_mov_b32_e32 v0, 0
	s_cbranch_vccnz .LBB37_131
; %bb.19:
	s_add_i32 s65, s64, 1
	s_cmp_eq_u32 s62, 2
	s_cbranch_scc1 .LBB37_126
; %bb.20:
	s_and_b32 s56, s65, 28
	s_mov_b32 s57, 0
	v_mov_b32_e32 v0, 0
	s_mov_b64 s[58:59], s[4:5]
	s_mov_b64 s[60:61], s[50:51]
	v_mov_b32_e32 v3, v6
	v_mov_b32_e32 v2, 0
.LBB37_21:                              ; =>This Inner Loop Header: Depth=1
	s_load_dwordx8 s[16:23], s[58:59], 0x4
	s_load_dwordx4 s[40:43], s[58:59], 0x24
	s_load_dwordx8 s[8:15], s[60:61], 0x0
	s_add_u32 s58, s58, 48
	s_addc_u32 s59, s59, 0
	s_waitcnt vmcnt(1) lgkmcnt(0)
	v_mul_hi_u32 v1, s17, v3
	v_add_u32_e32 v1, v3, v1
	v_lshrrev_b32_e32 v1, s18, v1
	v_mul_lo_u32 v4, v1, s16
	v_mul_hi_u32 v5, s20, v1
	v_sub_u32_e32 v3, v3, v4
	v_add_u32_e32 v4, v1, v5
	v_lshrrev_b32_e32 v4, s21, v4
	v_mul_lo_u32 v7, v4, s19
	v_mul_hi_u32 v8, s23, v4
	v_sub_u32_e32 v1, v1, v7
	v_add_u32_e32 v7, v4, v8
	v_mul_lo_u32 v5, v3, s9
	v_mul_lo_u32 v3, v3, s8
	;; [unrolled: 1-line block ×4, first 2 shown]
	v_lshrrev_b32_e32 v7, s40, v7
	v_add3_u32 v0, v3, v0, v1
	v_mul_hi_u32 v3, s42, v7
	v_add_u32_e32 v3, v7, v3
	v_lshrrev_b32_e32 v3, s43, v3
	s_add_i32 s57, s57, 4
	v_add3_u32 v1, v5, v2, v8
	v_mul_lo_u32 v2, v7, s22
	v_mul_lo_u32 v5, v3, s41
	s_add_u32 s60, s60, 32
	v_sub_u32_e32 v2, v4, v2
	v_sub_u32_e32 v5, v7, v5
	s_addc_u32 s61, s61, 0
	v_mul_lo_u32 v4, v2, s12
	v_mul_lo_u32 v2, v2, s13
	;; [unrolled: 1-line block ×4, first 2 shown]
	s_cmp_eq_u32 s56, s57
	v_add3_u32 v2, v2, v1, v5
	v_add3_u32 v0, v4, v0, v7
	s_cbranch_scc0 .LBB37_21
; %bb.22:
	v_mov_b32_e32 v1, v2
	s_branch .LBB37_127
.LBB37_23:
                                        ; implicit-def: $vgpr4
                                        ; implicit-def: $vgpr0
	s_branch .LBB37_30
.LBB37_24:
                                        ; implicit-def: $vgpr2
                                        ; implicit-def: $vgpr0
	s_andn2_b64 vcc, exec, s[8:9]
	s_cbranch_vccz .LBB37_117
	s_branch .LBB37_119
.LBB37_25:
                                        ; implicit-def: $vgpr2
                                        ; implicit-def: $vgpr0
	s_branch .LBB37_132
.LBB37_26:
	s_mov_b32 s3, s2
	s_waitcnt vmcnt(1)
	v_pk_mov_b32 v[0:1], s[2:3], s[2:3] op_sel:[0,1]
                                        ; implicit-def: $vgpr4
	v_mov_b32_e32 v2, v6
	s_and_b32 s8, s30, 3
	s_cmp_eq_u32 s8, 0
	s_cbranch_scc1 .LBB37_15
.LBB37_27:
	s_lshl_b32 s3, s2, 3
	s_add_u32 s3, s3, s4
	s_addc_u32 s7, 0, s5
	s_add_u32 s6, s3, 0xc4
	s_addc_u32 s7, s7, 0
	s_mul_i32 s2, s2, 12
	s_add_u32 s2, s4, s2
	s_addc_u32 s3, 0, s5
.LBB37_28:                              ; =>This Inner Loop Header: Depth=1
	s_load_dwordx2 s[10:11], s[2:3], 0x4
	s_load_dword s9, s[2:3], 0xc
	s_load_dwordx2 s[12:13], s[6:7], 0x0
	v_mov_b32_e32 v4, v1
	s_add_u32 s2, s2, 12
	s_waitcnt lgkmcnt(0)
	v_mul_hi_u32 v1, s11, v2
	v_add_u32_e32 v1, v2, v1
	v_lshrrev_b32_e32 v1, s9, v1
	s_addc_u32 s3, s3, 0
	v_mul_lo_u32 v3, v1, s10
	s_add_u32 s6, s6, 8
	v_sub_u32_e32 v3, v2, v3
	s_addc_u32 s7, s7, 0
	s_add_i32 s8, s8, -1
	v_mov_b32_e32 v2, v1
	v_mad_u64_u32 v[4:5], s[10:11], v3, s13, v[4:5]
	v_mad_u64_u32 v[0:1], s[10:11], v3, s12, v[0:1]
	s_cmp_lg_u32 s8, 0
	v_mov_b32_e32 v1, v4
	s_cbranch_scc1 .LBB37_28
; %bb.29:
	v_mov_b32_e32 v4, v1
	s_cbranch_execnz .LBB37_32
.LBB37_30:
	s_load_dwordx4 s[8:11], s[4:5], 0x4
	s_load_dwordx2 s[2:3], s[4:5], 0xc4
	s_cmp_lt_u32 s33, 2
	s_waitcnt lgkmcnt(0)
	v_mul_hi_u32 v0, s9, v6
	v_add_u32_e32 v0, v6, v0
	s_waitcnt vmcnt(1)
	v_lshrrev_b32_e32 v1, s10, v0
	v_mul_lo_u32 v0, v1, s8
	v_sub_u32_e32 v0, v6, v0
	v_mul_lo_u32 v4, v0, s3
	v_mul_lo_u32 v0, v0, s2
	s_cbranch_scc1 .LBB37_32
; %bb.31:
	s_load_dwordx4 s[8:11], s[4:5], 0x10
	s_load_dwordx2 s[2:3], s[4:5], 0xcc
	s_waitcnt lgkmcnt(0)
	v_mul_hi_u32 v2, s9, v1
	v_add_u32_e32 v2, v1, v2
	v_lshrrev_b32_e32 v2, s10, v2
	v_mul_lo_u32 v2, v2, s8
	v_sub_u32_e32 v2, v1, v2
	v_mad_u64_u32 v[0:1], s[6:7], v2, s2, v[0:1]
	v_mad_u64_u32 v[4:5], s[2:3], v2, s3, v[4:5]
.LBB37_32:
	s_and_b64 vcc, exec, s[0:1]
	s_waitcnt vmcnt(1)
	v_add_u32_e32 v1, 0x80, v6
	s_cbranch_vccnz .LBB37_39
; %bb.33:
	s_mov_b32 s2, 0
	s_cmp_lg_u32 s33, 0
	v_mov_b32_e32 v8, 0
	v_mov_b32_e32 v2, 0
	s_cbranch_scc0 .LBB37_38
; %bb.34:
	s_min_u32 s30, s62, 15
	s_add_i32 s30, s30, 1
	s_cmp_eq_u32 s62, 2
	s_cbranch_scc1 .LBB37_40
; %bb.35:
	s_add_u32 s6, s4, 0xc4
	s_addc_u32 s7, s5, 0
	s_and_b32 s2, s30, 28
	s_mov_b32 s3, 0
	v_mov_b32_e32 v2, 0
	s_mov_b64 s[28:29], s[4:5]
	v_mov_b32_e32 v5, v1
	v_mov_b32_e32 v8, 0
.LBB37_36:                              ; =>This Inner Loop Header: Depth=1
	s_load_dwordx8 s[16:23], s[28:29], 0x4
	s_waitcnt lgkmcnt(0)
	s_load_dwordx4 s[24:27], s[28:29], 0x24
	s_load_dwordx8 s[8:15], s[6:7], 0x0
	s_add_u32 s28, s28, 48
	s_addc_u32 s29, s29, 0
	v_mul_hi_u32 v3, s17, v5
	v_add_u32_e32 v3, v5, v3
	v_lshrrev_b32_e32 v3, s18, v3
	v_mul_lo_u32 v7, v3, s16
	v_mul_hi_u32 v9, s20, v3
	v_sub_u32_e32 v5, v5, v7
	v_add_u32_e32 v7, v3, v9
	v_lshrrev_b32_e32 v7, s21, v7
	v_mul_lo_u32 v10, v7, s19
	v_mul_hi_u32 v11, s23, v7
	v_sub_u32_e32 v3, v3, v10
	v_add_u32_e32 v10, v7, v11
	s_waitcnt lgkmcnt(0)
	v_mul_lo_u32 v9, v5, s9
	v_mul_lo_u32 v5, v5, s8
	;; [unrolled: 1-line block ×4, first 2 shown]
	v_lshrrev_b32_e32 v10, s24, v10
	v_add3_u32 v2, v5, v2, v3
	v_add3_u32 v3, v9, v8, v11
	v_mul_lo_u32 v5, v10, s22
	v_mul_hi_u32 v8, s26, v10
	v_sub_u32_e32 v5, v7, v5
	v_add_u32_e32 v7, v10, v8
	v_mul_lo_u32 v9, v5, s12
	v_mul_lo_u32 v8, v5, s13
	v_lshrrev_b32_e32 v5, s27, v7
	s_add_i32 s3, s3, 4
	v_mul_lo_u32 v7, v5, s25
	s_add_u32 s6, s6, 32
	v_sub_u32_e32 v7, v10, v7
	s_addc_u32 s7, s7, 0
	v_mul_lo_u32 v10, v7, s14
	v_mul_lo_u32 v7, v7, s15
	s_cmp_lg_u32 s2, s3
	v_add3_u32 v8, v8, v3, v7
	v_add3_u32 v2, v9, v2, v10
	s_cbranch_scc1 .LBB37_36
; %bb.37:
	v_mov_b32_e32 v3, v8
	s_and_b32 s8, s30, 3
	s_cmp_eq_u32 s8, 0
	s_cbranch_scc0 .LBB37_41
.LBB37_38:
	s_cbranch_execz .LBB37_44
	s_branch .LBB37_46
.LBB37_39:
                                        ; implicit-def: $vgpr8
                                        ; implicit-def: $vgpr2
	s_branch .LBB37_44
.LBB37_40:
	s_mov_b32 s3, s2
	v_pk_mov_b32 v[2:3], s[2:3], s[2:3] op_sel:[0,1]
                                        ; implicit-def: $vgpr8
	v_mov_b32_e32 v5, v1
	s_and_b32 s8, s30, 3
	s_cmp_eq_u32 s8, 0
	s_cbranch_scc1 .LBB37_38
.LBB37_41:
	s_lshl_b32 s3, s2, 3
	s_add_u32 s3, s3, s4
	s_addc_u32 s7, 0, s5
	s_add_u32 s6, s3, 0xc4
	s_addc_u32 s7, s7, 0
	s_mul_i32 s2, s2, 12
	s_add_u32 s2, s4, s2
	s_addc_u32 s3, 0, s5
.LBB37_42:                              ; =>This Inner Loop Header: Depth=1
	s_load_dwordx2 s[10:11], s[2:3], 0x4
	s_load_dword s9, s[2:3], 0xc
	s_load_dwordx2 s[12:13], s[6:7], 0x0
	v_mov_b32_e32 v8, v3
	s_add_u32 s2, s2, 12
	s_waitcnt lgkmcnt(0)
	v_mul_hi_u32 v3, s11, v5
	v_add_u32_e32 v3, v5, v3
	v_lshrrev_b32_e32 v3, s9, v3
	s_addc_u32 s3, s3, 0
	v_mul_lo_u32 v7, v3, s10
	s_add_u32 s6, s6, 8
	v_sub_u32_e32 v7, v5, v7
	s_addc_u32 s7, s7, 0
	s_add_i32 s8, s8, -1
	v_mov_b32_e32 v5, v3
	v_mad_u64_u32 v[8:9], s[10:11], v7, s13, v[8:9]
	v_mad_u64_u32 v[2:3], s[10:11], v7, s12, v[2:3]
	s_cmp_lg_u32 s8, 0
	v_mov_b32_e32 v3, v8
	s_cbranch_scc1 .LBB37_42
; %bb.43:
	v_mov_b32_e32 v8, v3
	s_cbranch_execnz .LBB37_46
.LBB37_44:
	s_load_dwordx4 s[8:11], s[4:5], 0x4
	s_load_dwordx2 s[2:3], s[4:5], 0xc4
	s_cmp_lt_u32 s33, 2
	s_waitcnt lgkmcnt(0)
	v_mul_hi_u32 v2, s9, v1
	v_add_u32_e32 v2, v1, v2
	v_lshrrev_b32_e32 v3, s10, v2
	v_mul_lo_u32 v2, v3, s8
	v_sub_u32_e32 v1, v1, v2
	v_mul_lo_u32 v8, v1, s3
	v_mul_lo_u32 v2, v1, s2
	s_cbranch_scc1 .LBB37_46
; %bb.45:
	s_load_dwordx4 s[8:11], s[4:5], 0x10
	s_load_dwordx2 s[2:3], s[4:5], 0xcc
	s_waitcnt lgkmcnt(0)
	v_mul_hi_u32 v1, s9, v3
	v_add_u32_e32 v1, v3, v1
	v_lshrrev_b32_e32 v1, s10, v1
	v_mul_lo_u32 v1, v1, s8
	v_sub_u32_e32 v1, v3, v1
	v_mad_u64_u32 v[2:3], s[6:7], v1, s2, v[2:3]
	v_mad_u64_u32 v[8:9], s[2:3], v1, s3, v[8:9]
.LBB37_46:
	s_and_b64 vcc, exec, s[0:1]
	v_add_u32_e32 v1, 0x100, v6
	s_cbranch_vccnz .LBB37_53
; %bb.47:
	s_mov_b32 s2, 0
	s_cmp_lg_u32 s33, 0
	v_mov_b32_e32 v10, 0
	v_mov_b32_e32 v6, 0
	s_cbranch_scc0 .LBB37_52
; %bb.48:
	s_min_u32 s30, s62, 15
	s_add_i32 s30, s30, 1
	s_cmp_eq_u32 s62, 2
	s_cbranch_scc1 .LBB37_54
; %bb.49:
	s_add_u32 s6, s4, 0xc4
	s_addc_u32 s7, s5, 0
	s_and_b32 s2, s30, 28
	s_mov_b32 s3, 0
	v_mov_b32_e32 v6, 0
	s_mov_b64 s[28:29], s[4:5]
	v_mov_b32_e32 v3, v1
	v_mov_b32_e32 v10, 0
.LBB37_50:                              ; =>This Inner Loop Header: Depth=1
	s_load_dwordx8 s[16:23], s[28:29], 0x4
	s_waitcnt lgkmcnt(0)
	s_load_dwordx4 s[24:27], s[28:29], 0x24
	s_load_dwordx8 s[8:15], s[6:7], 0x0
	s_add_u32 s28, s28, 48
	s_addc_u32 s29, s29, 0
	v_mul_hi_u32 v5, s17, v3
	v_add_u32_e32 v5, v3, v5
	v_lshrrev_b32_e32 v5, s18, v5
	v_mul_lo_u32 v7, v5, s16
	v_mul_hi_u32 v9, s20, v5
	v_sub_u32_e32 v3, v3, v7
	v_add_u32_e32 v7, v5, v9
	v_lshrrev_b32_e32 v7, s21, v7
	v_mul_lo_u32 v11, v7, s19
	v_mul_hi_u32 v12, s23, v7
	v_sub_u32_e32 v5, v5, v11
	v_add_u32_e32 v11, v7, v12
	s_waitcnt lgkmcnt(0)
	v_mul_lo_u32 v9, v3, s9
	v_mul_lo_u32 v3, v3, s8
	;; [unrolled: 1-line block ×4, first 2 shown]
	v_lshrrev_b32_e32 v11, s24, v11
	v_add3_u32 v5, v3, v6, v5
	v_add3_u32 v6, v9, v10, v12
	v_mul_lo_u32 v3, v11, s22
	v_mul_hi_u32 v9, s26, v11
	v_sub_u32_e32 v3, v7, v3
	v_add_u32_e32 v7, v11, v9
	v_mul_lo_u32 v9, v3, s12
	v_mul_lo_u32 v10, v3, s13
	v_lshrrev_b32_e32 v3, s27, v7
	s_add_i32 s3, s3, 4
	v_mul_lo_u32 v7, v3, s25
	s_add_u32 s6, s6, 32
	v_sub_u32_e32 v7, v11, v7
	s_addc_u32 s7, s7, 0
	v_mul_lo_u32 v11, v7, s14
	v_mul_lo_u32 v7, v7, s15
	s_cmp_lg_u32 s2, s3
	v_add3_u32 v10, v10, v6, v7
	v_add3_u32 v6, v9, v5, v11
	s_cbranch_scc1 .LBB37_50
; %bb.51:
	v_mov_b32_e32 v7, v10
	s_and_b32 s8, s30, 3
	s_cmp_eq_u32 s8, 0
	s_cbranch_scc0 .LBB37_55
.LBB37_52:
	s_cbranch_execz .LBB37_58
	s_branch .LBB37_60
.LBB37_53:
                                        ; implicit-def: $vgpr10
                                        ; implicit-def: $vgpr6
	s_branch .LBB37_58
.LBB37_54:
	s_mov_b32 s3, s2
	v_pk_mov_b32 v[6:7], s[2:3], s[2:3] op_sel:[0,1]
                                        ; implicit-def: $vgpr10
	v_mov_b32_e32 v3, v1
	s_and_b32 s8, s30, 3
	s_cmp_eq_u32 s8, 0
	s_cbranch_scc1 .LBB37_52
.LBB37_55:
	s_lshl_b32 s3, s2, 3
	s_add_u32 s3, s3, s4
	s_addc_u32 s7, 0, s5
	s_add_u32 s6, s3, 0xc4
	s_addc_u32 s7, s7, 0
	s_mul_i32 s2, s2, 12
	s_add_u32 s2, s4, s2
	s_addc_u32 s3, 0, s5
.LBB37_56:                              ; =>This Inner Loop Header: Depth=1
	s_load_dwordx2 s[10:11], s[2:3], 0x4
	s_load_dword s9, s[2:3], 0xc
	s_load_dwordx2 s[12:13], s[6:7], 0x0
	s_add_u32 s2, s2, 12
	v_mov_b32_e32 v10, v7
	s_waitcnt lgkmcnt(0)
	v_mul_hi_u32 v5, s11, v3
	v_add_u32_e32 v5, v3, v5
	v_lshrrev_b32_e32 v5, s9, v5
	s_addc_u32 s3, s3, 0
	v_mul_lo_u32 v7, v5, s10
	s_add_u32 s6, s6, 8
	v_sub_u32_e32 v7, v3, v7
	s_addc_u32 s7, s7, 0
	s_add_i32 s8, s8, -1
	v_mad_u64_u32 v[10:11], s[10:11], v7, s13, v[10:11]
	v_mad_u64_u32 v[6:7], s[10:11], v7, s12, v[6:7]
	s_cmp_lg_u32 s8, 0
	v_mov_b32_e32 v3, v5
	v_mov_b32_e32 v7, v10
	s_cbranch_scc1 .LBB37_56
; %bb.57:
	v_mov_b32_e32 v10, v7
	s_cbranch_execnz .LBB37_60
.LBB37_58:
	s_load_dwordx4 s[8:11], s[4:5], 0x4
	s_load_dwordx2 s[2:3], s[4:5], 0xc4
	s_cmp_lt_u32 s33, 2
	s_waitcnt lgkmcnt(0)
	v_mul_hi_u32 v3, s9, v1
	v_add_u32_e32 v3, v1, v3
	v_lshrrev_b32_e32 v3, s10, v3
	v_mul_lo_u32 v5, v3, s8
	v_sub_u32_e32 v1, v1, v5
	v_mul_lo_u32 v10, v1, s3
	v_mul_lo_u32 v6, v1, s2
	s_cbranch_scc1 .LBB37_60
; %bb.59:
	s_load_dwordx4 s[8:11], s[4:5], 0x10
	s_load_dwordx2 s[2:3], s[4:5], 0xcc
	s_waitcnt lgkmcnt(0)
	v_mul_hi_u32 v1, s9, v3
	v_add_u32_e32 v1, v3, v1
	v_lshrrev_b32_e32 v1, s10, v1
	v_mul_lo_u32 v1, v1, s8
	v_sub_u32_e32 v1, v3, v1
	v_mad_u64_u32 v[6:7], s[6:7], v1, s2, v[6:7]
	v_mad_u64_u32 v[10:11], s[2:3], v1, s3, v[10:11]
.LBB37_60:
	s_and_b64 vcc, exec, s[0:1]
	s_cbranch_vccnz .LBB37_67
; %bb.61:
	s_mov_b32 s6, 0
	s_cmp_lg_u32 s33, 0
	v_mov_b32_e32 v14, 0
	v_mov_b32_e32 v12, 0
	s_cbranch_scc0 .LBB37_66
; %bb.62:
	s_min_u32 s28, s62, 15
	s_add_i32 s28, s28, 1
	s_cmp_eq_u32 s62, 2
	s_cbranch_scc1 .LBB37_68
; %bb.63:
	s_waitcnt lgkmcnt(0)
	s_add_u32 s24, s4, 0xc4
	s_addc_u32 s25, s5, 0
	s_and_b32 s6, s28, 28
	s_mov_b32 s7, 0
	v_mov_b32_e32 v12, 0
	s_mov_b64 s[26:27], s[4:5]
	v_mov_b32_e32 v1, v15
	v_mov_b32_e32 v14, 0
.LBB37_64:                              ; =>This Inner Loop Header: Depth=1
	s_load_dwordx8 s[16:23], s[26:27], 0x4
	s_load_dwordx4 s[0:3], s[26:27], 0x24
	s_load_dwordx8 s[8:15], s[24:25], 0x0
	s_add_u32 s26, s26, 48
	s_addc_u32 s27, s27, 0
	s_waitcnt lgkmcnt(0)
	v_mul_hi_u32 v3, s17, v1
	v_add_u32_e32 v3, v1, v3
	v_lshrrev_b32_e32 v3, s18, v3
	v_mul_lo_u32 v5, v3, s16
	v_mul_hi_u32 v7, s20, v3
	v_sub_u32_e32 v1, v1, v5
	v_add_u32_e32 v5, v3, v7
	v_lshrrev_b32_e32 v5, s21, v5
	v_mul_lo_u32 v9, v5, s19
	v_mul_hi_u32 v11, s23, v5
	v_sub_u32_e32 v3, v3, v9
	v_add_u32_e32 v9, v5, v11
	v_mul_lo_u32 v7, v1, s9
	v_mul_lo_u32 v1, v1, s8
	;; [unrolled: 1-line block ×4, first 2 shown]
	v_lshrrev_b32_e32 v9, s0, v9
	v_add3_u32 v3, v1, v12, v3
	v_add3_u32 v7, v7, v14, v11
	v_mul_lo_u32 v1, v9, s22
	v_mul_hi_u32 v11, s2, v9
	v_sub_u32_e32 v1, v5, v1
	v_add_u32_e32 v5, v9, v11
	v_mul_lo_u32 v11, v1, s12
	v_mul_lo_u32 v12, v1, s13
	v_lshrrev_b32_e32 v1, s3, v5
	s_add_i32 s7, s7, 4
	v_mul_lo_u32 v5, v1, s1
	s_add_u32 s24, s24, 32
	v_sub_u32_e32 v5, v9, v5
	s_addc_u32 s25, s25, 0
	v_mul_lo_u32 v9, v5, s14
	v_mul_lo_u32 v5, v5, s15
	s_cmp_lg_u32 s6, s7
	v_add3_u32 v14, v12, v7, v5
	v_add3_u32 v12, v11, v3, v9
	s_cbranch_scc1 .LBB37_64
; %bb.65:
	v_mov_b32_e32 v13, v14
	s_and_b32 s7, s28, 3
	s_cmp_eq_u32 s7, 0
	s_cbranch_scc0 .LBB37_69
.LBB37_66:
	s_cbranch_execz .LBB37_72
	s_branch .LBB37_74
.LBB37_67:
                                        ; implicit-def: $vgpr14
                                        ; implicit-def: $vgpr12
	s_branch .LBB37_72
.LBB37_68:
	s_mov_b32 s7, s6
	v_pk_mov_b32 v[12:13], s[6:7], s[6:7] op_sel:[0,1]
                                        ; implicit-def: $vgpr14
	v_mov_b32_e32 v1, v15
	s_and_b32 s7, s28, 3
	s_cmp_eq_u32 s7, 0
	s_cbranch_scc1 .LBB37_66
.LBB37_69:
	s_lshl_b32 s0, s6, 3
	s_add_u32 s0, s0, s4
	s_addc_u32 s1, 0, s5
	s_add_u32 s0, s0, 0xc4
	s_addc_u32 s1, s1, 0
	s_mul_i32 s2, s6, 12
	s_add_u32 s2, s4, s2
	s_addc_u32 s3, 0, s5
.LBB37_70:                              ; =>This Inner Loop Header: Depth=1
	s_load_dwordx2 s[8:9], s[2:3], 0x4
	s_load_dword s6, s[2:3], 0xc
	s_load_dwordx2 s[10:11], s[0:1], 0x0
	s_add_u32 s2, s2, 12
	s_addc_u32 s3, s3, 0
	s_waitcnt lgkmcnt(0)
	v_mul_hi_u32 v3, s9, v1
	v_add_u32_e32 v3, v1, v3
	v_lshrrev_b32_e32 v3, s6, v3
	v_mul_lo_u32 v5, v3, s8
	v_mov_b32_e32 v14, v13
	s_add_u32 s0, s0, 8
	v_sub_u32_e32 v5, v1, v5
	s_addc_u32 s1, s1, 0
	s_add_i32 s7, s7, -1
	v_mad_u64_u32 v[16:17], s[8:9], v5, s11, v[14:15]
	v_mad_u64_u32 v[12:13], s[8:9], v5, s10, v[12:13]
	s_cmp_lg_u32 s7, 0
	v_mov_b32_e32 v1, v3
	v_mov_b32_e32 v13, v16
	s_cbranch_scc1 .LBB37_70
; %bb.71:
	v_mov_b32_e32 v14, v13
	s_cbranch_execnz .LBB37_74
.LBB37_72:
	s_load_dwordx4 s[0:3], s[4:5], 0x4
	s_load_dwordx2 s[6:7], s[4:5], 0xc4
	s_cmp_lt_u32 s33, 2
	s_waitcnt lgkmcnt(0)
	v_mul_hi_u32 v1, s1, v15
	v_add_u32_e32 v1, v15, v1
	v_lshrrev_b32_e32 v1, s2, v1
	v_mul_lo_u32 v3, v1, s0
	v_sub_u32_e32 v3, v15, v3
	v_mul_lo_u32 v14, v3, s7
	v_mul_lo_u32 v12, v3, s6
	s_cbranch_scc1 .LBB37_74
; %bb.73:
	s_load_dwordx4 s[0:3], s[4:5], 0x10
	s_load_dwordx2 s[6:7], s[4:5], 0xcc
	s_waitcnt lgkmcnt(0)
	v_mul_hi_u32 v3, s1, v1
	v_add_u32_e32 v3, v1, v3
	v_lshrrev_b32_e32 v3, s2, v3
	v_mul_lo_u32 v3, v3, s0
	v_sub_u32_e32 v1, v1, v3
	v_mad_u64_u32 v[12:13], s[0:1], v1, s6, v[12:13]
	v_mad_u64_u32 v[14:15], s[0:1], v1, s7, v[14:15]
.LBB37_74:
	s_load_dword s0, s[4:5], 0x15c
	s_load_dwordx4 s[8:11], s[4:5], 0x148
	s_mov_b32 s1, 0x2f800000
	s_mov_b32 s2, 0xcf800000
	s_waitcnt lgkmcnt(0)
	v_trunc_f32_e32 v1, s0
	v_mul_f32_e64 v3, |v1|, s1
	v_floor_f32_e32 v3, v3
	v_cvt_u32_f32_e32 v5, v3
	v_fma_f32 v3, v3, s2, |v1|
	v_cvt_u32_f32_e32 v3, v3
	v_readfirstlane_b32 s0, v1
	s_ashr_i32 s0, s0, 31
	v_readfirstlane_b32 s3, v5
	v_readfirstlane_b32 s2, v3
	s_mov_b32 s1, s0
	s_xor_b64 s[2:3], s[2:3], s[0:1]
	s_sub_u32 s2, s2, s0
	s_subb_u32 s3, s3, s0
	v_cmp_lt_i64_e64 s[0:1], s[2:3], 0
	v_cmp_gt_i64_e64 s[4:5], s[2:3], -1
	s_and_b64 vcc, exec, s[0:1]
	v_mov_b32_e32 v1, 0
	s_cbranch_vccnz .LBB37_83
; %bb.75:
	v_cmp_lt_i64_e64 s[0:1], s[2:3], 1
	s_and_b64 vcc, exec, s[0:1]
	v_mov_b32_e32 v1, 1.0
	s_cbranch_vccnz .LBB37_83
; %bb.76:
	global_load_dword v3, v4, s[10:11]
	s_cmp_lg_u64 s[2:3], 1
	s_cbranch_scc0 .LBB37_81
; %bb.77:
	v_mov_b32_e32 v4, 0x80
	v_mov_b32_e32 v5, 0
	v_cmp_gt_u64_e32 vcc, s[2:3], v[4:5]
	v_mov_b32_e32 v1, 0x7fc00000
	s_cbranch_vccnz .LBB37_80
; %bb.78:
	s_mov_b64 s[0:1], 1
	v_mov_b32_e32 v4, 1.0
	s_waitcnt vmcnt(0)
	v_mov_b32_e32 v1, v3
.LBB37_79:                              ; =>This Inner Loop Header: Depth=1
	s_flbit_i32_b32 s6, s1
	s_min_u32 s12, s6, 32
	s_lshl_b64 s[6:7], s[0:1], s12
	s_min_u32 s6, s6, 1
	s_or_b32 s6, s7, s6
	v_cvt_f32_u32_e32 v5, s6
	s_sub_i32 s12, 32, s12
	s_add_u32 s0, s0, 1
	s_addc_u32 s1, s1, 0
	v_ldexp_f32 v5, v5, s12
	v_mul_f32_e32 v5, v4, v5
	s_cmp_lg_u64 s[2:3], s[0:1]
	v_mov_b32_e32 v4, v1
	v_fma_f32 v1, v3, v1, -v5
	s_cbranch_scc1 .LBB37_79
.LBB37_80:
	s_cbranch_execz .LBB37_82
	s_branch .LBB37_83
.LBB37_81:
                                        ; implicit-def: $vgpr1
.LBB37_82:
	s_waitcnt vmcnt(0)
	v_mov_b32_e32 v1, v3
.LBB37_83:
	s_waitcnt vmcnt(0)
	v_cndmask_b32_e64 v3, 0, 1, s[4:5]
	v_cmp_ne_u32_e64 s[0:1], 1, v3
	s_andn2_b64 vcc, exec, s[4:5]
	v_mov_b32_e32 v3, 0
	s_cbranch_vccnz .LBB37_92
; %bb.84:
	v_cmp_lt_i64_e64 s[4:5], s[2:3], 1
	s_and_b64 vcc, exec, s[4:5]
	v_mov_b32_e32 v3, 1.0
	s_cbranch_vccnz .LBB37_92
; %bb.85:
	global_load_dword v4, v8, s[10:11]
	s_cmp_lg_u64 s[2:3], 1
	s_cbranch_scc0 .LBB37_90
; %bb.86:
	v_mov_b32_e32 v8, 0x80
	v_mov_b32_e32 v9, 0
	v_cmp_gt_u64_e32 vcc, s[2:3], v[8:9]
	v_mov_b32_e32 v3, 0x7fc00000
	s_cbranch_vccnz .LBB37_89
; %bb.87:
	s_mov_b64 s[4:5], 1
	v_mov_b32_e32 v5, 1.0
	s_waitcnt vmcnt(0)
	v_mov_b32_e32 v3, v4
.LBB37_88:                              ; =>This Inner Loop Header: Depth=1
	s_flbit_i32_b32 s6, s5
	s_min_u32 s12, s6, 32
	s_lshl_b64 s[6:7], s[4:5], s12
	s_min_u32 s6, s6, 1
	s_or_b32 s6, s7, s6
	v_cvt_f32_u32_e32 v7, s6
	s_sub_i32 s12, 32, s12
	s_add_u32 s4, s4, 1
	s_addc_u32 s5, s5, 0
	v_ldexp_f32 v7, v7, s12
	v_mul_f32_e32 v7, v5, v7
	s_cmp_lg_u64 s[2:3], s[4:5]
	v_mov_b32_e32 v5, v3
	v_fma_f32 v3, v4, v3, -v7
	s_cbranch_scc1 .LBB37_88
.LBB37_89:
	s_cbranch_execz .LBB37_91
	s_branch .LBB37_92
.LBB37_90:
                                        ; implicit-def: $vgpr3
.LBB37_91:
	s_waitcnt vmcnt(0)
	v_mov_b32_e32 v3, v4
.LBB37_92:
	s_and_b64 vcc, exec, s[0:1]
	s_waitcnt vmcnt(0)
	v_mov_b32_e32 v4, 0
	s_cbranch_vccnz .LBB37_101
; %bb.93:
	v_cmp_lt_i64_e64 s[4:5], s[2:3], 1
	s_and_b64 vcc, exec, s[4:5]
	v_mov_b32_e32 v4, 1.0
	s_cbranch_vccnz .LBB37_101
; %bb.94:
	global_load_dword v5, v10, s[10:11]
	s_cmp_lg_u64 s[2:3], 1
	s_cbranch_scc0 .LBB37_99
; %bb.95:
	v_mov_b32_e32 v8, 0x80
	v_mov_b32_e32 v9, 0
	v_cmp_gt_u64_e32 vcc, s[2:3], v[8:9]
	v_mov_b32_e32 v4, 0x7fc00000
	s_cbranch_vccnz .LBB37_98
; %bb.96:
	s_mov_b64 s[4:5], 1
	v_mov_b32_e32 v7, 1.0
	s_waitcnt vmcnt(0)
	v_mov_b32_e32 v4, v5
.LBB37_97:                              ; =>This Inner Loop Header: Depth=1
	s_flbit_i32_b32 s6, s5
	s_min_u32 s12, s6, 32
	s_lshl_b64 s[6:7], s[4:5], s12
	s_min_u32 s6, s6, 1
	s_or_b32 s6, s7, s6
	v_cvt_f32_u32_e32 v8, s6
	s_sub_i32 s12, 32, s12
	s_add_u32 s4, s4, 1
	s_addc_u32 s5, s5, 0
	v_ldexp_f32 v8, v8, s12
	v_mul_f32_e32 v8, v7, v8
	s_cmp_lg_u64 s[2:3], s[4:5]
	v_mov_b32_e32 v7, v4
	v_fma_f32 v4, v5, v4, -v8
	s_cbranch_scc1 .LBB37_97
.LBB37_98:
	s_cbranch_execz .LBB37_100
	s_branch .LBB37_101
.LBB37_99:
                                        ; implicit-def: $vgpr4
.LBB37_100:
	s_waitcnt vmcnt(0)
	v_mov_b32_e32 v4, v5
.LBB37_101:
	s_and_b64 vcc, exec, s[0:1]
	v_mov_b32_e32 v7, 0
	s_cbranch_vccnz .LBB37_110
; %bb.102:
	v_cmp_lt_i64_e64 s[0:1], s[2:3], 1
	s_and_b64 vcc, exec, s[0:1]
	v_mov_b32_e32 v7, 1.0
	s_cbranch_vccnz .LBB37_110
; %bb.103:
	global_load_dword v5, v14, s[10:11]
	s_cmp_lg_u64 s[2:3], 1
	s_cbranch_scc0 .LBB37_108
; %bb.104:
	v_mov_b32_e32 v8, 0x80
	v_mov_b32_e32 v9, 0
	v_cmp_gt_u64_e32 vcc, s[2:3], v[8:9]
	v_mov_b32_e32 v7, 0x7fc00000
	s_cbranch_vccnz .LBB37_107
; %bb.105:
	s_mov_b64 s[0:1], 1
	v_mov_b32_e32 v8, 1.0
	s_waitcnt vmcnt(0)
	v_mov_b32_e32 v7, v5
.LBB37_106:                             ; =>This Inner Loop Header: Depth=1
	s_flbit_i32_b32 s4, s1
	s_min_u32 s6, s4, 32
	s_lshl_b64 s[4:5], s[0:1], s6
	s_min_u32 s4, s4, 1
	s_or_b32 s4, s5, s4
	v_cvt_f32_u32_e32 v9, s4
	s_sub_i32 s6, 32, s6
	s_add_u32 s0, s0, 1
	s_addc_u32 s1, s1, 0
	v_ldexp_f32 v9, v9, s6
	v_mul_f32_e32 v9, v8, v9
	s_cmp_lg_u64 s[2:3], s[0:1]
	v_mov_b32_e32 v8, v7
	v_fma_f32 v7, v5, v7, -v9
	s_cbranch_scc1 .LBB37_106
.LBB37_107:
	s_cbranch_execz .LBB37_109
	s_branch .LBB37_110
.LBB37_108:
                                        ; implicit-def: $vgpr7
.LBB37_109:
	s_waitcnt vmcnt(0)
	v_mov_b32_e32 v7, v5
.LBB37_110:
	global_store_dword v0, v1, s[8:9]
	global_store_dword v2, v3, s[8:9]
	;; [unrolled: 1-line block ×4, first 2 shown]
	s_endpgm
.LBB37_111:
	s_mov_b32 s57, s56
	v_pk_mov_b32 v[0:1], s[56:57], s[56:57] op_sel:[0,1]
                                        ; implicit-def: $vgpr2
	v_mov_b32_e32 v3, v6
.LBB37_112:
	s_and_b32 s12, s65, 3
	s_cmp_eq_u32 s12, 0
	s_cbranch_scc1 .LBB37_116
; %bb.113:
	s_lshl_b32 s8, s56, 3
	s_add_u32 s8, s8, s4
	s_addc_u32 s9, s5, 0
	s_add_u32 s8, s8, 0xc4
	s_addc_u32 s9, s9, 0
	s_mul_i32 s10, s56, 12
	s_add_u32 s10, s4, s10
	s_addc_u32 s11, s5, 0
.LBB37_114:                             ; =>This Inner Loop Header: Depth=1
	s_load_dwordx2 s[14:15], s[10:11], 0x4
	s_load_dword s13, s[10:11], 0xc
	s_load_dwordx2 s[16:17], s[8:9], 0x0
	v_mov_b32_e32 v2, v1
	s_add_u32 s10, s10, 12
	s_waitcnt lgkmcnt(0)
	v_mul_hi_u32 v1, s15, v3
	v_add_u32_e32 v1, v3, v1
	v_lshrrev_b32_e32 v1, s13, v1
	s_addc_u32 s11, s11, 0
	v_mul_lo_u32 v4, v1, s14
	s_add_u32 s8, s8, 8
	v_sub_u32_e32 v7, v3, v4
	v_mov_b32_e32 v3, v1
	s_addc_u32 s9, s9, 0
	s_add_i32 s12, s12, -1
	v_mad_u64_u32 v[4:5], s[14:15], v7, s17, v[2:3]
	v_mad_u64_u32 v[0:1], s[14:15], v7, s16, v[0:1]
	s_cmp_lg_u32 s12, 0
	v_mov_b32_e32 v1, v4
	s_cbranch_scc1 .LBB37_114
; %bb.115:
	v_mov_b32_e32 v2, v1
.LBB37_116:
	s_cbranch_execnz .LBB37_119
.LBB37_117:
	v_mul_hi_u32 v0, s29, v6
	v_add_u32_e32 v0, v6, v0
	v_lshrrev_b32_e32 v1, s30, v0
	v_mul_lo_u32 v0, v1, s28
	v_sub_u32_e32 v0, v6, v0
	s_waitcnt lgkmcnt(0)
	v_mul_lo_u32 v2, v0, s37
	s_andn2_b64 vcc, exec, s[48:49]
	v_mul_lo_u32 v0, v0, s36
	s_cbranch_vccnz .LBB37_119
; %bb.118:
	v_mul_hi_u32 v3, s44, v1
	v_add_u32_e32 v3, v1, v3
	v_lshrrev_b32_e32 v3, s45, v3
	v_mul_lo_u32 v3, v3, s31
	v_sub_u32_e32 v3, v1, v3
	v_mad_u64_u32 v[0:1], s[8:9], v3, s38, v[0:1]
	v_mad_u64_u32 v[2:3], s[8:9], v3, s39, v[2:3]
.LBB37_119:
	s_andn2_b64 vcc, exec, s[46:47]
	v_mov_b32_e32 v3, 0
	s_cbranch_vccnz .LBB37_144
; %bb.120:
	v_cmp_lt_i64_e64 s[8:9], s[34:35], 1
	s_and_b64 vcc, exec, s[8:9]
	v_mov_b32_e32 v3, 1.0
	s_cbranch_vccnz .LBB37_144
; %bb.121:
	s_waitcnt lgkmcnt(0)
	global_load_dword v1, v2, s[26:27]
	s_cmp_lg_u64 s[34:35], 1
	s_cbranch_scc0 .LBB37_141
; %bb.122:
	s_andn2_b64 vcc, exec, s[0:1]
	v_mov_b32_e32 v3, 0x7fc00000
	s_cbranch_vccnz .LBB37_125
; %bb.123:
	s_mov_b64 s[8:9], 1
	v_mov_b32_e32 v2, 1.0
	s_waitcnt vmcnt(0)
	v_mov_b32_e32 v3, v1
.LBB37_124:                             ; =>This Inner Loop Header: Depth=1
	s_flbit_i32_b32 s10, s9
	s_min_u32 s12, s10, 32
	s_lshl_b64 s[10:11], s[8:9], s12
	s_min_u32 s10, s10, 1
	s_or_b32 s10, s11, s10
	v_cvt_f32_u32_e32 v4, s10
	s_sub_i32 s12, 32, s12
	s_add_u32 s8, s8, 1
	s_addc_u32 s9, s9, 0
	v_ldexp_f32 v4, v4, s12
	v_mul_f32_e32 v4, v2, v4
	s_cmp_lg_u64 s[34:35], s[8:9]
	v_mov_b32_e32 v2, v3
	v_fma_f32 v3, v1, v3, -v4
	s_cbranch_scc1 .LBB37_124
.LBB37_125:
	s_mov_b64 s[8:9], 0
	s_branch .LBB37_142
.LBB37_126:
	s_mov_b32 s57, s56
	s_waitcnt vmcnt(1)
	v_pk_mov_b32 v[0:1], s[56:57], s[56:57] op_sel:[0,1]
                                        ; implicit-def: $vgpr2
	v_mov_b32_e32 v3, v6
.LBB37_127:
	s_and_b32 s12, s65, 3
	s_cmp_eq_u32 s12, 0
	s_cbranch_scc1 .LBB37_131
; %bb.128:
	s_lshl_b32 s8, s56, 3
	s_add_u32 s8, s8, s4
	s_addc_u32 s9, s5, 0
	s_add_u32 s8, s8, 0xc4
	s_addc_u32 s9, s9, 0
	s_mul_i32 s10, s56, 12
	s_add_u32 s10, s4, s10
	s_addc_u32 s11, s5, 0
.LBB37_129:                             ; =>This Inner Loop Header: Depth=1
	s_load_dwordx2 s[14:15], s[10:11], 0x4
	s_load_dword s13, s[10:11], 0xc
	s_load_dwordx2 s[16:17], s[8:9], 0x0
	v_mov_b32_e32 v2, v1
	s_add_u32 s10, s10, 12
	s_waitcnt lgkmcnt(0)
	v_mul_hi_u32 v1, s15, v3
	v_add_u32_e32 v1, v3, v1
	v_lshrrev_b32_e32 v1, s13, v1
	s_addc_u32 s11, s11, 0
	v_mul_lo_u32 v4, v1, s14
	s_add_u32 s8, s8, 8
	v_sub_u32_e32 v7, v3, v4
	v_mov_b32_e32 v3, v1
	s_addc_u32 s9, s9, 0
	s_add_i32 s12, s12, -1
	v_mad_u64_u32 v[4:5], s[14:15], v7, s17, v[2:3]
	v_mad_u64_u32 v[0:1], s[14:15], v7, s16, v[0:1]
	s_cmp_lg_u32 s12, 0
	v_mov_b32_e32 v1, v4
	s_cbranch_scc1 .LBB37_129
; %bb.130:
	v_mov_b32_e32 v2, v1
.LBB37_131:
	s_cbranch_execnz .LBB37_134
.LBB37_132:
	v_mul_hi_u32 v0, s29, v6
	v_add_u32_e32 v0, v6, v0
	s_waitcnt vmcnt(1)
	v_lshrrev_b32_e32 v1, s30, v0
	v_mul_lo_u32 v0, v1, s28
	v_sub_u32_e32 v0, v6, v0
	s_waitcnt lgkmcnt(0)
	v_mul_lo_u32 v2, v0, s37
	s_andn2_b64 vcc, exec, s[48:49]
	v_mul_lo_u32 v0, v0, s36
	s_cbranch_vccnz .LBB37_134
; %bb.133:
	v_mul_hi_u32 v3, s44, v1
	v_add_u32_e32 v3, v1, v3
	v_lshrrev_b32_e32 v3, s45, v3
	v_mul_lo_u32 v3, v3, s31
	v_sub_u32_e32 v3, v1, v3
	v_mad_u64_u32 v[0:1], s[8:9], v3, s38, v[0:1]
	v_mad_u64_u32 v[2:3], s[8:9], v3, s39, v[2:3]
.LBB37_134:
	s_andn2_b64 vcc, exec, s[46:47]
	v_mov_b32_e32 v3, 0
	s_cbranch_vccnz .LBB37_171
; %bb.135:
	v_cmp_lt_i64_e64 s[8:9], s[34:35], 1
	s_and_b64 vcc, exec, s[8:9]
	v_mov_b32_e32 v3, 1.0
	s_cbranch_vccnz .LBB37_171
; %bb.136:
	s_waitcnt lgkmcnt(0)
	global_load_dword v1, v2, s[26:27]
	s_cmp_lg_u64 s[34:35], 1
	s_cbranch_scc0 .LBB37_168
; %bb.137:
	s_andn2_b64 vcc, exec, s[0:1]
	v_mov_b32_e32 v3, 0x7fc00000
	s_cbranch_vccnz .LBB37_140
; %bb.138:
	s_mov_b64 s[8:9], 1
	v_mov_b32_e32 v2, 1.0
	s_waitcnt vmcnt(0)
	v_mov_b32_e32 v3, v1
.LBB37_139:                             ; =>This Inner Loop Header: Depth=1
	s_flbit_i32_b32 s10, s9
	s_min_u32 s12, s10, 32
	s_lshl_b64 s[10:11], s[8:9], s12
	s_min_u32 s10, s10, 1
	s_or_b32 s10, s11, s10
	v_cvt_f32_u32_e32 v4, s10
	s_sub_i32 s12, 32, s12
	s_add_u32 s8, s8, 1
	s_addc_u32 s9, s9, 0
	v_ldexp_f32 v4, v4, s12
	v_mul_f32_e32 v4, v2, v4
	s_cmp_lg_u64 s[34:35], s[8:9]
	v_mov_b32_e32 v2, v3
	v_fma_f32 v3, v1, v3, -v4
	s_cbranch_scc1 .LBB37_139
.LBB37_140:
	s_mov_b64 s[8:9], 0
	s_branch .LBB37_169
.LBB37_141:
	s_mov_b64 s[8:9], -1
                                        ; implicit-def: $vgpr3
.LBB37_142:
	s_andn2_b64 vcc, exec, s[8:9]
	s_cbranch_vccnz .LBB37_144
; %bb.143:
	s_waitcnt vmcnt(0)
	v_mov_b32_e32 v3, v1
.LBB37_144:
	v_add_u32_e32 v6, 0x80, v6
	s_waitcnt lgkmcnt(0)
	global_store_dword v0, v3, s[24:25]
	s_or_b64 exec, exec, s[54:55]
	v_cmp_gt_i32_e32 vcc, s63, v6
	s_and_saveexec_b64 s[54:55], vcc
	s_cbranch_execnz .LBB37_17
.LBB37_145:
	s_or_b64 exec, exec, s[54:55]
	v_cmp_gt_i32_e32 vcc, s63, v6
	s_and_saveexec_b64 s[54:55], vcc
	s_cbranch_execz .LBB37_172
.LBB37_146:
	s_andn2_b64 vcc, exec, s[2:3]
	s_cbranch_vccnz .LBB37_152
; %bb.147:
	s_mov_b32 s56, 0
	s_andn2_b64 vcc, exec, s[52:53]
	v_mov_b32_e32 v2, 0
	v_mov_b32_e32 v0, 0
	s_cbranch_vccnz .LBB37_158
; %bb.148:
	s_add_i32 s65, s64, 1
	s_cmp_eq_u32 s62, 2
	s_cbranch_scc1 .LBB37_153
; %bb.149:
	s_and_b32 s56, s65, 28
	s_mov_b32 s57, 0
	v_mov_b32_e32 v0, 0
	s_mov_b64 s[58:59], s[4:5]
	s_mov_b64 s[60:61], s[50:51]
	v_mov_b32_e32 v3, v6
	v_mov_b32_e32 v2, 0
.LBB37_150:                             ; =>This Inner Loop Header: Depth=1
	s_load_dwordx8 s[16:23], s[58:59], 0x4
	s_load_dwordx4 s[40:43], s[58:59], 0x24
	s_load_dwordx8 s[8:15], s[60:61], 0x0
	s_add_u32 s58, s58, 48
	s_addc_u32 s59, s59, 0
	s_waitcnt vmcnt(1) lgkmcnt(0)
	v_mul_hi_u32 v1, s17, v3
	v_add_u32_e32 v1, v3, v1
	v_lshrrev_b32_e32 v1, s18, v1
	v_mul_lo_u32 v4, v1, s16
	v_mul_hi_u32 v5, s20, v1
	v_sub_u32_e32 v3, v3, v4
	v_add_u32_e32 v4, v1, v5
	v_lshrrev_b32_e32 v4, s21, v4
	v_mul_lo_u32 v7, v4, s19
	v_mul_hi_u32 v8, s23, v4
	v_sub_u32_e32 v1, v1, v7
	v_add_u32_e32 v7, v4, v8
	v_mul_lo_u32 v5, v3, s9
	v_mul_lo_u32 v3, v3, s8
	;; [unrolled: 1-line block ×4, first 2 shown]
	v_lshrrev_b32_e32 v7, s40, v7
	v_add3_u32 v0, v3, v0, v1
	v_mul_hi_u32 v3, s42, v7
	v_add_u32_e32 v3, v7, v3
	v_lshrrev_b32_e32 v3, s43, v3
	s_add_i32 s57, s57, 4
	v_add3_u32 v1, v5, v2, v8
	v_mul_lo_u32 v2, v7, s22
	v_mul_lo_u32 v5, v3, s41
	s_add_u32 s60, s60, 32
	v_sub_u32_e32 v2, v4, v2
	v_sub_u32_e32 v5, v7, v5
	s_addc_u32 s61, s61, 0
	v_mul_lo_u32 v4, v2, s12
	v_mul_lo_u32 v2, v2, s13
	v_mul_lo_u32 v7, v5, s14
	v_mul_lo_u32 v5, v5, s15
	s_cmp_eq_u32 s56, s57
	v_add3_u32 v2, v2, v1, v5
	v_add3_u32 v0, v4, v0, v7
	s_cbranch_scc0 .LBB37_150
; %bb.151:
	v_mov_b32_e32 v1, v2
	s_branch .LBB37_154
.LBB37_152:
                                        ; implicit-def: $vgpr2
                                        ; implicit-def: $vgpr0
	s_branch .LBB37_159
.LBB37_153:
	s_mov_b32 s57, s56
	s_waitcnt vmcnt(1)
	v_pk_mov_b32 v[0:1], s[56:57], s[56:57] op_sel:[0,1]
                                        ; implicit-def: $vgpr2
	v_mov_b32_e32 v3, v6
.LBB37_154:
	s_and_b32 s12, s65, 3
	s_cmp_eq_u32 s12, 0
	s_cbranch_scc1 .LBB37_158
; %bb.155:
	s_lshl_b32 s8, s56, 3
	s_add_u32 s8, s8, s4
	s_addc_u32 s9, s5, 0
	s_add_u32 s8, s8, 0xc4
	s_addc_u32 s9, s9, 0
	s_mul_i32 s10, s56, 12
	s_add_u32 s10, s4, s10
	s_addc_u32 s11, s5, 0
.LBB37_156:                             ; =>This Inner Loop Header: Depth=1
	s_load_dwordx2 s[14:15], s[10:11], 0x4
	s_load_dword s13, s[10:11], 0xc
	s_load_dwordx2 s[16:17], s[8:9], 0x0
	v_mov_b32_e32 v2, v1
	s_add_u32 s10, s10, 12
	s_waitcnt lgkmcnt(0)
	v_mul_hi_u32 v1, s15, v3
	v_add_u32_e32 v1, v3, v1
	v_lshrrev_b32_e32 v1, s13, v1
	s_addc_u32 s11, s11, 0
	v_mul_lo_u32 v4, v1, s14
	s_add_u32 s8, s8, 8
	v_sub_u32_e32 v7, v3, v4
	v_mov_b32_e32 v3, v1
	s_addc_u32 s9, s9, 0
	s_add_i32 s12, s12, -1
	v_mad_u64_u32 v[4:5], s[14:15], v7, s17, v[2:3]
	v_mad_u64_u32 v[0:1], s[14:15], v7, s16, v[0:1]
	s_cmp_lg_u32 s12, 0
	v_mov_b32_e32 v1, v4
	s_cbranch_scc1 .LBB37_156
; %bb.157:
	v_mov_b32_e32 v2, v1
.LBB37_158:
	s_cbranch_execnz .LBB37_161
.LBB37_159:
	v_mul_hi_u32 v0, s29, v6
	v_add_u32_e32 v0, v6, v0
	s_waitcnt vmcnt(1)
	v_lshrrev_b32_e32 v1, s30, v0
	v_mul_lo_u32 v0, v1, s28
	v_sub_u32_e32 v0, v6, v0
	s_waitcnt lgkmcnt(0)
	v_mul_lo_u32 v2, v0, s37
	s_andn2_b64 vcc, exec, s[48:49]
	v_mul_lo_u32 v0, v0, s36
	s_cbranch_vccnz .LBB37_161
; %bb.160:
	v_mul_hi_u32 v3, s44, v1
	v_add_u32_e32 v3, v1, v3
	v_lshrrev_b32_e32 v3, s45, v3
	v_mul_lo_u32 v3, v3, s31
	v_sub_u32_e32 v3, v1, v3
	v_mad_u64_u32 v[0:1], s[8:9], v3, s38, v[0:1]
	v_mad_u64_u32 v[2:3], s[8:9], v3, s39, v[2:3]
.LBB37_161:
	s_andn2_b64 vcc, exec, s[46:47]
	v_mov_b32_e32 v3, 0
	s_cbranch_vccnz .LBB37_178
; %bb.162:
	v_cmp_lt_i64_e64 s[8:9], s[34:35], 1
	s_and_b64 vcc, exec, s[8:9]
	v_mov_b32_e32 v3, 1.0
	s_cbranch_vccnz .LBB37_178
; %bb.163:
	s_waitcnt lgkmcnt(0)
	global_load_dword v1, v2, s[26:27]
	s_cmp_lg_u64 s[34:35], 1
	s_cbranch_scc0 .LBB37_175
; %bb.164:
	s_andn2_b64 vcc, exec, s[0:1]
	v_mov_b32_e32 v3, 0x7fc00000
	s_cbranch_vccnz .LBB37_167
; %bb.165:
	s_mov_b64 s[8:9], 1
	v_mov_b32_e32 v2, 1.0
	s_waitcnt vmcnt(0)
	v_mov_b32_e32 v3, v1
.LBB37_166:                             ; =>This Inner Loop Header: Depth=1
	s_flbit_i32_b32 s10, s9
	s_min_u32 s12, s10, 32
	s_lshl_b64 s[10:11], s[8:9], s12
	s_min_u32 s10, s10, 1
	s_or_b32 s10, s11, s10
	v_cvt_f32_u32_e32 v4, s10
	s_sub_i32 s12, 32, s12
	s_add_u32 s8, s8, 1
	s_addc_u32 s9, s9, 0
	v_ldexp_f32 v4, v4, s12
	v_mul_f32_e32 v4, v2, v4
	s_cmp_lg_u64 s[34:35], s[8:9]
	v_mov_b32_e32 v2, v3
	v_fma_f32 v3, v1, v3, -v4
	s_cbranch_scc1 .LBB37_166
.LBB37_167:
	s_mov_b64 s[8:9], 0
	s_branch .LBB37_176
.LBB37_168:
	s_mov_b64 s[8:9], -1
                                        ; implicit-def: $vgpr3
.LBB37_169:
	s_andn2_b64 vcc, exec, s[8:9]
	s_cbranch_vccnz .LBB37_171
; %bb.170:
	s_waitcnt vmcnt(0)
	v_mov_b32_e32 v3, v1
.LBB37_171:
	v_add_u32_e32 v6, 0x80, v6
	s_waitcnt lgkmcnt(0)
	global_store_dword v0, v3, s[24:25]
	s_or_b64 exec, exec, s[54:55]
	v_cmp_gt_i32_e32 vcc, s63, v6
	s_and_saveexec_b64 s[54:55], vcc
	s_cbranch_execnz .LBB37_146
.LBB37_172:
	s_or_b64 exec, exec, s[54:55]
	v_cmp_gt_i32_e32 vcc, s63, v6
	s_and_saveexec_b64 s[54:55], vcc
	s_cbranch_execnz .LBB37_179
.LBB37_173:
	s_or_b64 exec, exec, s[54:55]
                                        ; implicit-def: $vgpr15
                                        ; implicit-def: $vgpr6
	s_andn2_saveexec_b64 s[0:1], s[6:7]
	s_cbranch_execnz .LBB37_9
.LBB37_174:
	s_endpgm
.LBB37_175:
	s_mov_b64 s[8:9], -1
                                        ; implicit-def: $vgpr3
.LBB37_176:
	s_andn2_b64 vcc, exec, s[8:9]
	s_cbranch_vccnz .LBB37_178
; %bb.177:
	s_waitcnt vmcnt(0)
	v_mov_b32_e32 v3, v1
.LBB37_178:
	v_add_u32_e32 v6, 0x80, v6
	s_waitcnt lgkmcnt(0)
	global_store_dword v0, v3, s[24:25]
	s_or_b64 exec, exec, s[54:55]
	v_cmp_gt_i32_e32 vcc, s63, v6
	s_and_saveexec_b64 s[54:55], vcc
	s_cbranch_execz .LBB37_173
.LBB37_179:
	s_andn2_b64 vcc, exec, s[2:3]
	s_cbranch_vccnz .LBB37_185
; %bb.180:
	s_mov_b32 s56, 0
	s_andn2_b64 vcc, exec, s[52:53]
	v_mov_b32_e32 v2, 0
	v_mov_b32_e32 v0, 0
	s_cbranch_vccnz .LBB37_191
; %bb.181:
	s_add_i32 s64, s64, 1
	s_cmp_eq_u32 s62, 2
	s_cbranch_scc1 .LBB37_186
; %bb.182:
	s_and_b32 s56, s64, 28
	s_mov_b32 s57, 0
	v_mov_b32_e32 v0, 0
	s_mov_b64 s[52:53], s[4:5]
	v_mov_b32_e32 v3, v6
	v_mov_b32_e32 v2, 0
.LBB37_183:                             ; =>This Inner Loop Header: Depth=1
	s_load_dwordx8 s[16:23], s[52:53], 0x4
	s_load_dwordx4 s[40:43], s[52:53], 0x24
	s_load_dwordx8 s[8:15], s[50:51], 0x0
	s_add_u32 s52, s52, 48
	s_addc_u32 s53, s53, 0
	s_waitcnt vmcnt(1) lgkmcnt(0)
	v_mul_hi_u32 v1, s17, v3
	v_add_u32_e32 v1, v3, v1
	v_lshrrev_b32_e32 v1, s18, v1
	v_mul_lo_u32 v4, v1, s16
	v_mul_hi_u32 v5, s20, v1
	v_sub_u32_e32 v3, v3, v4
	v_add_u32_e32 v4, v1, v5
	v_lshrrev_b32_e32 v4, s21, v4
	v_mul_lo_u32 v7, v4, s19
	v_mul_hi_u32 v8, s23, v4
	v_sub_u32_e32 v1, v1, v7
	v_add_u32_e32 v7, v4, v8
	v_mul_lo_u32 v5, v3, s9
	v_mul_lo_u32 v3, v3, s8
	;; [unrolled: 1-line block ×4, first 2 shown]
	v_lshrrev_b32_e32 v7, s40, v7
	v_add3_u32 v0, v3, v0, v1
	v_mul_hi_u32 v3, s42, v7
	v_add_u32_e32 v3, v7, v3
	v_lshrrev_b32_e32 v3, s43, v3
	s_add_i32 s57, s57, 4
	v_add3_u32 v1, v5, v2, v8
	v_mul_lo_u32 v2, v7, s22
	v_mul_lo_u32 v5, v3, s41
	s_add_u32 s50, s50, 32
	v_sub_u32_e32 v2, v4, v2
	v_sub_u32_e32 v5, v7, v5
	s_addc_u32 s51, s51, 0
	v_mul_lo_u32 v4, v2, s12
	v_mul_lo_u32 v2, v2, s13
	;; [unrolled: 1-line block ×4, first 2 shown]
	s_cmp_eq_u32 s56, s57
	v_add3_u32 v2, v2, v1, v5
	v_add3_u32 v0, v4, v0, v7
	s_cbranch_scc0 .LBB37_183
; %bb.184:
	v_mov_b32_e32 v1, v2
	s_branch .LBB37_187
.LBB37_185:
                                        ; implicit-def: $vgpr2
                                        ; implicit-def: $vgpr0
	s_branch .LBB37_192
.LBB37_186:
	s_mov_b32 s57, s56
	s_waitcnt vmcnt(1)
	v_pk_mov_b32 v[0:1], s[56:57], s[56:57] op_sel:[0,1]
                                        ; implicit-def: $vgpr2
	v_mov_b32_e32 v3, v6
.LBB37_187:
	s_and_b32 s12, s64, 3
	s_cmp_eq_u32 s12, 0
	s_cbranch_scc1 .LBB37_191
; %bb.188:
	s_lshl_b32 s8, s56, 3
	s_add_u32 s8, s8, s4
	s_addc_u32 s9, s5, 0
	s_add_u32 s8, s8, 0xc4
	s_addc_u32 s9, s9, 0
	s_mul_i32 s10, s56, 12
	s_add_u32 s10, s4, s10
	s_addc_u32 s11, s5, 0
.LBB37_189:                             ; =>This Inner Loop Header: Depth=1
	s_load_dwordx2 s[14:15], s[10:11], 0x4
	s_load_dword s13, s[10:11], 0xc
	s_load_dwordx2 s[16:17], s[8:9], 0x0
	v_mov_b32_e32 v2, v1
	s_add_u32 s10, s10, 12
	s_waitcnt lgkmcnt(0)
	v_mul_hi_u32 v1, s15, v3
	v_add_u32_e32 v1, v3, v1
	v_lshrrev_b32_e32 v1, s13, v1
	s_addc_u32 s11, s11, 0
	v_mul_lo_u32 v4, v1, s14
	s_add_u32 s8, s8, 8
	v_sub_u32_e32 v7, v3, v4
	v_mov_b32_e32 v3, v1
	s_addc_u32 s9, s9, 0
	s_add_i32 s12, s12, -1
	v_mad_u64_u32 v[4:5], s[14:15], v7, s17, v[2:3]
	v_mad_u64_u32 v[0:1], s[14:15], v7, s16, v[0:1]
	s_cmp_lg_u32 s12, 0
	v_mov_b32_e32 v1, v4
	s_cbranch_scc1 .LBB37_189
; %bb.190:
	v_mov_b32_e32 v2, v1
.LBB37_191:
	s_cbranch_execnz .LBB37_194
.LBB37_192:
	v_mul_hi_u32 v0, s29, v6
	v_add_u32_e32 v0, v6, v0
	s_waitcnt vmcnt(1)
	v_lshrrev_b32_e32 v1, s30, v0
	v_mul_lo_u32 v0, v1, s28
	v_sub_u32_e32 v0, v6, v0
	s_waitcnt lgkmcnt(0)
	v_mul_lo_u32 v2, v0, s37
	s_andn2_b64 vcc, exec, s[48:49]
	v_mul_lo_u32 v0, v0, s36
	s_cbranch_vccnz .LBB37_194
; %bb.193:
	v_mul_hi_u32 v3, s44, v1
	v_add_u32_e32 v3, v1, v3
	v_lshrrev_b32_e32 v3, s45, v3
	v_mul_lo_u32 v3, v3, s31
	v_sub_u32_e32 v3, v1, v3
	v_mad_u64_u32 v[0:1], s[8:9], v3, s38, v[0:1]
	v_mad_u64_u32 v[2:3], s[8:9], v3, s39, v[2:3]
.LBB37_194:
	s_andn2_b64 vcc, exec, s[46:47]
	v_mov_b32_e32 v3, 0
	s_cbranch_vccnz .LBB37_204
; %bb.195:
	v_cmp_lt_i64_e64 s[8:9], s[34:35], 1
	s_and_b64 vcc, exec, s[8:9]
	v_mov_b32_e32 v3, 1.0
	s_cbranch_vccnz .LBB37_204
; %bb.196:
	s_waitcnt lgkmcnt(0)
	global_load_dword v1, v2, s[26:27]
	s_cmp_lg_u64 s[34:35], 1
	s_cbranch_scc0 .LBB37_201
; %bb.197:
	s_andn2_b64 vcc, exec, s[0:1]
	v_mov_b32_e32 v3, 0x7fc00000
	s_cbranch_vccnz .LBB37_200
; %bb.198:
	s_mov_b64 s[0:1], 1
	v_mov_b32_e32 v2, 1.0
	s_waitcnt vmcnt(0)
	v_mov_b32_e32 v3, v1
.LBB37_199:                             ; =>This Inner Loop Header: Depth=1
	s_flbit_i32_b32 s8, s1
	s_min_u32 s10, s8, 32
	s_lshl_b64 s[8:9], s[0:1], s10
	s_min_u32 s8, s8, 1
	s_or_b32 s8, s9, s8
	v_cvt_f32_u32_e32 v4, s8
	s_sub_i32 s10, 32, s10
	s_add_u32 s0, s0, 1
	s_addc_u32 s1, s1, 0
	v_ldexp_f32 v4, v4, s10
	v_mul_f32_e32 v4, v2, v4
	s_cmp_lg_u64 s[34:35], s[0:1]
	v_mov_b32_e32 v2, v3
	v_fma_f32 v3, v1, v3, -v4
	s_cbranch_scc1 .LBB37_199
.LBB37_200:
	s_mov_b64 s[0:1], 0
	s_branch .LBB37_202
.LBB37_201:
	s_mov_b64 s[0:1], -1
                                        ; implicit-def: $vgpr3
.LBB37_202:
	s_andn2_b64 vcc, exec, s[0:1]
	s_cbranch_vccnz .LBB37_204
; %bb.203:
	s_waitcnt vmcnt(0)
	v_mov_b32_e32 v3, v1
.LBB37_204:
	s_waitcnt lgkmcnt(0)
	global_store_dword v0, v3, s[24:25]
	s_or_b64 exec, exec, s[54:55]
                                        ; implicit-def: $vgpr15
                                        ; implicit-def: $vgpr6
	s_andn2_saveexec_b64 s[0:1], s[6:7]
	s_cbranch_execz .LBB37_174
	s_branch .LBB37_9
	.section	.rodata,"a",@progbits
	.p2align	6, 0x0
	.amdhsa_kernel _ZN2at6native32elementwise_kernel_manual_unrollILi128ELi4EZNS0_22gpu_kernel_impl_nocastINS0_13BUnaryFunctorIfffZZZNS0_12_GLOBAL__N_133hermite_polynomial_he_kernel_cudaERNS_18TensorIteratorBaseEENKUlvE_clEvENKUlvE0_clEvEUlffE_EEEEvS6_RKT_EUlibE_EEviT1_
		.amdhsa_group_segment_fixed_size 0
		.amdhsa_private_segment_fixed_size 0
		.amdhsa_kernarg_size 360
		.amdhsa_user_sgpr_count 6
		.amdhsa_user_sgpr_private_segment_buffer 1
		.amdhsa_user_sgpr_dispatch_ptr 0
		.amdhsa_user_sgpr_queue_ptr 0
		.amdhsa_user_sgpr_kernarg_segment_ptr 1
		.amdhsa_user_sgpr_dispatch_id 0
		.amdhsa_user_sgpr_flat_scratch_init 0
		.amdhsa_user_sgpr_kernarg_preload_length 0
		.amdhsa_user_sgpr_kernarg_preload_offset 0
		.amdhsa_user_sgpr_private_segment_size 0
		.amdhsa_uses_dynamic_stack 0
		.amdhsa_system_sgpr_private_segment_wavefront_offset 0
		.amdhsa_system_sgpr_workgroup_id_x 1
		.amdhsa_system_sgpr_workgroup_id_y 0
		.amdhsa_system_sgpr_workgroup_id_z 0
		.amdhsa_system_sgpr_workgroup_info 0
		.amdhsa_system_vgpr_workitem_id 0
		.amdhsa_next_free_vgpr 18
		.amdhsa_next_free_sgpr 66
		.amdhsa_accum_offset 20
		.amdhsa_reserve_vcc 1
		.amdhsa_reserve_flat_scratch 0
		.amdhsa_float_round_mode_32 0
		.amdhsa_float_round_mode_16_64 0
		.amdhsa_float_denorm_mode_32 3
		.amdhsa_float_denorm_mode_16_64 3
		.amdhsa_dx10_clamp 1
		.amdhsa_ieee_mode 1
		.amdhsa_fp16_overflow 0
		.amdhsa_tg_split 0
		.amdhsa_exception_fp_ieee_invalid_op 0
		.amdhsa_exception_fp_denorm_src 0
		.amdhsa_exception_fp_ieee_div_zero 0
		.amdhsa_exception_fp_ieee_overflow 0
		.amdhsa_exception_fp_ieee_underflow 0
		.amdhsa_exception_fp_ieee_inexact 0
		.amdhsa_exception_int_div_zero 0
	.end_amdhsa_kernel
	.section	.text._ZN2at6native32elementwise_kernel_manual_unrollILi128ELi4EZNS0_22gpu_kernel_impl_nocastINS0_13BUnaryFunctorIfffZZZNS0_12_GLOBAL__N_133hermite_polynomial_he_kernel_cudaERNS_18TensorIteratorBaseEENKUlvE_clEvENKUlvE0_clEvEUlffE_EEEEvS6_RKT_EUlibE_EEviT1_,"axG",@progbits,_ZN2at6native32elementwise_kernel_manual_unrollILi128ELi4EZNS0_22gpu_kernel_impl_nocastINS0_13BUnaryFunctorIfffZZZNS0_12_GLOBAL__N_133hermite_polynomial_he_kernel_cudaERNS_18TensorIteratorBaseEENKUlvE_clEvENKUlvE0_clEvEUlffE_EEEEvS6_RKT_EUlibE_EEviT1_,comdat
.Lfunc_end37:
	.size	_ZN2at6native32elementwise_kernel_manual_unrollILi128ELi4EZNS0_22gpu_kernel_impl_nocastINS0_13BUnaryFunctorIfffZZZNS0_12_GLOBAL__N_133hermite_polynomial_he_kernel_cudaERNS_18TensorIteratorBaseEENKUlvE_clEvENKUlvE0_clEvEUlffE_EEEEvS6_RKT_EUlibE_EEviT1_, .Lfunc_end37-_ZN2at6native32elementwise_kernel_manual_unrollILi128ELi4EZNS0_22gpu_kernel_impl_nocastINS0_13BUnaryFunctorIfffZZZNS0_12_GLOBAL__N_133hermite_polynomial_he_kernel_cudaERNS_18TensorIteratorBaseEENKUlvE_clEvENKUlvE0_clEvEUlffE_EEEEvS6_RKT_EUlibE_EEviT1_
                                        ; -- End function
	.section	.AMDGPU.csdata,"",@progbits
; Kernel info:
; codeLenInByte = 7448
; NumSgprs: 70
; NumVgprs: 18
; NumAgprs: 0
; TotalNumVgprs: 18
; ScratchSize: 0
; MemoryBound: 0
; FloatMode: 240
; IeeeMode: 1
; LDSByteSize: 0 bytes/workgroup (compile time only)
; SGPRBlocks: 8
; VGPRBlocks: 2
; NumSGPRsForWavesPerEU: 70
; NumVGPRsForWavesPerEU: 18
; AccumOffset: 20
; Occupancy: 8
; WaveLimiterHint : 1
; COMPUTE_PGM_RSRC2:SCRATCH_EN: 0
; COMPUTE_PGM_RSRC2:USER_SGPR: 6
; COMPUTE_PGM_RSRC2:TRAP_HANDLER: 0
; COMPUTE_PGM_RSRC2:TGID_X_EN: 1
; COMPUTE_PGM_RSRC2:TGID_Y_EN: 0
; COMPUTE_PGM_RSRC2:TGID_Z_EN: 0
; COMPUTE_PGM_RSRC2:TIDIG_COMP_CNT: 0
; COMPUTE_PGM_RSRC3_GFX90A:ACCUM_OFFSET: 4
; COMPUTE_PGM_RSRC3_GFX90A:TG_SPLIT: 0
	.section	.text._ZN2at6native32elementwise_kernel_manual_unrollILi128ELi4EZNS0_15gpu_kernel_implINS0_13BUnaryFunctorIfffZZZNS0_12_GLOBAL__N_133hermite_polynomial_he_kernel_cudaERNS_18TensorIteratorBaseEENKUlvE_clEvENKUlvE0_clEvEUlffE_EEEEvS6_RKT_EUlibE_EEviT1_,"axG",@progbits,_ZN2at6native32elementwise_kernel_manual_unrollILi128ELi4EZNS0_15gpu_kernel_implINS0_13BUnaryFunctorIfffZZZNS0_12_GLOBAL__N_133hermite_polynomial_he_kernel_cudaERNS_18TensorIteratorBaseEENKUlvE_clEvENKUlvE0_clEvEUlffE_EEEEvS6_RKT_EUlibE_EEviT1_,comdat
	.globl	_ZN2at6native32elementwise_kernel_manual_unrollILi128ELi4EZNS0_15gpu_kernel_implINS0_13BUnaryFunctorIfffZZZNS0_12_GLOBAL__N_133hermite_polynomial_he_kernel_cudaERNS_18TensorIteratorBaseEENKUlvE_clEvENKUlvE0_clEvEUlffE_EEEEvS6_RKT_EUlibE_EEviT1_ ; -- Begin function _ZN2at6native32elementwise_kernel_manual_unrollILi128ELi4EZNS0_15gpu_kernel_implINS0_13BUnaryFunctorIfffZZZNS0_12_GLOBAL__N_133hermite_polynomial_he_kernel_cudaERNS_18TensorIteratorBaseEENKUlvE_clEvENKUlvE0_clEvEUlffE_EEEEvS6_RKT_EUlibE_EEviT1_
	.p2align	8
	.type	_ZN2at6native32elementwise_kernel_manual_unrollILi128ELi4EZNS0_15gpu_kernel_implINS0_13BUnaryFunctorIfffZZZNS0_12_GLOBAL__N_133hermite_polynomial_he_kernel_cudaERNS_18TensorIteratorBaseEENKUlvE_clEvENKUlvE0_clEvEUlffE_EEEEvS6_RKT_EUlibE_EEviT1_,@function
_ZN2at6native32elementwise_kernel_manual_unrollILi128ELi4EZNS0_15gpu_kernel_implINS0_13BUnaryFunctorIfffZZZNS0_12_GLOBAL__N_133hermite_polynomial_he_kernel_cudaERNS_18TensorIteratorBaseEENKUlvE_clEvENKUlvE0_clEvEUlffE_EEEEvS6_RKT_EUlibE_EEviT1_: ; @_ZN2at6native32elementwise_kernel_manual_unrollILi128ELi4EZNS0_15gpu_kernel_implINS0_13BUnaryFunctorIfffZZZNS0_12_GLOBAL__N_133hermite_polynomial_he_kernel_cudaERNS_18TensorIteratorBaseEENKUlvE_clEvENKUlvE0_clEvEUlffE_EEEEvS6_RKT_EUlibE_EEviT1_
; %bb.0:
	s_load_dwordx2 s[12:13], s[4:5], 0x24
	s_load_dwordx2 s[14:15], s[4:5], 0x18
	s_load_dword s33, s[4:5], 0x0
	s_load_dwordx4 s[8:11], s[4:5], 0x8
	v_lshl_or_b32 v7, s6, 9, v0
	v_or_b32_e32 v0, 0x180, v7
	s_waitcnt lgkmcnt(0)
	v_lshrrev_b16_e64 v8, 8, s13
	v_cmp_le_i32_e32 vcc, s33, v0
	s_mov_b64 s[4:5], 0
	s_mov_b64 s[16:17], 0
	s_and_saveexec_b64 s[0:1], vcc
	s_xor_b64 s[6:7], exec, s[0:1]
	s_cbranch_execz .LBB38_1067
; %bb.1:
	v_trunc_f32_e32 v0, s12
	s_mov_b32 s0, 0x2f800000
	v_mul_f32_e64 v1, |v0|, s0
	v_floor_f32_e32 v1, v1
	s_mov_b32 s0, 0xcf800000
	v_fma_f32 v2, v1, s0, |v0|
	v_cvt_u32_f32_e32 v2, v2
	v_cvt_u32_f32_e32 v1, v1
	v_readfirstlane_b32 s2, v0
	s_ashr_i32 s2, s2, 31
	v_readfirstlane_b32 s0, v2
	v_readfirstlane_b32 s1, v1
	s_mov_b32 s3, s2
	s_xor_b64 s[0:1], s[0:1], s[2:3]
	s_sub_u32 s16, s0, s2
	v_mov_b32_e32 v0, 0x81
	s_subb_u32 s17, s1, s2
	v_mov_b32_e32 v1, 0
	s_mov_b64 s[2:3], -1
	v_cmp_gt_i64_e64 s[18:19], s[16:17], -1
	v_cmp_lt_u64_e64 s[0:1], s[16:17], v[0:1]
	v_cmp_gt_i32_e32 vcc, s33, v7
	s_mov_b64 s[28:29], 0
	s_mov_b64 s[22:23], 0
	;; [unrolled: 1-line block ×3, first 2 shown]
	s_and_saveexec_b64 s[24:25], vcc
	s_cbranch_execz .LBB38_262
; %bb.2:
	v_mul_lo_u32 v0, v7, s15
	v_ashrrev_i32_e32 v1, 31, v0
	v_mov_b32_e32 v2, s11
	v_add_co_u32_e32 v0, vcc, s10, v0
	v_addc_co_u32_e32 v1, vcc, v2, v1, vcc
	v_cmp_gt_i16_e32 vcc, 11, v8
	s_cbranch_vccnz .LBB38_9
; %bb.3:
	v_cmp_lt_i16_e32 vcc, 25, v8
	s_cbranch_vccz .LBB38_18
; %bb.4:
	v_cmp_lt_i16_e32 vcc, 28, v8
	s_cbranch_vccz .LBB38_19
	;; [unrolled: 3-line block ×4, first 2 shown]
; %bb.7:
	v_cmp_eq_u16_e32 vcc, 46, v8
	s_cbranch_vccz .LBB38_38
; %bb.8:
	global_load_dword v2, v[0:1], off
	s_waitcnt vmcnt(0)
	v_lshlrev_b32_e32 v2, 16, v2
	s_branch .LBB38_40
.LBB38_9:
                                        ; implicit-def: $vgpr2
	s_mov_b64 s[2:3], 0
	s_cbranch_execnz .LBB38_213
.LBB38_10:
	s_andn2_b64 vcc, exec, s[2:3]
	s_cbranch_vccnz .LBB38_260
.LBB38_11:
	s_andn2_b64 vcc, exec, s[18:19]
	v_mov_b32_e32 v0, 0
	s_cbranch_vccnz .LBB38_24
; %bb.12:
	v_cmp_lt_i64_e64 s[2:3], s[16:17], 1
	s_and_b64 vcc, exec, s[2:3]
	v_mov_b32_e32 v0, 1.0
	s_cbranch_vccnz .LBB38_24
; %bb.13:
	s_cmp_lg_u64 s[16:17], 1
	s_cbranch_scc0 .LBB38_21
; %bb.14:
	s_andn2_b64 vcc, exec, s[0:1]
	v_mov_b32_e32 v0, 0x7fc00000
	s_cbranch_vccnz .LBB38_17
; %bb.15:
	s_mov_b64 s[2:3], 1
	v_mov_b32_e32 v1, 1.0
	s_waitcnt vmcnt(0)
	v_mov_b32_e32 v0, v2
.LBB38_16:                              ; =>This Inner Loop Header: Depth=1
	s_flbit_i32_b32 s20, s3
	s_min_u32 s26, s20, 32
	s_lshl_b64 s[20:21], s[2:3], s26
	s_min_u32 s20, s20, 1
	s_or_b32 s20, s21, s20
	v_cvt_f32_u32_e32 v3, s20
	s_sub_i32 s26, 32, s26
	s_add_u32 s2, s2, 1
	s_addc_u32 s3, s3, 0
	v_ldexp_f32 v3, v3, s26
	v_mul_f32_e32 v3, v1, v3
	s_cmp_lg_u64 s[16:17], s[2:3]
	v_mov_b32_e32 v1, v0
	v_fma_f32 v0, v2, v0, -v3
	s_cbranch_scc1 .LBB38_16
.LBB38_17:
	s_mov_b64 s[2:3], 0
	s_branch .LBB38_22
.LBB38_18:
	s_mov_b64 s[2:3], 0
                                        ; implicit-def: $vgpr2
	s_cbranch_execnz .LBB38_178
	s_branch .LBB38_212
.LBB38_19:
	s_mov_b64 s[20:21], -1
	s_mov_b64 s[2:3], 0
                                        ; implicit-def: $vgpr2
	s_branch .LBB38_159
.LBB38_20:
	s_mov_b64 s[20:21], -1
	s_mov_b64 s[2:3], 0
                                        ; implicit-def: $vgpr2
	s_branch .LBB38_154
.LBB38_21:
	s_mov_b64 s[2:3], -1
                                        ; implicit-def: $vgpr0
.LBB38_22:
	s_andn2_b64 vcc, exec, s[2:3]
	s_cbranch_vccnz .LBB38_24
; %bb.23:
	s_waitcnt vmcnt(0)
	v_mov_b32_e32 v0, v2
.LBB38_24:
	v_mul_lo_u32 v1, v7, s14
	v_ashrrev_i32_e32 v3, 31, v1
	v_mov_b32_e32 v4, s9
	s_waitcnt vmcnt(0)
	v_add_co_u32_e32 v2, vcc, s8, v1
	v_mov_b32_e32 v1, 11
	v_addc_co_u32_e32 v3, vcc, v4, v3, vcc
	v_cmp_lt_i16_sdwa s[2:3], s13, v1 src0_sel:BYTE_0 src1_sel:DWORD
	s_and_b64 vcc, exec, s[2:3]
	s_cbranch_vccnz .LBB38_31
; %bb.25:
	v_mov_b32_e32 v1, 25
	v_cmp_gt_i16_sdwa s[2:3], s13, v1 src0_sel:BYTE_0 src1_sel:DWORD
	s_and_b64 vcc, exec, s[2:3]
	s_cbranch_vccz .LBB38_34
; %bb.26:
	v_mov_b32_e32 v1, 28
	v_cmp_gt_i16_sdwa s[2:3], s13, v1 src0_sel:BYTE_0 src1_sel:DWORD
	s_and_b64 vcc, exec, s[2:3]
	s_cbranch_vccz .LBB38_35
	;; [unrolled: 5-line block ×4, first 2 shown]
; %bb.29:
	v_mov_b32_e32 v1, 46
	v_cmp_eq_u16_sdwa s[20:21], s13, v1 src0_sel:BYTE_0 src1_sel:DWORD
	s_mov_b64 s[26:27], 0
	s_mov_b64 s[2:3], -1
	s_and_b64 vcc, exec, s[20:21]
	s_mov_b64 s[20:21], 0
	s_cbranch_vccz .LBB38_44
; %bb.30:
	v_bfe_u32 v1, v0, 16, 1
	s_movk_i32 s2, 0x7fff
	v_add3_u32 v1, v0, v1, s2
	v_lshrrev_b32_e32 v1, 16, v1
	v_mov_b32_e32 v4, 0x7fc0
	v_cmp_o_f32_e32 vcc, v0, v0
	v_cndmask_b32_e32 v1, v4, v1, vcc
	global_store_dword v[2:3], v1, off
	s_mov_b64 s[20:21], -1
	s_mov_b64 s[2:3], 0
	s_branch .LBB38_44
.LBB38_31:
	s_mov_b64 s[2:3], 0
	s_mov_b64 s[20:21], 0
	s_cbranch_execnz .LBB38_113
.LBB38_32:
	s_andn2_b64 vcc, exec, s[20:21]
	s_cbranch_vccnz .LBB38_151
.LBB38_33:
	v_add_u32_e32 v7, 0x80, v7
	s_mov_b64 s[26:27], -1
	s_branch .LBB38_261
.LBB38_34:
	s_mov_b64 s[26:27], -1
	s_mov_b64 s[2:3], 0
	s_mov_b64 s[20:21], 0
	s_branch .LBB38_71
.LBB38_35:
	s_mov_b64 s[26:27], -1
	s_mov_b64 s[2:3], 0
	s_mov_b64 s[20:21], 0
	s_branch .LBB38_54
.LBB38_36:
	s_mov_b64 s[20:21], -1
	s_branch .LBB38_39
.LBB38_37:
	s_mov_b64 s[26:27], -1
	s_mov_b64 s[2:3], 0
	s_mov_b64 s[20:21], 0
	s_branch .LBB38_50
.LBB38_38:
	s_mov_b64 s[22:23], -1
.LBB38_39:
	s_mov_b64 s[2:3], 0
                                        ; implicit-def: $vgpr2
.LBB38_40:
	s_and_b64 vcc, exec, s[20:21]
	s_cbranch_vccz .LBB38_153
; %bb.41:
	v_cmp_eq_u16_e32 vcc, 44, v8
	s_cbranch_vccz .LBB38_152
; %bb.42:
	global_load_ubyte v2, v[0:1], off
	s_movk_i32 s20, 0xff
	v_mov_b32_e32 v3, 0x7f800001
	v_mov_b32_e32 v4, 0x400000
	s_mov_b64 s[2:3], -1
	s_mov_b64 s[22:23], 0
	s_waitcnt vmcnt(0)
	v_lshlrev_b32_e32 v5, 23, v2
	v_cmp_ne_u32_e32 vcc, s20, v2
	v_cndmask_b32_e32 v3, v3, v5, vcc
	v_cmp_ne_u32_e32 vcc, 0, v2
	v_cndmask_b32_e32 v2, v4, v3, vcc
	s_branch .LBB38_153
.LBB38_43:
	s_mov_b64 s[26:27], -1
	s_mov_b64 s[2:3], 0
	s_mov_b64 s[20:21], 0
.LBB38_44:
	s_and_b64 vcc, exec, s[26:27]
	s_cbranch_vccz .LBB38_49
; %bb.45:
	v_mov_b32_e32 v1, 44
	v_cmp_eq_u16_sdwa s[26:27], s13, v1 src0_sel:BYTE_0 src1_sel:DWORD
	s_mov_b64 s[2:3], -1
	s_and_b64 vcc, exec, s[26:27]
	s_cbranch_vccz .LBB38_49
; %bb.46:
	v_bfe_u32 v1, v0, 23, 8
	s_movk_i32 s2, 0xff
	v_cmp_ne_u32_e32 vcc, s2, v1
	v_mov_b32_e32 v4, 0xff
	s_and_saveexec_b64 s[20:21], vcc
; %bb.47:
	s_mov_b32 s2, 0x3fffff
	v_and_b32_e32 v5, 0x400000, v0
	v_and_or_b32 v1, v0, s2, v1
	v_cmp_ne_u32_e32 vcc, 0, v5
	v_cmp_ne_u32_e64 s[2:3], 0, v1
	s_and_b64 s[2:3], vcc, s[2:3]
	v_lshrrev_b32_e32 v4, 23, v0
	v_cndmask_b32_e64 v1, 0, 1, s[2:3]
	v_add_u32_e32 v4, v4, v1
; %bb.48:
	s_or_b64 exec, exec, s[20:21]
	s_mov_b64 s[20:21], -1
	s_mov_b64 s[2:3], 0
	global_store_byte v[2:3], v4, off
.LBB38_49:
	s_mov_b64 s[26:27], 0
.LBB38_50:
	s_and_b64 vcc, exec, s[26:27]
	s_cbranch_vccz .LBB38_53
; %bb.51:
	v_mov_b32_e32 v1, 29
	v_cmp_eq_u16_sdwa s[26:27], s13, v1 src0_sel:BYTE_0 src1_sel:DWORD
	s_mov_b64 s[2:3], -1
	s_and_b64 vcc, exec, s[26:27]
	s_cbranch_vccz .LBB38_53
; %bb.52:
	v_trunc_f32_e32 v1, v0
	v_mul_f32_e32 v4, 0x2f800000, v1
	v_floor_f32_e32 v4, v4
	v_fmac_f32_e32 v1, 0xcf800000, v4
	v_cvt_u32_f32_e32 v5, v4
	v_cvt_u32_f32_e32 v4, v1
	s_mov_b64 s[20:21], -1
	s_mov_b64 s[2:3], 0
	s_mov_b64 s[26:27], 0
	global_store_dwordx2 v[2:3], v[4:5], off
	s_branch .LBB38_54
.LBB38_53:
	s_mov_b64 s[26:27], 0
.LBB38_54:
	s_and_b64 vcc, exec, s[26:27]
	s_cbranch_vccz .LBB38_70
; %bb.55:
	v_mov_b32_e32 v1, 27
	v_cmp_lt_i16_sdwa s[26:27], s13, v1 src0_sel:BYTE_0 src1_sel:DWORD
	s_mov_b64 s[20:21], -1
	s_and_b64 vcc, exec, s[26:27]
	s_cbranch_vccnz .LBB38_61
; %bb.56:
	v_cmp_gt_i16_sdwa s[26:27], s13, v1 src0_sel:BYTE_0 src1_sel:DWORD
	v_cvt_u32_f32_e32 v1, v0
	s_and_b64 vcc, exec, s[26:27]
	s_cbranch_vccz .LBB38_58
; %bb.57:
	s_mov_b64 s[20:21], 0
	global_store_dword v[2:3], v1, off
.LBB38_58:
	s_andn2_b64 vcc, exec, s[20:21]
	s_cbranch_vccnz .LBB38_60
; %bb.59:
	global_store_short v[2:3], v1, off
.LBB38_60:
	s_mov_b64 s[20:21], 0
.LBB38_61:
	s_andn2_b64 vcc, exec, s[20:21]
	s_cbranch_vccnz .LBB38_69
; %bb.62:
	v_and_b32_e32 v1, 0x7fffffff, v0
	s_mov_b32 s20, 0x43800000
	v_cmp_gt_u32_e32 vcc, s20, v1
	v_mov_b32_e32 v4, 0x80
	s_and_saveexec_b64 s[20:21], vcc
	s_cbranch_execz .LBB38_68
; %bb.63:
	s_mov_b32 s26, 0x3bffffff
	v_cmp_lt_u32_e32 vcc, s26, v1
	s_mov_b64 s[26:27], 0
                                        ; implicit-def: $vgpr1
	s_and_saveexec_b64 s[30:31], vcc
	s_xor_b64 s[30:31], exec, s[30:31]
	s_cbranch_execz .LBB38_299
; %bb.64:
	v_bfe_u32 v1, v0, 20, 1
	s_mov_b32 s34, 0x487ffff
	v_add3_u32 v1, v0, v1, s34
	s_mov_b64 s[26:27], exec
	v_lshrrev_b32_e32 v1, 20, v1
	s_or_saveexec_b64 s[30:31], s[30:31]
                                        ; implicit-def: $sgpr34
	s_xor_b64 exec, exec, s[30:31]
	s_cbranch_execnz .LBB38_300
.LBB38_65:
	s_or_b64 exec, exec, s[30:31]
	v_mov_b32_e32 v4, s34
	s_and_saveexec_b64 s[30:31], s[26:27]
.LBB38_66:
	v_lshrrev_b32_e32 v4, 24, v0
	s_movk_i32 s26, 0x80
	v_and_or_b32 v4, v4, s26, v1
.LBB38_67:
	s_or_b64 exec, exec, s[30:31]
.LBB38_68:
	s_or_b64 exec, exec, s[20:21]
	global_store_byte v[2:3], v4, off
.LBB38_69:
	s_mov_b64 s[20:21], -1
.LBB38_70:
	s_mov_b64 s[26:27], 0
.LBB38_71:
	s_and_b64 vcc, exec, s[26:27]
	s_cbranch_vccz .LBB38_112
; %bb.72:
	v_mov_b32_e32 v1, 22
	v_cmp_gt_i16_sdwa s[30:31], s13, v1 src0_sel:BYTE_0 src1_sel:DWORD
	s_mov_b64 s[26:27], -1
	s_and_b64 vcc, exec, s[30:31]
	s_cbranch_vccz .LBB38_104
; %bb.73:
	v_mov_b32_e32 v1, 24
	v_cmp_lt_i16_sdwa s[26:27], s13, v1 src0_sel:BYTE_0 src1_sel:DWORD
	s_mov_b64 s[20:21], -1
	s_and_b64 vcc, exec, s[26:27]
	s_cbranch_vccnz .LBB38_93
; %bb.74:
	v_cmp_gt_i16_sdwa s[26:27], s13, v1 src0_sel:BYTE_0 src1_sel:DWORD
	s_and_b64 vcc, exec, s[26:27]
	s_cbranch_vccz .LBB38_82
; %bb.75:
	v_and_b32_e32 v1, 0x7fffffff, v0
	s_mov_b32 s20, 0x47800000
	v_cmp_gt_u32_e32 vcc, s20, v1
	v_mov_b32_e32 v4, 0x80
	s_and_saveexec_b64 s[20:21], vcc
	s_cbranch_execz .LBB38_81
; %bb.76:
	s_mov_b32 s26, 0x37ffffff
	v_cmp_lt_u32_e32 vcc, s26, v1
	s_mov_b64 s[26:27], 0
                                        ; implicit-def: $vgpr1
	s_and_saveexec_b64 s[30:31], vcc
	s_xor_b64 s[30:31], exec, s[30:31]
	s_cbranch_execz .LBB38_303
; %bb.77:
	v_bfe_u32 v1, v0, 21, 1
	s_mov_b32 s34, 0x88fffff
	v_add3_u32 v1, v0, v1, s34
	s_mov_b64 s[26:27], exec
	v_lshrrev_b32_e32 v1, 21, v1
	s_or_saveexec_b64 s[30:31], s[30:31]
                                        ; implicit-def: $sgpr34
	s_xor_b64 exec, exec, s[30:31]
	s_cbranch_execnz .LBB38_304
.LBB38_78:
	s_or_b64 exec, exec, s[30:31]
	v_mov_b32_e32 v4, s34
	s_and_saveexec_b64 s[30:31], s[26:27]
.LBB38_79:
	v_lshrrev_b32_e32 v4, 24, v0
	s_movk_i32 s26, 0x80
	v_and_or_b32 v4, v4, s26, v1
.LBB38_80:
	s_or_b64 exec, exec, s[30:31]
.LBB38_81:
	s_or_b64 exec, exec, s[20:21]
	s_mov_b64 s[20:21], 0
	global_store_byte v[2:3], v4, off
.LBB38_82:
	s_and_b64 vcc, exec, s[20:21]
	s_cbranch_vccz .LBB38_92
; %bb.83:
	v_and_b32_e32 v4, 0x7fffffff, v0
	s_mov_b32 s20, 0x43f00000
	v_cmp_gt_u32_e32 vcc, s20, v4
                                        ; implicit-def: $vgpr1
	s_and_saveexec_b64 s[20:21], vcc
	s_xor_b64 s[20:21], exec, s[20:21]
	s_cbranch_execz .LBB38_89
; %bb.84:
	s_mov_b32 s26, 0x3c7fffff
	v_cmp_lt_u32_e32 vcc, s26, v4
                                        ; implicit-def: $vgpr1
	s_and_saveexec_b64 s[26:27], vcc
	s_xor_b64 s[26:27], exec, s[26:27]
; %bb.85:
	v_bfe_u32 v1, v0, 20, 1
	s_mov_b32 s30, 0x407ffff
	v_add3_u32 v1, v0, v1, s30
	v_lshrrev_b32_e32 v4, 20, v1
	v_and_b32_e32 v1, 0xff00000, v1
	s_mov_b32 s30, 0x7f00000
	v_mov_b32_e32 v5, 0x7e
	v_cmp_ne_u32_e32 vcc, s30, v1
	v_cndmask_b32_e32 v1, v5, v4, vcc
; %bb.86:
	s_andn2_saveexec_b64 s[26:27], s[26:27]
; %bb.87:
	s_mov_b32 s30, 0x46800000
	v_add_f32_e64 v1, |v0|, s30
; %bb.88:
	s_or_b64 exec, exec, s[26:27]
                                        ; implicit-def: $vgpr4
.LBB38_89:
	s_andn2_saveexec_b64 s[20:21], s[20:21]
; %bb.90:
	s_mov_b32 s26, 0x7f800000
	v_mov_b32_e32 v1, 0x7e
	v_mov_b32_e32 v5, 0x7f
	v_cmp_lt_u32_e32 vcc, s26, v4
	v_cndmask_b32_e32 v1, v1, v5, vcc
; %bb.91:
	s_or_b64 exec, exec, s[20:21]
	v_lshrrev_b32_e32 v4, 24, v0
	s_movk_i32 s20, 0x80
	v_and_or_b32 v1, v4, s20, v1
	global_store_byte v[2:3], v1, off
.LBB38_92:
	s_mov_b64 s[20:21], 0
.LBB38_93:
	s_andn2_b64 vcc, exec, s[20:21]
	s_cbranch_vccnz .LBB38_103
; %bb.94:
	v_and_b32_e32 v4, 0x7fffffff, v0
	s_mov_b32 s20, 0x47800000
	v_cmp_gt_u32_e32 vcc, s20, v4
                                        ; implicit-def: $vgpr1
	s_and_saveexec_b64 s[20:21], vcc
	s_xor_b64 s[20:21], exec, s[20:21]
	s_cbranch_execz .LBB38_100
; %bb.95:
	s_mov_b32 s26, 0x387fffff
	v_cmp_lt_u32_e32 vcc, s26, v4
                                        ; implicit-def: $vgpr1
	s_and_saveexec_b64 s[26:27], vcc
	s_xor_b64 s[26:27], exec, s[26:27]
; %bb.96:
	v_bfe_u32 v1, v0, 21, 1
	s_mov_b32 s30, 0x80fffff
	v_add3_u32 v1, v0, v1, s30
	v_lshrrev_b32_e32 v1, 21, v1
; %bb.97:
	s_andn2_saveexec_b64 s[26:27], s[26:27]
; %bb.98:
	s_mov_b32 s30, 0x43000000
	v_add_f32_e64 v1, |v0|, s30
; %bb.99:
	s_or_b64 exec, exec, s[26:27]
                                        ; implicit-def: $vgpr4
.LBB38_100:
	s_andn2_saveexec_b64 s[20:21], s[20:21]
; %bb.101:
	s_mov_b32 s26, 0x7f800000
	v_mov_b32_e32 v1, 0x7c
	v_mov_b32_e32 v5, 0x7f
	v_cmp_lt_u32_e32 vcc, s26, v4
	v_cndmask_b32_e32 v1, v1, v5, vcc
; %bb.102:
	s_or_b64 exec, exec, s[20:21]
	v_lshrrev_b32_e32 v4, 24, v0
	s_movk_i32 s20, 0x80
	v_and_or_b32 v1, v4, s20, v1
	global_store_byte v[2:3], v1, off
.LBB38_103:
	s_mov_b64 s[26:27], 0
	s_mov_b64 s[20:21], -1
.LBB38_104:
	s_andn2_b64 vcc, exec, s[26:27]
	s_cbranch_vccnz .LBB38_112
; %bb.105:
	v_mov_b32_e32 v1, 14
	v_cmp_gt_i16_sdwa s[30:31], s13, v1 src0_sel:BYTE_0 src1_sel:DWORD
	s_mov_b64 s[26:27], -1
	s_and_b64 vcc, exec, s[30:31]
	s_cbranch_vccz .LBB38_109
; %bb.106:
	v_mov_b32_e32 v1, 15
	v_cmp_eq_u16_sdwa s[26:27], s13, v1 src0_sel:BYTE_0 src1_sel:DWORD
	s_mov_b64 s[2:3], -1
	s_and_b64 vcc, exec, s[26:27]
	s_cbranch_vccz .LBB38_108
; %bb.107:
	v_bfe_u32 v1, v0, 16, 1
	s_movk_i32 s2, 0x7fff
	v_add3_u32 v1, v0, v1, s2
	v_lshrrev_b32_e32 v1, 16, v1
	v_mov_b32_e32 v4, 0x7fc0
	v_cmp_o_f32_e32 vcc, v0, v0
	v_cndmask_b32_e32 v1, v4, v1, vcc
	global_store_short v[2:3], v1, off
	s_mov_b64 s[20:21], -1
	s_mov_b64 s[2:3], 0
.LBB38_108:
	s_mov_b64 s[26:27], 0
.LBB38_109:
	s_and_b64 vcc, exec, s[26:27]
	s_cbranch_vccz .LBB38_112
; %bb.110:
	v_mov_b32_e32 v1, 11
	v_cmp_eq_u16_sdwa s[26:27], s13, v1 src0_sel:BYTE_0 src1_sel:DWORD
	s_mov_b64 s[2:3], -1
	s_and_b64 vcc, exec, s[26:27]
	s_cbranch_vccz .LBB38_112
; %bb.111:
	v_cmp_neq_f32_e32 vcc, 0, v0
	v_cndmask_b32_e64 v1, 0, 1, vcc
	s_mov_b64 s[20:21], -1
	s_mov_b64 s[2:3], 0
	global_store_byte v[2:3], v1, off
.LBB38_112:
	s_branch .LBB38_32
.LBB38_113:
	v_mov_b32_e32 v1, 5
	v_cmp_lt_i16_sdwa s[26:27], s13, v1 src0_sel:BYTE_0 src1_sel:DWORD
	s_mov_b64 s[20:21], -1
	s_and_b64 vcc, exec, s[26:27]
	s_cbranch_vccnz .LBB38_134
; %bb.114:
	v_mov_b32_e32 v1, 8
	v_cmp_lt_i16_sdwa s[26:27], s13, v1 src0_sel:BYTE_0 src1_sel:DWORD
	s_and_b64 vcc, exec, s[26:27]
	s_cbranch_vccnz .LBB38_124
; %bb.115:
	v_mov_b32_e32 v1, 9
	v_cmp_lt_i16_sdwa s[26:27], s13, v1 src0_sel:BYTE_0 src1_sel:DWORD
	s_and_b64 vcc, exec, s[26:27]
	s_cbranch_vccnz .LBB38_121
; %bb.116:
	v_cmp_gt_i16_sdwa s[26:27], s13, v1 src0_sel:BYTE_0 src1_sel:DWORD
	s_and_b64 vcc, exec, s[26:27]
	s_cbranch_vccz .LBB38_118
; %bb.117:
	v_mov_b32_e32 v12, 0
	v_cvt_f64_f32_e32 v[10:11], v0
	v_mov_b32_e32 v13, v12
	global_store_dwordx4 v[2:3], v[10:13], off
	s_mov_b64 s[20:21], 0
.LBB38_118:
	s_andn2_b64 vcc, exec, s[20:21]
	s_cbranch_vccnz .LBB38_120
; %bb.119:
	v_mov_b32_e32 v1, 0
	global_store_dwordx2 v[2:3], v[0:1], off
.LBB38_120:
	s_mov_b64 s[20:21], 0
.LBB38_121:
	s_andn2_b64 vcc, exec, s[20:21]
	s_cbranch_vccnz .LBB38_123
; %bb.122:
	v_cvt_f16_f32_e32 v1, v0
	global_store_dword v[2:3], v1, off
.LBB38_123:
	s_mov_b64 s[20:21], 0
.LBB38_124:
	s_andn2_b64 vcc, exec, s[20:21]
	s_cbranch_vccnz .LBB38_133
; %bb.125:
	v_mov_b32_e32 v1, 6
	v_cmp_lt_i16_sdwa s[26:27], s13, v1 src0_sel:BYTE_0 src1_sel:DWORD
	s_mov_b64 s[20:21], -1
	s_and_b64 vcc, exec, s[26:27]
	s_cbranch_vccnz .LBB38_131
; %bb.126:
	v_cmp_gt_i16_sdwa s[26:27], s13, v1 src0_sel:BYTE_0 src1_sel:DWORD
	s_and_b64 vcc, exec, s[26:27]
	s_cbranch_vccz .LBB38_128
; %bb.127:
	v_cvt_f64_f32_e32 v[4:5], v0
	global_store_dwordx2 v[2:3], v[4:5], off
	s_mov_b64 s[20:21], 0
.LBB38_128:
	s_andn2_b64 vcc, exec, s[20:21]
	s_cbranch_vccnz .LBB38_130
; %bb.129:
	global_store_dword v[2:3], v0, off
.LBB38_130:
	s_mov_b64 s[20:21], 0
.LBB38_131:
	s_andn2_b64 vcc, exec, s[20:21]
	s_cbranch_vccnz .LBB38_133
; %bb.132:
	v_cvt_f16_f32_e32 v1, v0
	global_store_short v[2:3], v1, off
.LBB38_133:
	s_mov_b64 s[20:21], 0
.LBB38_134:
	s_andn2_b64 vcc, exec, s[20:21]
	s_cbranch_vccnz .LBB38_150
; %bb.135:
	v_mov_b32_e32 v1, 2
	v_cmp_lt_i16_sdwa s[26:27], s13, v1 src0_sel:BYTE_0 src1_sel:DWORD
	s_mov_b64 s[20:21], -1
	s_and_b64 vcc, exec, s[26:27]
	s_cbranch_vccnz .LBB38_145
; %bb.136:
	v_mov_b32_e32 v1, 3
	v_cmp_lt_i16_sdwa s[26:27], s13, v1 src0_sel:BYTE_0 src1_sel:DWORD
	s_and_b64 vcc, exec, s[26:27]
	s_cbranch_vccnz .LBB38_142
; %bb.137:
	v_cmp_gt_i16_sdwa s[26:27], s13, v1 src0_sel:BYTE_0 src1_sel:DWORD
	s_and_b64 vcc, exec, s[26:27]
	s_cbranch_vccz .LBB38_139
; %bb.138:
	v_trunc_f32_e32 v1, v0
	s_mov_b32 s20, 0x2f800000
	v_mul_f32_e64 v4, |v1|, s20
	v_floor_f32_e32 v4, v4
	s_mov_b32 s20, 0xcf800000
	v_cvt_u32_f32_e32 v5, v4
	v_fma_f32 v4, v4, s20, |v1|
	v_cvt_u32_f32_e32 v4, v4
	v_ashrrev_i32_e32 v1, 31, v1
	v_xor_b32_e32 v5, v5, v1
	s_mov_b64 s[20:21], 0
	v_xor_b32_e32 v4, v4, v1
	v_sub_co_u32_e32 v4, vcc, v4, v1
	v_subb_co_u32_e32 v5, vcc, v5, v1, vcc
	global_store_dwordx2 v[2:3], v[4:5], off
.LBB38_139:
	s_andn2_b64 vcc, exec, s[20:21]
	s_cbranch_vccnz .LBB38_141
; %bb.140:
	v_cvt_i32_f32_e32 v1, v0
	global_store_dword v[2:3], v1, off
.LBB38_141:
	s_mov_b64 s[20:21], 0
.LBB38_142:
	s_andn2_b64 vcc, exec, s[20:21]
	s_cbranch_vccnz .LBB38_144
; %bb.143:
	v_cvt_i32_f32_e32 v1, v0
	global_store_short v[2:3], v1, off
.LBB38_144:
	s_mov_b64 s[20:21], 0
.LBB38_145:
	s_andn2_b64 vcc, exec, s[20:21]
	s_cbranch_vccnz .LBB38_150
; %bb.146:
	v_mov_b32_e32 v1, 0
	v_cmp_gt_i16_sdwa s[26:27], s13, v1 src0_sel:BYTE_0 src1_sel:DWORD
	s_mov_b64 s[20:21], -1
	s_and_b64 vcc, exec, s[26:27]
	s_cbranch_vccz .LBB38_148
; %bb.147:
	v_cvt_i32_f32_e32 v1, v0
	s_mov_b64 s[20:21], 0
	global_store_byte v[2:3], v1, off
.LBB38_148:
	s_andn2_b64 vcc, exec, s[20:21]
	s_cbranch_vccnz .LBB38_150
; %bb.149:
	v_trunc_f32_e32 v0, v0
	s_mov_b32 s20, 0x2f800000
	v_mul_f32_e64 v1, |v0|, s20
	v_floor_f32_e32 v1, v1
	s_mov_b32 s20, 0xcf800000
	v_fma_f32 v1, v1, s20, |v0|
	v_cvt_u32_f32_e32 v1, v1
	v_ashrrev_i32_e32 v0, 31, v0
	v_xor_b32_e32 v1, v1, v0
	v_sub_u32_e32 v0, v1, v0
	global_store_byte v[2:3], v0, off
.LBB38_150:
	s_branch .LBB38_33
.LBB38_151:
	s_mov_b64 s[26:27], 0
                                        ; implicit-def: $vgpr7
	s_branch .LBB38_261
.LBB38_152:
	s_mov_b64 s[22:23], -1
                                        ; implicit-def: $vgpr2
.LBB38_153:
	s_mov_b64 s[20:21], 0
.LBB38_154:
	s_and_b64 vcc, exec, s[20:21]
	s_cbranch_vccz .LBB38_158
; %bb.155:
	v_cmp_eq_u16_e32 vcc, 29, v8
	s_cbranch_vccz .LBB38_157
; %bb.156:
	global_load_dwordx2 v[2:3], v[0:1], off
	s_mov_b64 s[2:3], -1
	s_mov_b64 s[22:23], 0
	s_mov_b64 s[20:21], 0
	s_waitcnt vmcnt(0)
	v_ffbh_u32_e32 v4, v3
	v_min_u32_e32 v4, 32, v4
	v_lshlrev_b64 v[2:3], v4, v[2:3]
	v_min_u32_e32 v2, 1, v2
	v_or_b32_e32 v2, v3, v2
	v_cvt_f32_u32_e32 v2, v2
	v_sub_u32_e32 v3, 32, v4
	v_ldexp_f32 v2, v2, v3
	s_branch .LBB38_159
.LBB38_157:
	s_mov_b64 s[22:23], -1
                                        ; implicit-def: $vgpr2
.LBB38_158:
	s_mov_b64 s[20:21], 0
.LBB38_159:
	s_and_b64 vcc, exec, s[20:21]
	s_cbranch_vccz .LBB38_177
; %bb.160:
	v_cmp_gt_i16_e32 vcc, 27, v8
	s_cbranch_vccnz .LBB38_163
; %bb.161:
	v_cmp_lt_i16_e32 vcc, 27, v8
	s_cbranch_vccz .LBB38_164
; %bb.162:
	global_load_dword v2, v[0:1], off
	s_mov_b64 s[2:3], 0
	s_waitcnt vmcnt(0)
	v_cvt_f32_u32_e32 v2, v2
	s_branch .LBB38_165
.LBB38_163:
	s_mov_b64 s[2:3], -1
                                        ; implicit-def: $vgpr2
	s_branch .LBB38_168
.LBB38_164:
	s_mov_b64 s[2:3], -1
                                        ; implicit-def: $vgpr2
.LBB38_165:
	s_andn2_b64 vcc, exec, s[2:3]
	s_cbranch_vccnz .LBB38_167
; %bb.166:
	global_load_ushort v2, v[0:1], off
	s_waitcnt vmcnt(0)
	v_cvt_f32_u32_e32 v2, v2
.LBB38_167:
	s_mov_b64 s[2:3], 0
.LBB38_168:
	s_andn2_b64 vcc, exec, s[2:3]
	s_cbranch_vccnz .LBB38_176
; %bb.169:
	global_load_ubyte v3, v[0:1], off
	s_movk_i32 s2, 0x7f
                                        ; implicit-def: $sgpr30
	s_waitcnt vmcnt(0)
	v_cmp_lt_i16_e32 vcc, s2, v3
	s_mov_b64 s[2:3], 0
	s_and_saveexec_b64 s[20:21], vcc
	s_xor_b64 s[20:21], exec, s[20:21]
	s_cbranch_execz .LBB38_189
; %bb.170:
	s_movk_i32 s2, 0x80
	v_cmp_eq_u16_e32 vcc, s2, v3
	s_mov_b64 s[2:3], -1
                                        ; implicit-def: $sgpr30
	s_and_saveexec_b64 s[26:27], vcc
; %bb.171:
	s_mov_b32 s30, 0x7f800001
	s_xor_b64 s[2:3], exec, -1
; %bb.172:
	s_or_b64 exec, exec, s[26:27]
	s_and_b64 s[2:3], s[2:3], exec
	s_or_saveexec_b64 s[20:21], s[20:21]
	v_mov_b32_e32 v2, s30
	s_xor_b64 exec, exec, s[20:21]
	s_cbranch_execnz .LBB38_190
.LBB38_173:
	s_or_b64 exec, exec, s[20:21]
	s_and_saveexec_b64 s[20:21], s[2:3]
	s_cbranch_execz .LBB38_175
.LBB38_174:
	v_lshlrev_b32_e32 v2, 24, v3
	v_and_b32_e32 v3, 0xffff, v3
	v_and_b32_e32 v4, 7, v3
	v_ffbh_u32_e32 v6, v4
	v_min_u32_e32 v6, 32, v6
	v_subrev_u32_e32 v9, 28, v6
	v_bfe_u32 v5, v3, 3, 4
	v_lshlrev_b32_e32 v3, v9, v3
	v_sub_u32_e32 v6, 29, v6
	v_and_b32_e32 v3, 7, v3
	v_cmp_eq_u32_e32 vcc, 0, v5
	v_cndmask_b32_e32 v5, v5, v6, vcc
	v_cndmask_b32_e32 v3, v4, v3, vcc
	v_mov_b32_e32 v4, 0x3b800000
	v_lshlrev_b32_e32 v3, 20, v3
	v_and_b32_e32 v2, 0x80000000, v2
	v_lshl_add_u32 v4, v5, 23, v4
	v_or3_b32 v2, v2, v4, v3
.LBB38_175:
	s_or_b64 exec, exec, s[20:21]
.LBB38_176:
	s_mov_b64 s[2:3], -1
.LBB38_177:
	s_branch .LBB38_212
.LBB38_178:
	v_cmp_lt_i16_e32 vcc, 22, v8
	s_cbranch_vccz .LBB38_188
; %bb.179:
	v_cmp_gt_i16_e32 vcc, 24, v8
	s_cbranch_vccnz .LBB38_191
; %bb.180:
	v_cmp_lt_i16_e32 vcc, 24, v8
	s_cbranch_vccz .LBB38_192
; %bb.181:
	global_load_ubyte v3, v[0:1], off
	s_movk_i32 s2, 0x7f
                                        ; implicit-def: $sgpr30
	s_waitcnt vmcnt(0)
	v_cmp_lt_i16_e32 vcc, s2, v3
	s_mov_b64 s[2:3], 0
	s_and_saveexec_b64 s[20:21], vcc
	s_xor_b64 s[20:21], exec, s[20:21]
	s_cbranch_execz .LBB38_204
; %bb.182:
	s_movk_i32 s2, 0x80
	v_cmp_eq_u16_e32 vcc, s2, v3
	s_mov_b64 s[2:3], -1
                                        ; implicit-def: $sgpr30
	s_and_saveexec_b64 s[26:27], vcc
; %bb.183:
	s_mov_b32 s30, 0x7f800001
	s_xor_b64 s[2:3], exec, -1
; %bb.184:
	s_or_b64 exec, exec, s[26:27]
	s_and_b64 s[2:3], s[2:3], exec
	s_or_saveexec_b64 s[20:21], s[20:21]
	v_mov_b32_e32 v2, s30
	s_xor_b64 exec, exec, s[20:21]
	s_cbranch_execnz .LBB38_205
.LBB38_185:
	s_or_b64 exec, exec, s[20:21]
	s_and_saveexec_b64 s[20:21], s[2:3]
	s_cbranch_execz .LBB38_187
.LBB38_186:
	v_lshlrev_b32_e32 v2, 24, v3
	v_and_b32_e32 v3, 0xffff, v3
	v_and_b32_e32 v4, 3, v3
	v_ffbh_u32_e32 v6, v4
	v_min_u32_e32 v6, 32, v6
	v_subrev_u32_e32 v9, 29, v6
	v_bfe_u32 v5, v3, 2, 5
	v_lshlrev_b32_e32 v3, v9, v3
	v_sub_u32_e32 v6, 30, v6
	v_and_b32_e32 v3, 3, v3
	v_cmp_eq_u32_e32 vcc, 0, v5
	v_cndmask_b32_e32 v5, v5, v6, vcc
	v_cndmask_b32_e32 v3, v4, v3, vcc
	v_mov_b32_e32 v4, 0x37800000
	v_lshlrev_b32_e32 v3, 21, v3
	v_and_b32_e32 v2, 0x80000000, v2
	v_lshl_add_u32 v4, v5, 23, v4
	v_or3_b32 v2, v2, v4, v3
.LBB38_187:
	s_or_b64 exec, exec, s[20:21]
	s_mov_b64 s[2:3], 0
	s_branch .LBB38_193
.LBB38_188:
	s_mov_b64 s[20:21], -1
                                        ; implicit-def: $vgpr2
	s_branch .LBB38_199
.LBB38_189:
	s_or_saveexec_b64 s[20:21], s[20:21]
	v_mov_b32_e32 v2, s30
	s_xor_b64 exec, exec, s[20:21]
	s_cbranch_execz .LBB38_173
.LBB38_190:
	v_cmp_ne_u16_e32 vcc, 0, v3
	s_andn2_b64 s[2:3], s[2:3], exec
	s_and_b64 s[26:27], vcc, exec
	v_mov_b32_e32 v2, 0
	s_or_b64 s[2:3], s[2:3], s[26:27]
	s_or_b64 exec, exec, s[20:21]
	s_and_saveexec_b64 s[20:21], s[2:3]
	s_cbranch_execnz .LBB38_174
	s_branch .LBB38_175
.LBB38_191:
	s_mov_b64 s[2:3], -1
                                        ; implicit-def: $vgpr2
	s_branch .LBB38_196
.LBB38_192:
	s_mov_b64 s[2:3], -1
                                        ; implicit-def: $vgpr2
.LBB38_193:
	s_and_b64 vcc, exec, s[2:3]
	s_cbranch_vccz .LBB38_195
; %bb.194:
	global_load_ubyte v2, v[0:1], off
	s_mov_b32 s2, 0x7f800000
	s_waitcnt vmcnt(0)
	v_lshlrev_b32_e32 v2, 24, v2
	v_and_b32_e32 v3, 0x7f000000, v2
	v_ffbh_u32_e32 v4, v3
	v_min_u32_e32 v4, 32, v4
	v_sub_u32_e64 v4, v4, 4 clamp
	v_lshlrev_b32_e32 v6, v4, v3
	v_lshlrev_b32_e32 v4, 23, v4
	v_lshrrev_b32_e32 v6, 4, v6
	v_add_u32_e32 v5, 0x1000000, v3
	v_sub_u32_e32 v4, v6, v4
	v_ashrrev_i32_e32 v5, 8, v5
	v_add_u32_e32 v4, 0x3c000000, v4
	v_and_or_b32 v4, v5, s2, v4
	v_cmp_ne_u32_e32 vcc, 0, v3
	v_cndmask_b32_e32 v3, 0, v4, vcc
	s_brev_b32 s2, 1
	v_and_or_b32 v2, v2, s2, v3
.LBB38_195:
	s_mov_b64 s[2:3], 0
.LBB38_196:
	s_andn2_b64 vcc, exec, s[2:3]
	s_cbranch_vccnz .LBB38_198
; %bb.197:
	global_load_ubyte v2, v[0:1], off
	s_movk_i32 s2, 0x7f00
	s_brev_b32 s3, 16
	s_waitcnt vmcnt(0)
	v_lshlrev_b16_e32 v3, 8, v2
	v_lshlrev_b32_e32 v2, 25, v2
	v_lshrrev_b32_e32 v4, 4, v2
	v_and_or_b32 v5, v3, s2, 0.5
	v_or_b32_e32 v4, 0x70000000, v4
	v_add_f32_e32 v5, -0.5, v5
	v_mul_f32_e32 v4, 0x7800000, v4
	v_cmp_gt_u32_e32 vcc, s3, v2
	v_bfe_i32 v3, v3, 0, 16
	v_cndmask_b32_e32 v2, v4, v5, vcc
	s_brev_b32 s2, 1
	v_and_or_b32 v2, v3, s2, v2
.LBB38_198:
	s_mov_b64 s[20:21], 0
	s_mov_b64 s[2:3], -1
.LBB38_199:
	s_andn2_b64 vcc, exec, s[20:21]
	s_cbranch_vccnz .LBB38_212
; %bb.200:
	v_cmp_lt_i16_e32 vcc, 14, v8
	s_cbranch_vccz .LBB38_203
; %bb.201:
	v_cmp_eq_u16_e32 vcc, 15, v8
	s_cbranch_vccz .LBB38_206
; %bb.202:
	global_load_ushort v2, v[0:1], off
	s_mov_b64 s[2:3], -1
	s_mov_b64 s[22:23], 0
	s_waitcnt vmcnt(0)
	v_lshlrev_b32_e32 v2, 16, v2
	s_branch .LBB38_207
.LBB38_203:
	s_mov_b64 s[20:21], -1
                                        ; implicit-def: $vgpr2
	s_branch .LBB38_208
.LBB38_204:
	s_or_saveexec_b64 s[20:21], s[20:21]
	v_mov_b32_e32 v2, s30
	s_xor_b64 exec, exec, s[20:21]
	s_cbranch_execz .LBB38_185
.LBB38_205:
	v_cmp_ne_u16_e32 vcc, 0, v3
	s_andn2_b64 s[2:3], s[2:3], exec
	s_and_b64 s[26:27], vcc, exec
	v_mov_b32_e32 v2, 0
	s_or_b64 s[2:3], s[2:3], s[26:27]
	s_or_b64 exec, exec, s[20:21]
	s_and_saveexec_b64 s[20:21], s[2:3]
	s_cbranch_execnz .LBB38_186
	s_branch .LBB38_187
.LBB38_206:
	s_mov_b64 s[22:23], -1
                                        ; implicit-def: $vgpr2
.LBB38_207:
	s_mov_b64 s[20:21], 0
.LBB38_208:
	s_and_b64 vcc, exec, s[20:21]
	s_cbranch_vccz .LBB38_212
; %bb.209:
	v_cmp_eq_u16_e32 vcc, 11, v8
	s_cbranch_vccz .LBB38_211
; %bb.210:
	global_load_ubyte v2, v[0:1], off
	s_mov_b64 s[2:3], -1
	s_mov_b64 s[22:23], 0
	s_waitcnt vmcnt(0)
	v_cmp_ne_u16_e32 vcc, 0, v2
	v_cndmask_b32_e64 v2, 0, 1.0, vcc
	s_branch .LBB38_212
.LBB38_211:
	s_mov_b64 s[22:23], -1
                                        ; implicit-def: $vgpr2
.LBB38_212:
	s_branch .LBB38_10
.LBB38_213:
	v_cmp_gt_i16_e32 vcc, 5, v8
	s_cbranch_vccnz .LBB38_218
; %bb.214:
	v_cmp_gt_i16_e32 vcc, 8, v8
	s_cbranch_vccnz .LBB38_219
; %bb.215:
	;; [unrolled: 3-line block ×3, first 2 shown]
	v_cmp_lt_i16_e32 vcc, 9, v8
	s_cbranch_vccz .LBB38_221
; %bb.217:
	global_load_dwordx2 v[2:3], v[0:1], off
	s_mov_b64 s[2:3], 0
	s_waitcnt vmcnt(0)
	v_cvt_f32_f64_e32 v2, v[2:3]
	s_branch .LBB38_222
.LBB38_218:
                                        ; implicit-def: $vgpr2
	s_branch .LBB38_240
.LBB38_219:
	s_mov_b64 s[2:3], -1
                                        ; implicit-def: $vgpr2
	s_branch .LBB38_228
.LBB38_220:
	s_mov_b64 s[2:3], -1
                                        ; implicit-def: $vgpr2
	s_branch .LBB38_225
.LBB38_221:
	s_mov_b64 s[2:3], -1
                                        ; implicit-def: $vgpr2
.LBB38_222:
	s_andn2_b64 vcc, exec, s[2:3]
	s_cbranch_vccnz .LBB38_224
; %bb.223:
	global_load_dword v2, v[0:1], off
.LBB38_224:
	s_mov_b64 s[2:3], 0
.LBB38_225:
	s_andn2_b64 vcc, exec, s[2:3]
	s_cbranch_vccnz .LBB38_227
; %bb.226:
	global_load_dword v2, v[0:1], off
	s_waitcnt vmcnt(0)
	v_cvt_f32_f16_e32 v2, v2
.LBB38_227:
	s_mov_b64 s[2:3], 0
.LBB38_228:
	s_andn2_b64 vcc, exec, s[2:3]
	s_cbranch_vccnz .LBB38_239
; %bb.229:
	v_cmp_gt_i16_e32 vcc, 6, v8
	s_cbranch_vccnz .LBB38_232
; %bb.230:
	v_cmp_lt_i16_e32 vcc, 6, v8
	s_cbranch_vccz .LBB38_233
; %bb.231:
	global_load_dwordx2 v[2:3], v[0:1], off
	s_mov_b64 s[2:3], 0
	s_waitcnt vmcnt(0)
	v_cvt_f32_f64_e32 v2, v[2:3]
	s_branch .LBB38_234
.LBB38_232:
	s_mov_b64 s[2:3], -1
                                        ; implicit-def: $vgpr2
	s_branch .LBB38_237
.LBB38_233:
	s_mov_b64 s[2:3], -1
                                        ; implicit-def: $vgpr2
.LBB38_234:
	s_andn2_b64 vcc, exec, s[2:3]
	s_cbranch_vccnz .LBB38_236
; %bb.235:
	global_load_dword v2, v[0:1], off
.LBB38_236:
	s_mov_b64 s[2:3], 0
.LBB38_237:
	s_andn2_b64 vcc, exec, s[2:3]
	s_cbranch_vccnz .LBB38_239
; %bb.238:
	global_load_ushort v2, v[0:1], off
	s_waitcnt vmcnt(0)
	v_cvt_f32_f16_e32 v2, v2
.LBB38_239:
	s_cbranch_execnz .LBB38_259
.LBB38_240:
	v_cmp_gt_i16_e32 vcc, 2, v8
	s_cbranch_vccnz .LBB38_244
; %bb.241:
	v_cmp_gt_i16_e32 vcc, 3, v8
	s_cbranch_vccnz .LBB38_245
; %bb.242:
	v_cmp_lt_i16_e32 vcc, 3, v8
	s_cbranch_vccz .LBB38_246
; %bb.243:
	global_load_dwordx2 v[2:3], v[0:1], off
	s_mov_b64 s[2:3], 0
	s_waitcnt vmcnt(0)
	v_xor_b32_e32 v5, v2, v3
	v_ffbh_i32_e32 v4, v3
	v_ashrrev_i32_e32 v5, 31, v5
	v_add_u32_e32 v4, -1, v4
	v_add_u32_e32 v5, 32, v5
	v_min_u32_e32 v4, v4, v5
	v_lshlrev_b64 v[2:3], v4, v[2:3]
	v_min_u32_e32 v2, 1, v2
	v_or_b32_e32 v2, v3, v2
	v_cvt_f32_i32_e32 v2, v2
	v_sub_u32_e32 v3, 32, v4
	v_ldexp_f32 v2, v2, v3
	s_branch .LBB38_247
.LBB38_244:
	s_mov_b64 s[2:3], -1
                                        ; implicit-def: $vgpr2
	s_branch .LBB38_253
.LBB38_245:
	s_mov_b64 s[2:3], -1
                                        ; implicit-def: $vgpr2
	s_branch .LBB38_250
.LBB38_246:
	s_mov_b64 s[2:3], -1
                                        ; implicit-def: $vgpr2
.LBB38_247:
	s_andn2_b64 vcc, exec, s[2:3]
	s_cbranch_vccnz .LBB38_249
; %bb.248:
	global_load_dword v2, v[0:1], off
	s_waitcnt vmcnt(0)
	v_cvt_f32_i32_e32 v2, v2
.LBB38_249:
	s_mov_b64 s[2:3], 0
.LBB38_250:
	s_andn2_b64 vcc, exec, s[2:3]
	s_cbranch_vccnz .LBB38_252
; %bb.251:
	global_load_sshort v2, v[0:1], off
	s_waitcnt vmcnt(0)
	v_cvt_f32_i32_e32 v2, v2
.LBB38_252:
	s_mov_b64 s[2:3], 0
.LBB38_253:
	s_andn2_b64 vcc, exec, s[2:3]
	s_cbranch_vccnz .LBB38_259
; %bb.254:
	v_cmp_lt_i16_e32 vcc, 0, v8
	s_cbranch_vccz .LBB38_256
; %bb.255:
	global_load_sbyte v2, v[0:1], off
	s_mov_b64 s[2:3], 0
	s_waitcnt vmcnt(0)
	v_cvt_f32_i32_e32 v2, v2
	s_branch .LBB38_257
.LBB38_256:
	s_mov_b64 s[2:3], -1
                                        ; implicit-def: $vgpr2
.LBB38_257:
	s_andn2_b64 vcc, exec, s[2:3]
	s_cbranch_vccnz .LBB38_259
; %bb.258:
	global_load_ubyte v0, v[0:1], off
	s_waitcnt vmcnt(0)
	v_cvt_f32_ubyte0_e32 v2, v0
.LBB38_259:
	s_branch .LBB38_11
.LBB38_260:
	s_mov_b64 s[2:3], 0
                                        ; implicit-def: $vgpr7
	s_mov_b64 s[26:27], 0
.LBB38_261:
	s_and_b64 s[20:21], s[2:3], exec
	s_and_b64 s[22:23], s[22:23], exec
	s_orn2_b64 s[2:3], s[26:27], exec
.LBB38_262:
	s_or_b64 exec, exec, s[24:25]
	s_mov_b64 s[34:35], 0
	s_mov_b64 s[30:31], 0
                                        ; implicit-def: $vgpr0_vgpr1
                                        ; implicit-def: $vgpr5
	s_and_saveexec_b64 s[24:25], s[2:3]
	s_cbranch_execz .LBB38_271
; %bb.263:
	v_cmp_gt_i32_e32 vcc, s33, v7
	s_mov_b64 s[2:3], -1
	s_mov_b64 s[26:27], s[22:23]
	s_mov_b64 s[28:29], s[20:21]
	s_and_saveexec_b64 s[30:31], vcc
	s_cbranch_execz .LBB38_533
; %bb.264:
	v_mul_lo_u32 v0, v7, s15
	v_ashrrev_i32_e32 v1, 31, v0
	s_waitcnt vmcnt(0)
	v_mov_b32_e32 v2, s11
	v_add_co_u32_e32 v0, vcc, s10, v0
	v_addc_co_u32_e32 v1, vcc, v2, v1, vcc
	v_cmp_gt_i16_e32 vcc, 11, v8
	s_cbranch_vccnz .LBB38_274
; %bb.265:
	v_cmp_lt_i16_e32 vcc, 25, v8
	s_cbranch_vccz .LBB38_283
; %bb.266:
	v_cmp_lt_i16_e32 vcc, 28, v8
	s_cbranch_vccz .LBB38_284
	;; [unrolled: 3-line block ×4, first 2 shown]
; %bb.269:
	v_cmp_eq_u16_e32 vcc, 46, v8
	s_mov_b64 s[28:29], 0
	s_cbranch_vccz .LBB38_305
; %bb.270:
	global_load_dword v2, v[0:1], off
	s_mov_b64 s[26:27], 0
	s_waitcnt vmcnt(0)
	v_lshlrev_b32_e32 v2, 16, v2
	s_branch .LBB38_306
.LBB38_271:
	s_or_b64 exec, exec, s[24:25]
	s_mov_b64 s[2:3], 0
	s_and_saveexec_b64 s[24:25], s[22:23]
	s_cbranch_execnz .LBB38_889
.LBB38_272:
	s_or_b64 exec, exec, s[24:25]
	s_and_saveexec_b64 s[22:23], s[28:29]
	s_xor_b64 s[22:23], exec, s[22:23]
	s_cbranch_execz .LBB38_890
.LBB38_273:
	global_load_ubyte v2, v[0:1], off
	s_or_b64 s[30:31], s[30:31], exec
	s_waitcnt vmcnt(0)
	v_cmp_ne_u16_e32 vcc, 0, v2
	v_cndmask_b32_e64 v5, 0, 1.0, vcc
	s_or_b64 exec, exec, s[22:23]
	s_and_saveexec_b64 s[22:23], s[34:35]
	s_cbranch_execz .LBB38_936
	s_branch .LBB38_891
.LBB38_274:
	s_mov_b64 s[2:3], 0
                                        ; implicit-def: $vgpr2
	s_mov_b64 s[26:27], s[22:23]
	s_cbranch_execnz .LBB38_483
.LBB38_275:
	s_andn2_b64 vcc, exec, s[2:3]
	s_cbranch_vccnz .LBB38_531
.LBB38_276:
	s_andn2_b64 vcc, exec, s[18:19]
	v_mov_b32_e32 v0, 0
	s_cbranch_vccnz .LBB38_289
; %bb.277:
	v_cmp_lt_i64_e64 s[2:3], s[16:17], 1
	s_and_b64 vcc, exec, s[2:3]
	v_mov_b32_e32 v0, 1.0
	s_cbranch_vccnz .LBB38_289
; %bb.278:
	s_cmp_lg_u64 s[16:17], 1
	s_cbranch_scc0 .LBB38_286
; %bb.279:
	s_andn2_b64 vcc, exec, s[0:1]
	v_mov_b32_e32 v0, 0x7fc00000
	s_cbranch_vccnz .LBB38_282
; %bb.280:
	s_mov_b64 s[2:3], 1
	v_mov_b32_e32 v1, 1.0
	s_waitcnt vmcnt(0)
	v_mov_b32_e32 v0, v2
.LBB38_281:                             ; =>This Inner Loop Header: Depth=1
	s_flbit_i32_b32 s28, s3
	s_min_u32 s34, s28, 32
	s_lshl_b64 s[28:29], s[2:3], s34
	s_min_u32 s28, s28, 1
	s_or_b32 s28, s29, s28
	v_cvt_f32_u32_e32 v3, s28
	s_sub_i32 s34, 32, s34
	s_add_u32 s2, s2, 1
	s_addc_u32 s3, s3, 0
	v_ldexp_f32 v3, v3, s34
	v_mul_f32_e32 v3, v1, v3
	s_cmp_lg_u64 s[16:17], s[2:3]
	v_mov_b32_e32 v1, v0
	v_fma_f32 v0, v2, v0, -v3
	s_cbranch_scc1 .LBB38_281
.LBB38_282:
	s_mov_b64 s[2:3], 0
	s_branch .LBB38_287
.LBB38_283:
	s_mov_b64 s[28:29], -1
	s_mov_b64 s[2:3], 0
	s_mov_b64 s[26:27], s[22:23]
                                        ; implicit-def: $vgpr2
	s_branch .LBB38_447
.LBB38_284:
	s_mov_b64 s[28:29], -1
	s_mov_b64 s[2:3], 0
	s_mov_b64 s[26:27], s[22:23]
                                        ; implicit-def: $vgpr2
	s_branch .LBB38_428
.LBB38_285:
	s_mov_b64 s[28:29], -1
	s_mov_b64 s[2:3], 0
	s_mov_b64 s[26:27], s[22:23]
                                        ; implicit-def: $vgpr2
	s_branch .LBB38_423
.LBB38_286:
	s_mov_b64 s[2:3], -1
                                        ; implicit-def: $vgpr0
.LBB38_287:
	s_andn2_b64 vcc, exec, s[2:3]
	s_cbranch_vccnz .LBB38_289
; %bb.288:
	s_waitcnt vmcnt(0)
	v_mov_b32_e32 v0, v2
.LBB38_289:
	v_mul_lo_u32 v1, v7, s14
	v_ashrrev_i32_e32 v3, 31, v1
	v_mov_b32_e32 v4, s9
	s_waitcnt vmcnt(0)
	v_add_co_u32_e32 v2, vcc, s8, v1
	v_mov_b32_e32 v1, 11
	v_addc_co_u32_e32 v3, vcc, v4, v3, vcc
	v_cmp_lt_i16_sdwa s[2:3], s13, v1 src0_sel:BYTE_0 src1_sel:DWORD
	s_and_b64 vcc, exec, s[2:3]
	s_cbranch_vccnz .LBB38_296
; %bb.290:
	v_mov_b32_e32 v1, 25
	v_cmp_gt_i16_sdwa s[2:3], s13, v1 src0_sel:BYTE_0 src1_sel:DWORD
	s_and_b64 vcc, exec, s[2:3]
	s_cbranch_vccz .LBB38_297
; %bb.291:
	v_mov_b32_e32 v1, 28
	v_cmp_gt_i16_sdwa s[2:3], s13, v1 src0_sel:BYTE_0 src1_sel:DWORD
	s_and_b64 vcc, exec, s[2:3]
	s_cbranch_vccz .LBB38_298
	;; [unrolled: 5-line block ×4, first 2 shown]
; %bb.294:
	v_mov_b32_e32 v1, 46
	v_cmp_eq_u16_sdwa s[28:29], s13, v1 src0_sel:BYTE_0 src1_sel:DWORD
	s_mov_b64 s[34:35], 0
	s_mov_b64 s[2:3], -1
	s_and_b64 vcc, exec, s[28:29]
	s_mov_b64 s[28:29], 0
	s_cbranch_vccz .LBB38_310
; %bb.295:
	v_bfe_u32 v1, v0, 16, 1
	s_movk_i32 s2, 0x7fff
	v_add3_u32 v1, v0, v1, s2
	v_lshrrev_b32_e32 v1, 16, v1
	v_mov_b32_e32 v4, 0x7fc0
	v_cmp_o_f32_e32 vcc, v0, v0
	v_cndmask_b32_e32 v1, v4, v1, vcc
	global_store_dword v[2:3], v1, off
	s_mov_b64 s[28:29], -1
	s_mov_b64 s[2:3], 0
	s_branch .LBB38_310
.LBB38_296:
	s_mov_b64 s[34:35], -1
	s_mov_b64 s[28:29], 0
	s_mov_b64 s[2:3], s[20:21]
	s_branch .LBB38_379
.LBB38_297:
	s_mov_b64 s[34:35], -1
	s_mov_b64 s[28:29], 0
	s_mov_b64 s[2:3], s[20:21]
	s_branch .LBB38_337
.LBB38_298:
	s_mov_b64 s[34:35], -1
	s_mov_b64 s[28:29], 0
	s_mov_b64 s[2:3], s[20:21]
	s_branch .LBB38_320
.LBB38_299:
	s_or_saveexec_b64 s[30:31], s[30:31]
                                        ; implicit-def: $sgpr34
	s_xor_b64 exec, exec, s[30:31]
	s_cbranch_execz .LBB38_65
.LBB38_300:
	s_mov_b32 s34, 0x46000000
	v_add_f32_e64 v1, |v0|, s34
	v_and_b32_e32 v1, 0xff, v1
	v_cmp_ne_u32_e32 vcc, 0, v1
	s_andn2_b64 s[26:27], s[26:27], exec
	s_and_b64 s[36:37], vcc, exec
	s_mov_b32 s34, 0
	s_or_b64 s[26:27], s[26:27], s[36:37]
	s_or_b64 exec, exec, s[30:31]
	v_mov_b32_e32 v4, s34
	s_and_saveexec_b64 s[30:31], s[26:27]
	s_cbranch_execnz .LBB38_66
	s_branch .LBB38_67
.LBB38_301:
	s_mov_b64 s[28:29], -1
	s_mov_b64 s[2:3], 0
	s_mov_b64 s[26:27], s[22:23]
                                        ; implicit-def: $vgpr2
	s_branch .LBB38_306
.LBB38_302:
	s_mov_b64 s[34:35], -1
	s_mov_b64 s[28:29], 0
	s_mov_b64 s[2:3], s[20:21]
	s_branch .LBB38_316
.LBB38_303:
	s_or_saveexec_b64 s[30:31], s[30:31]
                                        ; implicit-def: $sgpr34
	s_xor_b64 exec, exec, s[30:31]
	s_cbranch_execz .LBB38_78
.LBB38_304:
	s_mov_b32 s34, 0x42800000
	v_add_f32_e64 v1, |v0|, s34
	v_and_b32_e32 v1, 0xff, v1
	v_cmp_ne_u32_e32 vcc, 0, v1
	s_andn2_b64 s[26:27], s[26:27], exec
	s_and_b64 s[36:37], vcc, exec
	s_mov_b32 s34, 0
	s_or_b64 s[26:27], s[26:27], s[36:37]
	s_or_b64 exec, exec, s[30:31]
	v_mov_b32_e32 v4, s34
	s_and_saveexec_b64 s[30:31], s[26:27]
	s_cbranch_execnz .LBB38_79
	s_branch .LBB38_80
.LBB38_305:
	s_mov_b64 s[26:27], -1
                                        ; implicit-def: $vgpr2
	s_mov_b64 s[2:3], 0
.LBB38_306:
	s_and_b64 vcc, exec, s[28:29]
	s_cbranch_vccz .LBB38_422
; %bb.307:
	v_cmp_eq_u16_e32 vcc, 44, v8
	s_cbranch_vccz .LBB38_421
; %bb.308:
	global_load_ubyte v2, v[0:1], off
	s_movk_i32 s26, 0xff
	v_mov_b32_e32 v3, 0x7f800001
	v_mov_b32_e32 v4, 0x400000
	s_mov_b64 s[2:3], -1
	s_waitcnt vmcnt(0)
	v_lshlrev_b32_e32 v5, 23, v2
	v_cmp_ne_u32_e32 vcc, s26, v2
	v_cndmask_b32_e32 v3, v3, v5, vcc
	v_cmp_ne_u32_e32 vcc, 0, v2
	v_cndmask_b32_e32 v2, v4, v3, vcc
	s_mov_b64 s[26:27], 0
	s_branch .LBB38_422
.LBB38_309:
	s_mov_b64 s[34:35], -1
	s_mov_b64 s[28:29], 0
	s_mov_b64 s[2:3], s[20:21]
.LBB38_310:
	s_and_b64 vcc, exec, s[34:35]
	s_cbranch_vccz .LBB38_315
; %bb.311:
	v_mov_b32_e32 v1, 44
	v_cmp_eq_u16_sdwa s[34:35], s13, v1 src0_sel:BYTE_0 src1_sel:DWORD
	s_mov_b64 s[2:3], -1
	s_and_b64 vcc, exec, s[34:35]
	s_cbranch_vccz .LBB38_315
; %bb.312:
	v_bfe_u32 v1, v0, 23, 8
	s_movk_i32 s2, 0xff
	v_cmp_ne_u32_e32 vcc, s2, v1
	v_mov_b32_e32 v4, 0xff
	s_and_saveexec_b64 s[28:29], vcc
; %bb.313:
	s_mov_b32 s2, 0x3fffff
	v_and_b32_e32 v5, 0x400000, v0
	v_and_or_b32 v1, v0, s2, v1
	v_cmp_ne_u32_e32 vcc, 0, v5
	v_cmp_ne_u32_e64 s[2:3], 0, v1
	s_and_b64 s[2:3], vcc, s[2:3]
	v_lshrrev_b32_e32 v4, 23, v0
	v_cndmask_b32_e64 v1, 0, 1, s[2:3]
	v_add_u32_e32 v4, v4, v1
; %bb.314:
	s_or_b64 exec, exec, s[28:29]
	s_mov_b64 s[28:29], -1
	s_mov_b64 s[2:3], 0
	global_store_byte v[2:3], v4, off
.LBB38_315:
	s_mov_b64 s[34:35], 0
.LBB38_316:
	s_and_b64 vcc, exec, s[34:35]
	s_cbranch_vccz .LBB38_319
; %bb.317:
	v_mov_b32_e32 v1, 29
	v_cmp_eq_u16_sdwa s[34:35], s13, v1 src0_sel:BYTE_0 src1_sel:DWORD
	s_mov_b64 s[2:3], -1
	s_and_b64 vcc, exec, s[34:35]
	s_cbranch_vccz .LBB38_319
; %bb.318:
	v_trunc_f32_e32 v1, v0
	v_mul_f32_e32 v4, 0x2f800000, v1
	v_floor_f32_e32 v4, v4
	v_fmac_f32_e32 v1, 0xcf800000, v4
	v_cvt_u32_f32_e32 v5, v4
	v_cvt_u32_f32_e32 v4, v1
	s_mov_b64 s[28:29], -1
	s_mov_b64 s[2:3], 0
	s_mov_b64 s[34:35], 0
	global_store_dwordx2 v[2:3], v[4:5], off
	s_branch .LBB38_320
.LBB38_319:
	s_mov_b64 s[34:35], 0
.LBB38_320:
	s_and_b64 vcc, exec, s[34:35]
	s_cbranch_vccz .LBB38_336
; %bb.321:
	v_mov_b32_e32 v1, 27
	v_cmp_lt_i16_sdwa s[34:35], s13, v1 src0_sel:BYTE_0 src1_sel:DWORD
	s_mov_b64 s[28:29], -1
	s_and_b64 vcc, exec, s[34:35]
	s_cbranch_vccnz .LBB38_327
; %bb.322:
	v_cmp_gt_i16_sdwa s[34:35], s13, v1 src0_sel:BYTE_0 src1_sel:DWORD
	v_cvt_u32_f32_e32 v1, v0
	s_and_b64 vcc, exec, s[34:35]
	s_cbranch_vccz .LBB38_324
; %bb.323:
	s_mov_b64 s[28:29], 0
	global_store_dword v[2:3], v1, off
.LBB38_324:
	s_andn2_b64 vcc, exec, s[28:29]
	s_cbranch_vccnz .LBB38_326
; %bb.325:
	global_store_short v[2:3], v1, off
.LBB38_326:
	s_mov_b64 s[28:29], 0
.LBB38_327:
	s_andn2_b64 vcc, exec, s[28:29]
	s_cbranch_vccnz .LBB38_335
; %bb.328:
	v_and_b32_e32 v1, 0x7fffffff, v0
	s_mov_b32 s28, 0x43800000
	v_cmp_gt_u32_e32 vcc, s28, v1
	v_mov_b32_e32 v4, 0x80
	s_and_saveexec_b64 s[28:29], vcc
	s_cbranch_execz .LBB38_334
; %bb.329:
	s_mov_b32 s34, 0x3bffffff
	v_cmp_lt_u32_e32 vcc, s34, v1
	s_mov_b64 s[34:35], 0
                                        ; implicit-def: $vgpr1
	s_and_saveexec_b64 s[36:37], vcc
	s_xor_b64 s[36:37], exec, s[36:37]
	s_cbranch_execz .LBB38_546
; %bb.330:
	v_bfe_u32 v1, v0, 20, 1
	s_mov_b32 s38, 0x487ffff
	v_add3_u32 v1, v0, v1, s38
	s_mov_b64 s[34:35], exec
	v_lshrrev_b32_e32 v1, 20, v1
	s_or_saveexec_b64 s[36:37], s[36:37]
                                        ; implicit-def: $sgpr38
	s_xor_b64 exec, exec, s[36:37]
	s_cbranch_execnz .LBB38_547
.LBB38_331:
	s_or_b64 exec, exec, s[36:37]
	v_mov_b32_e32 v4, s38
	s_and_saveexec_b64 s[36:37], s[34:35]
.LBB38_332:
	v_lshrrev_b32_e32 v4, 24, v0
	s_movk_i32 s34, 0x80
	v_and_or_b32 v4, v4, s34, v1
.LBB38_333:
	s_or_b64 exec, exec, s[36:37]
.LBB38_334:
	s_or_b64 exec, exec, s[28:29]
	global_store_byte v[2:3], v4, off
.LBB38_335:
	s_mov_b64 s[28:29], -1
.LBB38_336:
	s_mov_b64 s[34:35], 0
.LBB38_337:
	s_and_b64 vcc, exec, s[34:35]
	s_cbranch_vccz .LBB38_378
; %bb.338:
	v_mov_b32_e32 v1, 22
	v_cmp_gt_i16_sdwa s[36:37], s13, v1 src0_sel:BYTE_0 src1_sel:DWORD
	s_mov_b64 s[34:35], -1
	s_and_b64 vcc, exec, s[36:37]
	s_cbranch_vccz .LBB38_370
; %bb.339:
	v_mov_b32_e32 v1, 24
	v_cmp_lt_i16_sdwa s[34:35], s13, v1 src0_sel:BYTE_0 src1_sel:DWORD
	s_mov_b64 s[28:29], -1
	s_and_b64 vcc, exec, s[34:35]
	s_cbranch_vccnz .LBB38_359
; %bb.340:
	v_cmp_gt_i16_sdwa s[34:35], s13, v1 src0_sel:BYTE_0 src1_sel:DWORD
	s_and_b64 vcc, exec, s[34:35]
	s_cbranch_vccz .LBB38_348
; %bb.341:
	v_and_b32_e32 v1, 0x7fffffff, v0
	s_mov_b32 s28, 0x47800000
	v_cmp_gt_u32_e32 vcc, s28, v1
	v_mov_b32_e32 v4, 0x80
	s_and_saveexec_b64 s[28:29], vcc
	s_cbranch_execz .LBB38_347
; %bb.342:
	s_mov_b32 s34, 0x37ffffff
	v_cmp_lt_u32_e32 vcc, s34, v1
	s_mov_b64 s[34:35], 0
                                        ; implicit-def: $vgpr1
	s_and_saveexec_b64 s[36:37], vcc
	s_xor_b64 s[36:37], exec, s[36:37]
	s_cbranch_execz .LBB38_549
; %bb.343:
	v_bfe_u32 v1, v0, 21, 1
	s_mov_b32 s38, 0x88fffff
	v_add3_u32 v1, v0, v1, s38
	s_mov_b64 s[34:35], exec
	v_lshrrev_b32_e32 v1, 21, v1
	s_or_saveexec_b64 s[36:37], s[36:37]
                                        ; implicit-def: $sgpr38
	s_xor_b64 exec, exec, s[36:37]
	s_cbranch_execnz .LBB38_550
.LBB38_344:
	s_or_b64 exec, exec, s[36:37]
	v_mov_b32_e32 v4, s38
	s_and_saveexec_b64 s[36:37], s[34:35]
.LBB38_345:
	v_lshrrev_b32_e32 v4, 24, v0
	s_movk_i32 s34, 0x80
	v_and_or_b32 v4, v4, s34, v1
.LBB38_346:
	s_or_b64 exec, exec, s[36:37]
.LBB38_347:
	s_or_b64 exec, exec, s[28:29]
	s_mov_b64 s[28:29], 0
	global_store_byte v[2:3], v4, off
.LBB38_348:
	s_and_b64 vcc, exec, s[28:29]
	s_cbranch_vccz .LBB38_358
; %bb.349:
	v_and_b32_e32 v4, 0x7fffffff, v0
	s_mov_b32 s28, 0x43f00000
	v_cmp_gt_u32_e32 vcc, s28, v4
                                        ; implicit-def: $vgpr1
	s_and_saveexec_b64 s[28:29], vcc
	s_xor_b64 s[28:29], exec, s[28:29]
	s_cbranch_execz .LBB38_355
; %bb.350:
	s_mov_b32 s34, 0x3c7fffff
	v_cmp_lt_u32_e32 vcc, s34, v4
                                        ; implicit-def: $vgpr1
	s_and_saveexec_b64 s[34:35], vcc
	s_xor_b64 s[34:35], exec, s[34:35]
; %bb.351:
	v_bfe_u32 v1, v0, 20, 1
	s_mov_b32 s36, 0x407ffff
	v_add3_u32 v1, v0, v1, s36
	v_lshrrev_b32_e32 v4, 20, v1
	v_and_b32_e32 v1, 0xff00000, v1
	s_mov_b32 s36, 0x7f00000
	v_mov_b32_e32 v5, 0x7e
	v_cmp_ne_u32_e32 vcc, s36, v1
	v_cndmask_b32_e32 v1, v5, v4, vcc
; %bb.352:
	s_andn2_saveexec_b64 s[34:35], s[34:35]
; %bb.353:
	s_mov_b32 s36, 0x46800000
	v_add_f32_e64 v1, |v0|, s36
; %bb.354:
	s_or_b64 exec, exec, s[34:35]
                                        ; implicit-def: $vgpr4
.LBB38_355:
	s_andn2_saveexec_b64 s[28:29], s[28:29]
; %bb.356:
	s_mov_b32 s34, 0x7f800000
	v_mov_b32_e32 v1, 0x7e
	v_mov_b32_e32 v5, 0x7f
	v_cmp_lt_u32_e32 vcc, s34, v4
	v_cndmask_b32_e32 v1, v1, v5, vcc
; %bb.357:
	s_or_b64 exec, exec, s[28:29]
	v_lshrrev_b32_e32 v4, 24, v0
	s_movk_i32 s28, 0x80
	v_and_or_b32 v1, v4, s28, v1
	global_store_byte v[2:3], v1, off
.LBB38_358:
	s_mov_b64 s[28:29], 0
.LBB38_359:
	s_andn2_b64 vcc, exec, s[28:29]
	s_cbranch_vccnz .LBB38_369
; %bb.360:
	v_and_b32_e32 v4, 0x7fffffff, v0
	s_mov_b32 s28, 0x47800000
	v_cmp_gt_u32_e32 vcc, s28, v4
                                        ; implicit-def: $vgpr1
	s_and_saveexec_b64 s[28:29], vcc
	s_xor_b64 s[28:29], exec, s[28:29]
	s_cbranch_execz .LBB38_366
; %bb.361:
	s_mov_b32 s34, 0x387fffff
	v_cmp_lt_u32_e32 vcc, s34, v4
                                        ; implicit-def: $vgpr1
	s_and_saveexec_b64 s[34:35], vcc
	s_xor_b64 s[34:35], exec, s[34:35]
; %bb.362:
	v_bfe_u32 v1, v0, 21, 1
	s_mov_b32 s36, 0x80fffff
	v_add3_u32 v1, v0, v1, s36
	v_lshrrev_b32_e32 v1, 21, v1
; %bb.363:
	s_andn2_saveexec_b64 s[34:35], s[34:35]
; %bb.364:
	s_mov_b32 s36, 0x43000000
	v_add_f32_e64 v1, |v0|, s36
; %bb.365:
	s_or_b64 exec, exec, s[34:35]
                                        ; implicit-def: $vgpr4
.LBB38_366:
	s_andn2_saveexec_b64 s[28:29], s[28:29]
; %bb.367:
	s_mov_b32 s34, 0x7f800000
	v_mov_b32_e32 v1, 0x7c
	v_mov_b32_e32 v5, 0x7f
	v_cmp_lt_u32_e32 vcc, s34, v4
	v_cndmask_b32_e32 v1, v1, v5, vcc
; %bb.368:
	s_or_b64 exec, exec, s[28:29]
	v_lshrrev_b32_e32 v4, 24, v0
	s_movk_i32 s28, 0x80
	v_and_or_b32 v1, v4, s28, v1
	global_store_byte v[2:3], v1, off
.LBB38_369:
	s_mov_b64 s[34:35], 0
	s_mov_b64 s[28:29], -1
.LBB38_370:
	s_andn2_b64 vcc, exec, s[34:35]
	s_cbranch_vccnz .LBB38_378
; %bb.371:
	v_mov_b32_e32 v1, 14
	v_cmp_gt_i16_sdwa s[36:37], s13, v1 src0_sel:BYTE_0 src1_sel:DWORD
	s_mov_b64 s[34:35], -1
	s_and_b64 vcc, exec, s[36:37]
	s_cbranch_vccz .LBB38_375
; %bb.372:
	v_mov_b32_e32 v1, 15
	v_cmp_eq_u16_sdwa s[34:35], s13, v1 src0_sel:BYTE_0 src1_sel:DWORD
	s_mov_b64 s[2:3], -1
	s_and_b64 vcc, exec, s[34:35]
	s_cbranch_vccz .LBB38_374
; %bb.373:
	v_bfe_u32 v1, v0, 16, 1
	s_movk_i32 s2, 0x7fff
	v_add3_u32 v1, v0, v1, s2
	v_lshrrev_b32_e32 v1, 16, v1
	v_mov_b32_e32 v4, 0x7fc0
	v_cmp_o_f32_e32 vcc, v0, v0
	v_cndmask_b32_e32 v1, v4, v1, vcc
	global_store_short v[2:3], v1, off
	s_mov_b64 s[28:29], -1
	s_mov_b64 s[2:3], 0
.LBB38_374:
	s_mov_b64 s[34:35], 0
.LBB38_375:
	s_and_b64 vcc, exec, s[34:35]
	s_cbranch_vccz .LBB38_378
; %bb.376:
	v_mov_b32_e32 v1, 11
	v_cmp_eq_u16_sdwa s[34:35], s13, v1 src0_sel:BYTE_0 src1_sel:DWORD
	s_mov_b64 s[2:3], -1
	s_and_b64 vcc, exec, s[34:35]
	s_cbranch_vccz .LBB38_378
; %bb.377:
	v_cmp_neq_f32_e32 vcc, 0, v0
	v_cndmask_b32_e64 v1, 0, 1, vcc
	s_mov_b64 s[28:29], -1
	s_mov_b64 s[2:3], 0
	global_store_byte v[2:3], v1, off
.LBB38_378:
	s_mov_b64 s[34:35], 0
.LBB38_379:
	s_and_b64 vcc, exec, s[34:35]
	s_cbranch_vccz .LBB38_418
; %bb.380:
	v_mov_b32_e32 v1, 5
	v_cmp_lt_i16_sdwa s[34:35], s13, v1 src0_sel:BYTE_0 src1_sel:DWORD
	s_mov_b64 s[28:29], -1
	s_and_b64 vcc, exec, s[34:35]
	s_cbranch_vccnz .LBB38_401
; %bb.381:
	v_mov_b32_e32 v1, 8
	v_cmp_lt_i16_sdwa s[34:35], s13, v1 src0_sel:BYTE_0 src1_sel:DWORD
	s_and_b64 vcc, exec, s[34:35]
	s_cbranch_vccnz .LBB38_391
; %bb.382:
	v_mov_b32_e32 v1, 9
	v_cmp_lt_i16_sdwa s[34:35], s13, v1 src0_sel:BYTE_0 src1_sel:DWORD
	s_and_b64 vcc, exec, s[34:35]
	s_cbranch_vccnz .LBB38_388
; %bb.383:
	v_cmp_gt_i16_sdwa s[34:35], s13, v1 src0_sel:BYTE_0 src1_sel:DWORD
	s_and_b64 vcc, exec, s[34:35]
	s_cbranch_vccz .LBB38_385
; %bb.384:
	v_mov_b32_e32 v12, 0
	v_cvt_f64_f32_e32 v[10:11], v0
	v_mov_b32_e32 v13, v12
	s_mov_b64 s[28:29], 0
	global_store_dwordx4 v[2:3], v[10:13], off
.LBB38_385:
	s_andn2_b64 vcc, exec, s[28:29]
	s_cbranch_vccnz .LBB38_387
; %bb.386:
	v_mov_b32_e32 v1, 0
	global_store_dwordx2 v[2:3], v[0:1], off
.LBB38_387:
	s_mov_b64 s[28:29], 0
.LBB38_388:
	s_andn2_b64 vcc, exec, s[28:29]
	s_cbranch_vccnz .LBB38_390
; %bb.389:
	v_cvt_f16_f32_e32 v1, v0
	global_store_dword v[2:3], v1, off
.LBB38_390:
	s_mov_b64 s[28:29], 0
.LBB38_391:
	s_andn2_b64 vcc, exec, s[28:29]
	s_cbranch_vccnz .LBB38_400
; %bb.392:
	v_mov_b32_e32 v1, 6
	v_cmp_lt_i16_sdwa s[34:35], s13, v1 src0_sel:BYTE_0 src1_sel:DWORD
	s_mov_b64 s[28:29], -1
	s_and_b64 vcc, exec, s[34:35]
	s_cbranch_vccnz .LBB38_398
; %bb.393:
	v_cmp_gt_i16_sdwa s[34:35], s13, v1 src0_sel:BYTE_0 src1_sel:DWORD
	s_and_b64 vcc, exec, s[34:35]
	s_cbranch_vccz .LBB38_395
; %bb.394:
	v_cvt_f64_f32_e32 v[4:5], v0
	s_mov_b64 s[28:29], 0
	global_store_dwordx2 v[2:3], v[4:5], off
.LBB38_395:
	s_andn2_b64 vcc, exec, s[28:29]
	s_cbranch_vccnz .LBB38_397
; %bb.396:
	global_store_dword v[2:3], v0, off
.LBB38_397:
	s_mov_b64 s[28:29], 0
.LBB38_398:
	s_andn2_b64 vcc, exec, s[28:29]
	s_cbranch_vccnz .LBB38_400
; %bb.399:
	v_cvt_f16_f32_e32 v1, v0
	global_store_short v[2:3], v1, off
.LBB38_400:
	s_mov_b64 s[28:29], 0
.LBB38_401:
	s_andn2_b64 vcc, exec, s[28:29]
	s_cbranch_vccnz .LBB38_417
; %bb.402:
	v_mov_b32_e32 v1, 2
	v_cmp_lt_i16_sdwa s[34:35], s13, v1 src0_sel:BYTE_0 src1_sel:DWORD
	s_mov_b64 s[28:29], -1
	s_and_b64 vcc, exec, s[34:35]
	s_cbranch_vccnz .LBB38_412
; %bb.403:
	v_mov_b32_e32 v1, 3
	v_cmp_lt_i16_sdwa s[34:35], s13, v1 src0_sel:BYTE_0 src1_sel:DWORD
	s_and_b64 vcc, exec, s[34:35]
	s_cbranch_vccnz .LBB38_409
; %bb.404:
	v_cmp_gt_i16_sdwa s[34:35], s13, v1 src0_sel:BYTE_0 src1_sel:DWORD
	s_and_b64 vcc, exec, s[34:35]
	s_cbranch_vccz .LBB38_406
; %bb.405:
	v_trunc_f32_e32 v1, v0
	s_mov_b32 s28, 0x2f800000
	v_mul_f32_e64 v4, |v1|, s28
	v_floor_f32_e32 v4, v4
	s_mov_b32 s28, 0xcf800000
	v_cvt_u32_f32_e32 v5, v4
	v_fma_f32 v4, v4, s28, |v1|
	v_cvt_u32_f32_e32 v4, v4
	v_ashrrev_i32_e32 v1, 31, v1
	v_xor_b32_e32 v5, v5, v1
	s_mov_b64 s[28:29], 0
	v_xor_b32_e32 v4, v4, v1
	v_sub_co_u32_e32 v4, vcc, v4, v1
	v_subb_co_u32_e32 v5, vcc, v5, v1, vcc
	global_store_dwordx2 v[2:3], v[4:5], off
.LBB38_406:
	s_andn2_b64 vcc, exec, s[28:29]
	s_cbranch_vccnz .LBB38_408
; %bb.407:
	v_cvt_i32_f32_e32 v1, v0
	global_store_dword v[2:3], v1, off
.LBB38_408:
	s_mov_b64 s[28:29], 0
.LBB38_409:
	s_andn2_b64 vcc, exec, s[28:29]
	s_cbranch_vccnz .LBB38_411
; %bb.410:
	v_cvt_i32_f32_e32 v1, v0
	global_store_short v[2:3], v1, off
.LBB38_411:
	s_mov_b64 s[28:29], 0
.LBB38_412:
	s_andn2_b64 vcc, exec, s[28:29]
	s_cbranch_vccnz .LBB38_417
; %bb.413:
	v_mov_b32_e32 v1, 0
	v_cmp_gt_i16_sdwa s[34:35], s13, v1 src0_sel:BYTE_0 src1_sel:DWORD
	s_mov_b64 s[28:29], -1
	s_and_b64 vcc, exec, s[34:35]
	s_cbranch_vccz .LBB38_415
; %bb.414:
	v_cvt_i32_f32_e32 v1, v0
	s_mov_b64 s[28:29], 0
	global_store_byte v[2:3], v1, off
.LBB38_415:
	s_andn2_b64 vcc, exec, s[28:29]
	s_cbranch_vccnz .LBB38_417
; %bb.416:
	v_trunc_f32_e32 v0, v0
	s_mov_b32 s28, 0x2f800000
	v_mul_f32_e64 v1, |v0|, s28
	v_floor_f32_e32 v1, v1
	s_mov_b32 s28, 0xcf800000
	v_fma_f32 v1, v1, s28, |v0|
	v_cvt_u32_f32_e32 v1, v1
	v_ashrrev_i32_e32 v0, 31, v0
	v_xor_b32_e32 v1, v1, v0
	v_sub_u32_e32 v0, v1, v0
	global_store_byte v[2:3], v0, off
.LBB38_417:
	s_mov_b64 s[28:29], -1
.LBB38_418:
	s_andn2_b64 vcc, exec, s[28:29]
	s_cbranch_vccnz .LBB38_420
; %bb.419:
	v_add_u32_e32 v7, 0x80, v7
	s_mov_b64 s[34:35], -1
	s_branch .LBB38_532
.LBB38_420:
	s_mov_b64 s[34:35], 0
                                        ; implicit-def: $vgpr7
	s_branch .LBB38_532
.LBB38_421:
	s_mov_b64 s[26:27], -1
                                        ; implicit-def: $vgpr2
.LBB38_422:
	s_mov_b64 s[28:29], 0
.LBB38_423:
	s_and_b64 vcc, exec, s[28:29]
	s_cbranch_vccz .LBB38_427
; %bb.424:
	v_cmp_eq_u16_e32 vcc, 29, v8
	s_cbranch_vccz .LBB38_426
; %bb.425:
	global_load_dwordx2 v[2:3], v[0:1], off
	s_mov_b64 s[2:3], -1
	s_mov_b64 s[26:27], 0
	s_mov_b64 s[28:29], 0
	s_waitcnt vmcnt(0)
	v_ffbh_u32_e32 v4, v3
	v_min_u32_e32 v4, 32, v4
	v_lshlrev_b64 v[2:3], v4, v[2:3]
	v_min_u32_e32 v2, 1, v2
	v_or_b32_e32 v2, v3, v2
	v_cvt_f32_u32_e32 v2, v2
	v_sub_u32_e32 v3, 32, v4
	v_ldexp_f32 v2, v2, v3
	s_branch .LBB38_428
.LBB38_426:
	s_mov_b64 s[26:27], -1
                                        ; implicit-def: $vgpr2
.LBB38_427:
	s_mov_b64 s[28:29], 0
.LBB38_428:
	s_and_b64 vcc, exec, s[28:29]
	s_cbranch_vccz .LBB38_446
; %bb.429:
	v_cmp_gt_i16_e32 vcc, 27, v8
	s_cbranch_vccnz .LBB38_432
; %bb.430:
	v_cmp_lt_i16_e32 vcc, 27, v8
	s_cbranch_vccz .LBB38_433
; %bb.431:
	global_load_dword v2, v[0:1], off
	s_mov_b64 s[2:3], 0
	s_waitcnt vmcnt(0)
	v_cvt_f32_u32_e32 v2, v2
	s_branch .LBB38_434
.LBB38_432:
	s_mov_b64 s[2:3], -1
                                        ; implicit-def: $vgpr2
	s_branch .LBB38_437
.LBB38_433:
	s_mov_b64 s[2:3], -1
                                        ; implicit-def: $vgpr2
.LBB38_434:
	s_andn2_b64 vcc, exec, s[2:3]
	s_cbranch_vccnz .LBB38_436
; %bb.435:
	global_load_ushort v2, v[0:1], off
	s_waitcnt vmcnt(0)
	v_cvt_f32_u32_e32 v2, v2
.LBB38_436:
	s_mov_b64 s[2:3], 0
.LBB38_437:
	s_andn2_b64 vcc, exec, s[2:3]
	s_cbranch_vccnz .LBB38_445
; %bb.438:
	global_load_ubyte v3, v[0:1], off
	s_movk_i32 s2, 0x7f
                                        ; implicit-def: $sgpr36
	s_waitcnt vmcnt(0)
	v_cmp_lt_i16_e32 vcc, s2, v3
	s_mov_b64 s[2:3], 0
	s_and_saveexec_b64 s[28:29], vcc
	s_xor_b64 s[28:29], exec, s[28:29]
	s_cbranch_execz .LBB38_459
; %bb.439:
	s_movk_i32 s2, 0x80
	v_cmp_eq_u16_e32 vcc, s2, v3
	s_mov_b64 s[2:3], -1
                                        ; implicit-def: $sgpr36
	s_and_saveexec_b64 s[34:35], vcc
; %bb.440:
	s_mov_b32 s36, 0x7f800001
	s_xor_b64 s[2:3], exec, -1
; %bb.441:
	s_or_b64 exec, exec, s[34:35]
	s_and_b64 s[2:3], s[2:3], exec
	s_or_saveexec_b64 s[28:29], s[28:29]
	v_mov_b32_e32 v2, s36
	s_xor_b64 exec, exec, s[28:29]
	s_cbranch_execnz .LBB38_460
.LBB38_442:
	s_or_b64 exec, exec, s[28:29]
	s_and_saveexec_b64 s[28:29], s[2:3]
	s_cbranch_execz .LBB38_444
.LBB38_443:
	v_lshlrev_b32_e32 v2, 24, v3
	v_and_b32_e32 v3, 0xffff, v3
	v_and_b32_e32 v4, 7, v3
	v_ffbh_u32_e32 v6, v4
	v_min_u32_e32 v6, 32, v6
	v_subrev_u32_e32 v9, 28, v6
	v_bfe_u32 v5, v3, 3, 4
	v_lshlrev_b32_e32 v3, v9, v3
	v_sub_u32_e32 v6, 29, v6
	v_and_b32_e32 v3, 7, v3
	v_cmp_eq_u32_e32 vcc, 0, v5
	v_cndmask_b32_e32 v5, v5, v6, vcc
	v_cndmask_b32_e32 v3, v4, v3, vcc
	v_mov_b32_e32 v4, 0x3b800000
	v_lshlrev_b32_e32 v3, 20, v3
	v_and_b32_e32 v2, 0x80000000, v2
	v_lshl_add_u32 v4, v5, 23, v4
	v_or3_b32 v2, v2, v4, v3
.LBB38_444:
	s_or_b64 exec, exec, s[28:29]
.LBB38_445:
	s_mov_b64 s[2:3], -1
.LBB38_446:
	s_mov_b64 s[28:29], 0
.LBB38_447:
	s_and_b64 vcc, exec, s[28:29]
	s_cbranch_vccz .LBB38_482
; %bb.448:
	v_cmp_lt_i16_e32 vcc, 22, v8
	s_cbranch_vccz .LBB38_458
; %bb.449:
	v_cmp_gt_i16_e32 vcc, 24, v8
	s_cbranch_vccnz .LBB38_461
; %bb.450:
	v_cmp_lt_i16_e32 vcc, 24, v8
	s_cbranch_vccz .LBB38_462
; %bb.451:
	global_load_ubyte v3, v[0:1], off
	s_movk_i32 s2, 0x7f
                                        ; implicit-def: $sgpr36
	s_waitcnt vmcnt(0)
	v_cmp_lt_i16_e32 vcc, s2, v3
	s_mov_b64 s[2:3], 0
	s_and_saveexec_b64 s[28:29], vcc
	s_xor_b64 s[28:29], exec, s[28:29]
	s_cbranch_execz .LBB38_474
; %bb.452:
	s_movk_i32 s2, 0x80
	v_cmp_eq_u16_e32 vcc, s2, v3
	s_mov_b64 s[2:3], -1
                                        ; implicit-def: $sgpr36
	s_and_saveexec_b64 s[34:35], vcc
; %bb.453:
	s_mov_b32 s36, 0x7f800001
	s_xor_b64 s[2:3], exec, -1
; %bb.454:
	s_or_b64 exec, exec, s[34:35]
	s_and_b64 s[2:3], s[2:3], exec
	s_or_saveexec_b64 s[28:29], s[28:29]
	v_mov_b32_e32 v2, s36
	s_xor_b64 exec, exec, s[28:29]
	s_cbranch_execnz .LBB38_475
.LBB38_455:
	s_or_b64 exec, exec, s[28:29]
	s_and_saveexec_b64 s[28:29], s[2:3]
	s_cbranch_execz .LBB38_457
.LBB38_456:
	v_lshlrev_b32_e32 v2, 24, v3
	v_and_b32_e32 v3, 0xffff, v3
	v_and_b32_e32 v4, 3, v3
	v_ffbh_u32_e32 v6, v4
	v_min_u32_e32 v6, 32, v6
	v_subrev_u32_e32 v9, 29, v6
	v_bfe_u32 v5, v3, 2, 5
	v_lshlrev_b32_e32 v3, v9, v3
	v_sub_u32_e32 v6, 30, v6
	v_and_b32_e32 v3, 3, v3
	v_cmp_eq_u32_e32 vcc, 0, v5
	v_cndmask_b32_e32 v5, v5, v6, vcc
	v_cndmask_b32_e32 v3, v4, v3, vcc
	v_mov_b32_e32 v4, 0x37800000
	v_lshlrev_b32_e32 v3, 21, v3
	v_and_b32_e32 v2, 0x80000000, v2
	v_lshl_add_u32 v4, v5, 23, v4
	v_or3_b32 v2, v2, v4, v3
.LBB38_457:
	s_or_b64 exec, exec, s[28:29]
	s_mov_b64 s[2:3], 0
	s_branch .LBB38_463
.LBB38_458:
	s_mov_b64 s[28:29], -1
                                        ; implicit-def: $vgpr2
	s_branch .LBB38_469
.LBB38_459:
	s_or_saveexec_b64 s[28:29], s[28:29]
	v_mov_b32_e32 v2, s36
	s_xor_b64 exec, exec, s[28:29]
	s_cbranch_execz .LBB38_442
.LBB38_460:
	v_cmp_ne_u16_e32 vcc, 0, v3
	s_andn2_b64 s[2:3], s[2:3], exec
	s_and_b64 s[34:35], vcc, exec
	v_mov_b32_e32 v2, 0
	s_or_b64 s[2:3], s[2:3], s[34:35]
	s_or_b64 exec, exec, s[28:29]
	s_and_saveexec_b64 s[28:29], s[2:3]
	s_cbranch_execnz .LBB38_443
	s_branch .LBB38_444
.LBB38_461:
	s_mov_b64 s[2:3], -1
                                        ; implicit-def: $vgpr2
	s_branch .LBB38_466
.LBB38_462:
	s_mov_b64 s[2:3], -1
                                        ; implicit-def: $vgpr2
.LBB38_463:
	s_and_b64 vcc, exec, s[2:3]
	s_cbranch_vccz .LBB38_465
; %bb.464:
	global_load_ubyte v2, v[0:1], off
	s_mov_b32 s2, 0x7f800000
	s_waitcnt vmcnt(0)
	v_lshlrev_b32_e32 v2, 24, v2
	v_and_b32_e32 v3, 0x7f000000, v2
	v_ffbh_u32_e32 v4, v3
	v_min_u32_e32 v4, 32, v4
	v_sub_u32_e64 v4, v4, 4 clamp
	v_lshlrev_b32_e32 v6, v4, v3
	v_lshlrev_b32_e32 v4, 23, v4
	v_lshrrev_b32_e32 v6, 4, v6
	v_add_u32_e32 v5, 0x1000000, v3
	v_sub_u32_e32 v4, v6, v4
	v_ashrrev_i32_e32 v5, 8, v5
	v_add_u32_e32 v4, 0x3c000000, v4
	v_and_or_b32 v4, v5, s2, v4
	v_cmp_ne_u32_e32 vcc, 0, v3
	v_cndmask_b32_e32 v3, 0, v4, vcc
	s_brev_b32 s2, 1
	v_and_or_b32 v2, v2, s2, v3
.LBB38_465:
	s_mov_b64 s[2:3], 0
.LBB38_466:
	s_andn2_b64 vcc, exec, s[2:3]
	s_cbranch_vccnz .LBB38_468
; %bb.467:
	global_load_ubyte v2, v[0:1], off
	s_movk_i32 s2, 0x7f00
	s_brev_b32 s3, 16
	s_waitcnt vmcnt(0)
	v_lshlrev_b16_e32 v3, 8, v2
	v_lshlrev_b32_e32 v2, 25, v2
	v_lshrrev_b32_e32 v4, 4, v2
	v_and_or_b32 v5, v3, s2, 0.5
	v_or_b32_e32 v4, 0x70000000, v4
	v_add_f32_e32 v5, -0.5, v5
	v_mul_f32_e32 v4, 0x7800000, v4
	v_cmp_gt_u32_e32 vcc, s3, v2
	v_bfe_i32 v3, v3, 0, 16
	v_cndmask_b32_e32 v2, v4, v5, vcc
	s_brev_b32 s2, 1
	v_and_or_b32 v2, v3, s2, v2
.LBB38_468:
	s_mov_b64 s[28:29], 0
	s_mov_b64 s[2:3], -1
.LBB38_469:
	s_andn2_b64 vcc, exec, s[28:29]
	s_cbranch_vccnz .LBB38_482
; %bb.470:
	v_cmp_lt_i16_e32 vcc, 14, v8
	s_cbranch_vccz .LBB38_473
; %bb.471:
	v_cmp_eq_u16_e32 vcc, 15, v8
	s_cbranch_vccz .LBB38_476
; %bb.472:
	global_load_ushort v2, v[0:1], off
	s_mov_b64 s[2:3], -1
	s_mov_b64 s[26:27], 0
	s_waitcnt vmcnt(0)
	v_lshlrev_b32_e32 v2, 16, v2
	s_branch .LBB38_477
.LBB38_473:
	s_mov_b64 s[28:29], -1
                                        ; implicit-def: $vgpr2
	s_branch .LBB38_478
.LBB38_474:
	s_or_saveexec_b64 s[28:29], s[28:29]
	v_mov_b32_e32 v2, s36
	s_xor_b64 exec, exec, s[28:29]
	s_cbranch_execz .LBB38_455
.LBB38_475:
	v_cmp_ne_u16_e32 vcc, 0, v3
	s_andn2_b64 s[2:3], s[2:3], exec
	s_and_b64 s[34:35], vcc, exec
	v_mov_b32_e32 v2, 0
	s_or_b64 s[2:3], s[2:3], s[34:35]
	s_or_b64 exec, exec, s[28:29]
	s_and_saveexec_b64 s[28:29], s[2:3]
	s_cbranch_execnz .LBB38_456
	s_branch .LBB38_457
.LBB38_476:
	s_mov_b64 s[26:27], -1
                                        ; implicit-def: $vgpr2
.LBB38_477:
	s_mov_b64 s[28:29], 0
.LBB38_478:
	s_and_b64 vcc, exec, s[28:29]
	s_cbranch_vccz .LBB38_482
; %bb.479:
	v_cmp_eq_u16_e32 vcc, 11, v8
	s_cbranch_vccz .LBB38_481
; %bb.480:
	global_load_ubyte v2, v[0:1], off
	s_mov_b64 s[2:3], -1
	s_mov_b64 s[26:27], 0
	s_waitcnt vmcnt(0)
	v_cmp_ne_u16_e32 vcc, 0, v2
	v_cndmask_b32_e64 v2, 0, 1.0, vcc
	s_branch .LBB38_482
.LBB38_481:
	s_mov_b64 s[26:27], -1
                                        ; implicit-def: $vgpr2
.LBB38_482:
	s_branch .LBB38_275
.LBB38_483:
	v_cmp_gt_i16_e32 vcc, 5, v8
	s_cbranch_vccnz .LBB38_488
; %bb.484:
	v_cmp_gt_i16_e32 vcc, 8, v8
	s_cbranch_vccnz .LBB38_489
; %bb.485:
	v_cmp_gt_i16_e32 vcc, 9, v8
	s_cbranch_vccnz .LBB38_490
; %bb.486:
	v_cmp_lt_i16_e32 vcc, 9, v8
	s_cbranch_vccz .LBB38_491
; %bb.487:
	global_load_dwordx2 v[2:3], v[0:1], off
	s_mov_b64 s[2:3], 0
	s_waitcnt vmcnt(0)
	v_cvt_f32_f64_e32 v2, v[2:3]
	s_branch .LBB38_492
.LBB38_488:
	s_mov_b64 s[2:3], -1
                                        ; implicit-def: $vgpr2
	s_branch .LBB38_510
.LBB38_489:
	s_mov_b64 s[2:3], -1
                                        ; implicit-def: $vgpr2
	s_branch .LBB38_498
.LBB38_490:
	s_mov_b64 s[2:3], -1
                                        ; implicit-def: $vgpr2
	s_branch .LBB38_495
.LBB38_491:
	s_mov_b64 s[2:3], -1
                                        ; implicit-def: $vgpr2
.LBB38_492:
	s_andn2_b64 vcc, exec, s[2:3]
	s_cbranch_vccnz .LBB38_494
; %bb.493:
	global_load_dword v2, v[0:1], off
.LBB38_494:
	s_mov_b64 s[2:3], 0
.LBB38_495:
	s_andn2_b64 vcc, exec, s[2:3]
	s_cbranch_vccnz .LBB38_497
; %bb.496:
	global_load_dword v2, v[0:1], off
	s_waitcnt vmcnt(0)
	v_cvt_f32_f16_e32 v2, v2
.LBB38_497:
	s_mov_b64 s[2:3], 0
.LBB38_498:
	s_andn2_b64 vcc, exec, s[2:3]
	s_cbranch_vccnz .LBB38_509
; %bb.499:
	v_cmp_gt_i16_e32 vcc, 6, v8
	s_cbranch_vccnz .LBB38_502
; %bb.500:
	v_cmp_lt_i16_e32 vcc, 6, v8
	s_cbranch_vccz .LBB38_503
; %bb.501:
	global_load_dwordx2 v[2:3], v[0:1], off
	s_mov_b64 s[2:3], 0
	s_waitcnt vmcnt(0)
	v_cvt_f32_f64_e32 v2, v[2:3]
	s_branch .LBB38_504
.LBB38_502:
	s_mov_b64 s[2:3], -1
                                        ; implicit-def: $vgpr2
	s_branch .LBB38_507
.LBB38_503:
	s_mov_b64 s[2:3], -1
                                        ; implicit-def: $vgpr2
.LBB38_504:
	s_andn2_b64 vcc, exec, s[2:3]
	s_cbranch_vccnz .LBB38_506
; %bb.505:
	global_load_dword v2, v[0:1], off
.LBB38_506:
	s_mov_b64 s[2:3], 0
.LBB38_507:
	s_andn2_b64 vcc, exec, s[2:3]
	s_cbranch_vccnz .LBB38_509
; %bb.508:
	global_load_ushort v2, v[0:1], off
	s_waitcnt vmcnt(0)
	v_cvt_f32_f16_e32 v2, v2
.LBB38_509:
	s_mov_b64 s[2:3], 0
.LBB38_510:
	s_andn2_b64 vcc, exec, s[2:3]
	s_cbranch_vccnz .LBB38_530
; %bb.511:
	v_cmp_gt_i16_e32 vcc, 2, v8
	s_cbranch_vccnz .LBB38_515
; %bb.512:
	v_cmp_gt_i16_e32 vcc, 3, v8
	s_cbranch_vccnz .LBB38_516
; %bb.513:
	v_cmp_lt_i16_e32 vcc, 3, v8
	s_cbranch_vccz .LBB38_517
; %bb.514:
	global_load_dwordx2 v[2:3], v[0:1], off
	s_mov_b64 s[2:3], 0
	s_waitcnt vmcnt(0)
	v_xor_b32_e32 v5, v2, v3
	v_ffbh_i32_e32 v4, v3
	v_ashrrev_i32_e32 v5, 31, v5
	v_add_u32_e32 v4, -1, v4
	v_add_u32_e32 v5, 32, v5
	v_min_u32_e32 v4, v4, v5
	v_lshlrev_b64 v[2:3], v4, v[2:3]
	v_min_u32_e32 v2, 1, v2
	v_or_b32_e32 v2, v3, v2
	v_cvt_f32_i32_e32 v2, v2
	v_sub_u32_e32 v3, 32, v4
	v_ldexp_f32 v2, v2, v3
	s_branch .LBB38_518
.LBB38_515:
	s_mov_b64 s[2:3], -1
                                        ; implicit-def: $vgpr2
	s_branch .LBB38_524
.LBB38_516:
	s_mov_b64 s[2:3], -1
                                        ; implicit-def: $vgpr2
	s_branch .LBB38_521
.LBB38_517:
	s_mov_b64 s[2:3], -1
                                        ; implicit-def: $vgpr2
.LBB38_518:
	s_andn2_b64 vcc, exec, s[2:3]
	s_cbranch_vccnz .LBB38_520
; %bb.519:
	global_load_dword v2, v[0:1], off
	s_waitcnt vmcnt(0)
	v_cvt_f32_i32_e32 v2, v2
.LBB38_520:
	s_mov_b64 s[2:3], 0
.LBB38_521:
	s_andn2_b64 vcc, exec, s[2:3]
	s_cbranch_vccnz .LBB38_523
; %bb.522:
	global_load_sshort v2, v[0:1], off
	s_waitcnt vmcnt(0)
	v_cvt_f32_i32_e32 v2, v2
.LBB38_523:
	s_mov_b64 s[2:3], 0
.LBB38_524:
	s_andn2_b64 vcc, exec, s[2:3]
	s_cbranch_vccnz .LBB38_530
; %bb.525:
	v_cmp_lt_i16_e32 vcc, 0, v8
	s_cbranch_vccz .LBB38_527
; %bb.526:
	global_load_sbyte v2, v[0:1], off
	s_mov_b64 s[2:3], 0
	s_waitcnt vmcnt(0)
	v_cvt_f32_i32_e32 v2, v2
	s_branch .LBB38_528
.LBB38_527:
	s_mov_b64 s[2:3], -1
                                        ; implicit-def: $vgpr2
.LBB38_528:
	s_andn2_b64 vcc, exec, s[2:3]
	s_cbranch_vccnz .LBB38_530
; %bb.529:
	global_load_ubyte v0, v[0:1], off
	s_waitcnt vmcnt(0)
	v_cvt_f32_ubyte0_e32 v2, v0
.LBB38_530:
	s_branch .LBB38_276
.LBB38_531:
	s_mov_b64 s[34:35], 0
                                        ; implicit-def: $vgpr7
	s_mov_b64 s[2:3], s[20:21]
.LBB38_532:
	s_andn2_b64 s[28:29], s[20:21], exec
	s_and_b64 s[2:3], s[2:3], exec
	s_or_b64 s[28:29], s[28:29], s[2:3]
	s_andn2_b64 s[2:3], s[22:23], exec
	s_and_b64 s[26:27], s[26:27], exec
	s_or_b64 s[26:27], s[2:3], s[26:27]
	s_orn2_b64 s[2:3], s[34:35], exec
.LBB38_533:
	s_or_b64 exec, exec, s[30:31]
	s_mov_b64 s[36:37], 0
	s_mov_b64 s[34:35], 0
	;; [unrolled: 1-line block ×3, first 2 shown]
                                        ; implicit-def: $vgpr0_vgpr1
                                        ; implicit-def: $vgpr5
	s_and_saveexec_b64 s[30:31], s[2:3]
	s_cbranch_execz .LBB38_888
; %bb.534:
	v_cmp_gt_i32_e32 vcc, s33, v7
	s_mov_b64 s[42:43], -1
	s_mov_b64 s[2:3], s[26:27]
	s_mov_b64 s[38:39], s[28:29]
	s_and_saveexec_b64 s[34:35], vcc
	s_cbranch_execz .LBB38_802
; %bb.535:
	v_mul_lo_u32 v0, v7, s15
	v_ashrrev_i32_e32 v1, 31, v0
	s_waitcnt vmcnt(0)
	v_mov_b32_e32 v2, s11
	v_add_co_u32_e32 v0, vcc, s10, v0
	v_addc_co_u32_e32 v1, vcc, v2, v1, vcc
	v_cmp_gt_i16_e32 vcc, 11, v8
	s_cbranch_vccnz .LBB38_542
; %bb.536:
	v_cmp_lt_i16_e32 vcc, 25, v8
	s_cbranch_vccz .LBB38_543
; %bb.537:
	v_cmp_lt_i16_e32 vcc, 28, v8
	s_cbranch_vccz .LBB38_544
	;; [unrolled: 3-line block ×4, first 2 shown]
; %bb.540:
	v_cmp_eq_u16_e32 vcc, 46, v8
	s_mov_b64 s[38:39], 0
	s_cbranch_vccz .LBB38_551
; %bb.541:
	global_load_dword v2, v[0:1], off
	s_mov_b64 s[2:3], -1
	s_waitcnt vmcnt(0)
	v_lshlrev_b32_e32 v2, 16, v2
	s_branch .LBB38_552
.LBB38_542:
	s_mov_b64 s[38:39], -1
	s_mov_b64 s[2:3], 0
                                        ; implicit-def: $vgpr2
	s_mov_b64 s[36:37], s[26:27]
	s_branch .LBB38_617
.LBB38_543:
	s_mov_b64 s[38:39], -1
	s_mov_b64 s[2:3], 0
	s_mov_b64 s[36:37], s[26:27]
                                        ; implicit-def: $vgpr2
	s_branch .LBB38_581
.LBB38_544:
	s_mov_b64 s[38:39], -1
	s_mov_b64 s[2:3], 0
	s_mov_b64 s[36:37], s[26:27]
                                        ; implicit-def: $vgpr2
	s_branch .LBB38_562
.LBB38_545:
	s_mov_b64 s[38:39], -1
	s_mov_b64 s[2:3], 0
	s_mov_b64 s[36:37], s[26:27]
                                        ; implicit-def: $vgpr2
	s_branch .LBB38_557
.LBB38_546:
	s_or_saveexec_b64 s[36:37], s[36:37]
                                        ; implicit-def: $sgpr38
	s_xor_b64 exec, exec, s[36:37]
	s_cbranch_execz .LBB38_331
.LBB38_547:
	s_mov_b32 s38, 0x46000000
	v_add_f32_e64 v1, |v0|, s38
	v_and_b32_e32 v1, 0xff, v1
	v_cmp_ne_u32_e32 vcc, 0, v1
	s_andn2_b64 s[34:35], s[34:35], exec
	s_and_b64 s[40:41], vcc, exec
	s_mov_b32 s38, 0
	s_or_b64 s[34:35], s[34:35], s[40:41]
	s_or_b64 exec, exec, s[36:37]
	v_mov_b32_e32 v4, s38
	s_and_saveexec_b64 s[36:37], s[34:35]
	s_cbranch_execnz .LBB38_332
	s_branch .LBB38_333
.LBB38_548:
	s_mov_b64 s[38:39], -1
	s_mov_b64 s[2:3], 0
	s_mov_b64 s[36:37], s[26:27]
                                        ; implicit-def: $vgpr2
	s_branch .LBB38_552
.LBB38_549:
	s_or_saveexec_b64 s[36:37], s[36:37]
                                        ; implicit-def: $sgpr38
	s_xor_b64 exec, exec, s[36:37]
	s_cbranch_execz .LBB38_344
.LBB38_550:
	s_mov_b32 s38, 0x42800000
	v_add_f32_e64 v1, |v0|, s38
	v_and_b32_e32 v1, 0xff, v1
	v_cmp_ne_u32_e32 vcc, 0, v1
	s_andn2_b64 s[34:35], s[34:35], exec
	s_and_b64 s[40:41], vcc, exec
	s_mov_b32 s38, 0
	s_or_b64 s[34:35], s[34:35], s[40:41]
	s_or_b64 exec, exec, s[36:37]
	v_mov_b32_e32 v4, s38
	s_and_saveexec_b64 s[36:37], s[34:35]
	s_cbranch_execnz .LBB38_345
	s_branch .LBB38_346
.LBB38_551:
	s_mov_b64 s[36:37], -1
                                        ; implicit-def: $vgpr2
	s_mov_b64 s[2:3], 0
.LBB38_552:
	s_and_b64 vcc, exec, s[38:39]
	s_cbranch_vccz .LBB38_556
; %bb.553:
	v_cmp_eq_u16_e32 vcc, 44, v8
	s_cbranch_vccz .LBB38_555
; %bb.554:
	global_load_ubyte v2, v[0:1], off
	s_movk_i32 s36, 0xff
	v_mov_b32_e32 v3, 0x7f800001
	v_mov_b32_e32 v4, 0x400000
	s_mov_b64 s[2:3], -1
	s_waitcnt vmcnt(0)
	v_lshlrev_b32_e32 v5, 23, v2
	v_cmp_ne_u32_e32 vcc, s36, v2
	v_cndmask_b32_e32 v3, v3, v5, vcc
	v_cmp_ne_u32_e32 vcc, 0, v2
	v_cndmask_b32_e32 v2, v4, v3, vcc
	s_mov_b64 s[36:37], 0
	s_branch .LBB38_556
.LBB38_555:
	s_mov_b64 s[36:37], -1
                                        ; implicit-def: $vgpr2
.LBB38_556:
	s_mov_b64 s[38:39], 0
.LBB38_557:
	s_and_b64 vcc, exec, s[38:39]
	s_cbranch_vccz .LBB38_561
; %bb.558:
	v_cmp_eq_u16_e32 vcc, 29, v8
	s_cbranch_vccz .LBB38_560
; %bb.559:
	global_load_dwordx2 v[2:3], v[0:1], off
	s_mov_b64 s[2:3], -1
	s_mov_b64 s[36:37], 0
	s_mov_b64 s[38:39], 0
	s_waitcnt vmcnt(0)
	v_ffbh_u32_e32 v4, v3
	v_min_u32_e32 v4, 32, v4
	v_lshlrev_b64 v[2:3], v4, v[2:3]
	v_min_u32_e32 v2, 1, v2
	v_or_b32_e32 v2, v3, v2
	v_cvt_f32_u32_e32 v2, v2
	v_sub_u32_e32 v3, 32, v4
	v_ldexp_f32 v2, v2, v3
	s_branch .LBB38_562
.LBB38_560:
	s_mov_b64 s[36:37], -1
                                        ; implicit-def: $vgpr2
.LBB38_561:
	s_mov_b64 s[38:39], 0
.LBB38_562:
	s_and_b64 vcc, exec, s[38:39]
	s_cbranch_vccz .LBB38_580
; %bb.563:
	v_cmp_gt_i16_e32 vcc, 27, v8
	s_cbranch_vccnz .LBB38_566
; %bb.564:
	v_cmp_lt_i16_e32 vcc, 27, v8
	s_cbranch_vccz .LBB38_567
; %bb.565:
	global_load_dword v2, v[0:1], off
	s_mov_b64 s[2:3], 0
	s_waitcnt vmcnt(0)
	v_cvt_f32_u32_e32 v2, v2
	s_branch .LBB38_568
.LBB38_566:
	s_mov_b64 s[2:3], -1
                                        ; implicit-def: $vgpr2
	s_branch .LBB38_571
.LBB38_567:
	s_mov_b64 s[2:3], -1
                                        ; implicit-def: $vgpr2
.LBB38_568:
	s_andn2_b64 vcc, exec, s[2:3]
	s_cbranch_vccnz .LBB38_570
; %bb.569:
	global_load_ushort v2, v[0:1], off
	s_waitcnt vmcnt(0)
	v_cvt_f32_u32_e32 v2, v2
.LBB38_570:
	s_mov_b64 s[2:3], 0
.LBB38_571:
	s_andn2_b64 vcc, exec, s[2:3]
	s_cbranch_vccnz .LBB38_579
; %bb.572:
	global_load_ubyte v3, v[0:1], off
	s_movk_i32 s2, 0x7f
                                        ; implicit-def: $sgpr42
	s_waitcnt vmcnt(0)
	v_cmp_lt_i16_e32 vcc, s2, v3
	s_mov_b64 s[2:3], 0
	s_and_saveexec_b64 s[38:39], vcc
	s_xor_b64 s[38:39], exec, s[38:39]
	s_cbranch_execz .LBB38_593
; %bb.573:
	s_movk_i32 s2, 0x80
	v_cmp_eq_u16_e32 vcc, s2, v3
	s_mov_b64 s[2:3], -1
                                        ; implicit-def: $sgpr42
	s_and_saveexec_b64 s[40:41], vcc
; %bb.574:
	s_mov_b32 s42, 0x7f800001
	s_xor_b64 s[2:3], exec, -1
; %bb.575:
	s_or_b64 exec, exec, s[40:41]
	s_and_b64 s[2:3], s[2:3], exec
	s_or_saveexec_b64 s[38:39], s[38:39]
	v_mov_b32_e32 v2, s42
	s_xor_b64 exec, exec, s[38:39]
	s_cbranch_execnz .LBB38_594
.LBB38_576:
	s_or_b64 exec, exec, s[38:39]
	s_and_saveexec_b64 s[38:39], s[2:3]
	s_cbranch_execz .LBB38_578
.LBB38_577:
	v_lshlrev_b32_e32 v2, 24, v3
	v_and_b32_e32 v3, 0xffff, v3
	v_and_b32_e32 v4, 7, v3
	v_ffbh_u32_e32 v6, v4
	v_min_u32_e32 v6, 32, v6
	v_subrev_u32_e32 v9, 28, v6
	v_bfe_u32 v5, v3, 3, 4
	v_lshlrev_b32_e32 v3, v9, v3
	v_sub_u32_e32 v6, 29, v6
	v_and_b32_e32 v3, 7, v3
	v_cmp_eq_u32_e32 vcc, 0, v5
	v_cndmask_b32_e32 v5, v5, v6, vcc
	v_cndmask_b32_e32 v3, v4, v3, vcc
	v_mov_b32_e32 v4, 0x3b800000
	v_lshlrev_b32_e32 v3, 20, v3
	v_and_b32_e32 v2, 0x80000000, v2
	v_lshl_add_u32 v4, v5, 23, v4
	v_or3_b32 v2, v2, v4, v3
.LBB38_578:
	s_or_b64 exec, exec, s[38:39]
.LBB38_579:
	s_mov_b64 s[2:3], -1
.LBB38_580:
	s_mov_b64 s[38:39], 0
.LBB38_581:
	s_and_b64 vcc, exec, s[38:39]
	s_cbranch_vccz .LBB38_616
; %bb.582:
	v_cmp_lt_i16_e32 vcc, 22, v8
	s_cbranch_vccz .LBB38_592
; %bb.583:
	v_cmp_gt_i16_e32 vcc, 24, v8
	s_cbranch_vccnz .LBB38_595
; %bb.584:
	v_cmp_lt_i16_e32 vcc, 24, v8
	s_cbranch_vccz .LBB38_596
; %bb.585:
	global_load_ubyte v3, v[0:1], off
	s_movk_i32 s2, 0x7f
                                        ; implicit-def: $sgpr42
	s_waitcnt vmcnt(0)
	v_cmp_lt_i16_e32 vcc, s2, v3
	s_mov_b64 s[2:3], 0
	s_and_saveexec_b64 s[38:39], vcc
	s_xor_b64 s[38:39], exec, s[38:39]
	s_cbranch_execz .LBB38_608
; %bb.586:
	s_movk_i32 s2, 0x80
	v_cmp_eq_u16_e32 vcc, s2, v3
	s_mov_b64 s[2:3], -1
                                        ; implicit-def: $sgpr42
	s_and_saveexec_b64 s[40:41], vcc
; %bb.587:
	s_mov_b32 s42, 0x7f800001
	s_xor_b64 s[2:3], exec, -1
; %bb.588:
	s_or_b64 exec, exec, s[40:41]
	s_and_b64 s[2:3], s[2:3], exec
	s_or_saveexec_b64 s[38:39], s[38:39]
	v_mov_b32_e32 v2, s42
	s_xor_b64 exec, exec, s[38:39]
	s_cbranch_execnz .LBB38_609
.LBB38_589:
	s_or_b64 exec, exec, s[38:39]
	s_and_saveexec_b64 s[38:39], s[2:3]
	s_cbranch_execz .LBB38_591
.LBB38_590:
	v_lshlrev_b32_e32 v2, 24, v3
	v_and_b32_e32 v3, 0xffff, v3
	v_and_b32_e32 v4, 3, v3
	v_ffbh_u32_e32 v6, v4
	v_min_u32_e32 v6, 32, v6
	v_subrev_u32_e32 v9, 29, v6
	v_bfe_u32 v5, v3, 2, 5
	v_lshlrev_b32_e32 v3, v9, v3
	v_sub_u32_e32 v6, 30, v6
	v_and_b32_e32 v3, 3, v3
	v_cmp_eq_u32_e32 vcc, 0, v5
	v_cndmask_b32_e32 v5, v5, v6, vcc
	v_cndmask_b32_e32 v3, v4, v3, vcc
	v_mov_b32_e32 v4, 0x37800000
	v_lshlrev_b32_e32 v3, 21, v3
	v_and_b32_e32 v2, 0x80000000, v2
	v_lshl_add_u32 v4, v5, 23, v4
	v_or3_b32 v2, v2, v4, v3
.LBB38_591:
	s_or_b64 exec, exec, s[38:39]
	s_mov_b64 s[2:3], 0
	s_branch .LBB38_597
.LBB38_592:
	s_mov_b64 s[38:39], -1
                                        ; implicit-def: $vgpr2
	s_branch .LBB38_603
.LBB38_593:
	s_or_saveexec_b64 s[38:39], s[38:39]
	v_mov_b32_e32 v2, s42
	s_xor_b64 exec, exec, s[38:39]
	s_cbranch_execz .LBB38_576
.LBB38_594:
	v_cmp_ne_u16_e32 vcc, 0, v3
	s_andn2_b64 s[2:3], s[2:3], exec
	s_and_b64 s[40:41], vcc, exec
	v_mov_b32_e32 v2, 0
	s_or_b64 s[2:3], s[2:3], s[40:41]
	s_or_b64 exec, exec, s[38:39]
	s_and_saveexec_b64 s[38:39], s[2:3]
	s_cbranch_execnz .LBB38_577
	s_branch .LBB38_578
.LBB38_595:
	s_mov_b64 s[2:3], -1
                                        ; implicit-def: $vgpr2
	s_branch .LBB38_600
.LBB38_596:
	s_mov_b64 s[2:3], -1
                                        ; implicit-def: $vgpr2
.LBB38_597:
	s_and_b64 vcc, exec, s[2:3]
	s_cbranch_vccz .LBB38_599
; %bb.598:
	global_load_ubyte v2, v[0:1], off
	s_mov_b32 s2, 0x7f800000
	s_waitcnt vmcnt(0)
	v_lshlrev_b32_e32 v2, 24, v2
	v_and_b32_e32 v3, 0x7f000000, v2
	v_ffbh_u32_e32 v4, v3
	v_min_u32_e32 v4, 32, v4
	v_sub_u32_e64 v4, v4, 4 clamp
	v_lshlrev_b32_e32 v6, v4, v3
	v_lshlrev_b32_e32 v4, 23, v4
	v_lshrrev_b32_e32 v6, 4, v6
	v_add_u32_e32 v5, 0x1000000, v3
	v_sub_u32_e32 v4, v6, v4
	v_ashrrev_i32_e32 v5, 8, v5
	v_add_u32_e32 v4, 0x3c000000, v4
	v_and_or_b32 v4, v5, s2, v4
	v_cmp_ne_u32_e32 vcc, 0, v3
	v_cndmask_b32_e32 v3, 0, v4, vcc
	s_brev_b32 s2, 1
	v_and_or_b32 v2, v2, s2, v3
.LBB38_599:
	s_mov_b64 s[2:3], 0
.LBB38_600:
	s_andn2_b64 vcc, exec, s[2:3]
	s_cbranch_vccnz .LBB38_602
; %bb.601:
	global_load_ubyte v2, v[0:1], off
	s_movk_i32 s2, 0x7f00
	s_brev_b32 s3, 16
	s_waitcnt vmcnt(0)
	v_lshlrev_b16_e32 v3, 8, v2
	v_lshlrev_b32_e32 v2, 25, v2
	v_lshrrev_b32_e32 v4, 4, v2
	v_and_or_b32 v5, v3, s2, 0.5
	v_or_b32_e32 v4, 0x70000000, v4
	v_add_f32_e32 v5, -0.5, v5
	v_mul_f32_e32 v4, 0x7800000, v4
	v_cmp_gt_u32_e32 vcc, s3, v2
	v_bfe_i32 v3, v3, 0, 16
	v_cndmask_b32_e32 v2, v4, v5, vcc
	s_brev_b32 s2, 1
	v_and_or_b32 v2, v3, s2, v2
.LBB38_602:
	s_mov_b64 s[38:39], 0
	s_mov_b64 s[2:3], -1
.LBB38_603:
	s_andn2_b64 vcc, exec, s[38:39]
	s_cbranch_vccnz .LBB38_616
; %bb.604:
	v_cmp_lt_i16_e32 vcc, 14, v8
	s_cbranch_vccz .LBB38_607
; %bb.605:
	v_cmp_eq_u16_e32 vcc, 15, v8
	s_cbranch_vccz .LBB38_610
; %bb.606:
	global_load_ushort v2, v[0:1], off
	s_mov_b64 s[2:3], -1
	s_mov_b64 s[36:37], 0
	s_waitcnt vmcnt(0)
	v_lshlrev_b32_e32 v2, 16, v2
	s_branch .LBB38_611
.LBB38_607:
	s_mov_b64 s[38:39], -1
                                        ; implicit-def: $vgpr2
	s_branch .LBB38_612
.LBB38_608:
	s_or_saveexec_b64 s[38:39], s[38:39]
	v_mov_b32_e32 v2, s42
	s_xor_b64 exec, exec, s[38:39]
	s_cbranch_execz .LBB38_589
.LBB38_609:
	v_cmp_ne_u16_e32 vcc, 0, v3
	s_andn2_b64 s[2:3], s[2:3], exec
	s_and_b64 s[40:41], vcc, exec
	v_mov_b32_e32 v2, 0
	s_or_b64 s[2:3], s[2:3], s[40:41]
	s_or_b64 exec, exec, s[38:39]
	s_and_saveexec_b64 s[38:39], s[2:3]
	s_cbranch_execnz .LBB38_590
	s_branch .LBB38_591
.LBB38_610:
	s_mov_b64 s[36:37], -1
                                        ; implicit-def: $vgpr2
.LBB38_611:
	s_mov_b64 s[38:39], 0
.LBB38_612:
	s_and_b64 vcc, exec, s[38:39]
	s_cbranch_vccz .LBB38_616
; %bb.613:
	v_cmp_eq_u16_e32 vcc, 11, v8
	s_cbranch_vccz .LBB38_615
; %bb.614:
	global_load_ubyte v2, v[0:1], off
	s_mov_b64 s[2:3], -1
	s_mov_b64 s[36:37], 0
	s_waitcnt vmcnt(0)
	v_cmp_ne_u16_e32 vcc, 0, v2
	v_cndmask_b32_e64 v2, 0, 1.0, vcc
	s_branch .LBB38_616
.LBB38_615:
	s_mov_b64 s[36:37], -1
                                        ; implicit-def: $vgpr2
.LBB38_616:
	s_mov_b64 s[38:39], 0
.LBB38_617:
	s_and_b64 vcc, exec, s[38:39]
	s_cbranch_vccz .LBB38_666
; %bb.618:
	v_cmp_gt_i16_e32 vcc, 5, v8
	s_cbranch_vccnz .LBB38_623
; %bb.619:
	v_cmp_gt_i16_e32 vcc, 8, v8
	s_cbranch_vccnz .LBB38_624
	;; [unrolled: 3-line block ×3, first 2 shown]
; %bb.621:
	v_cmp_lt_i16_e32 vcc, 9, v8
	s_cbranch_vccz .LBB38_626
; %bb.622:
	global_load_dwordx2 v[2:3], v[0:1], off
	s_mov_b64 s[2:3], 0
	s_waitcnt vmcnt(0)
	v_cvt_f32_f64_e32 v2, v[2:3]
	s_branch .LBB38_627
.LBB38_623:
	s_mov_b64 s[2:3], -1
                                        ; implicit-def: $vgpr2
	s_branch .LBB38_645
.LBB38_624:
	s_mov_b64 s[2:3], -1
                                        ; implicit-def: $vgpr2
	s_branch .LBB38_633
.LBB38_625:
	s_mov_b64 s[2:3], -1
                                        ; implicit-def: $vgpr2
	s_branch .LBB38_630
.LBB38_626:
	s_mov_b64 s[2:3], -1
                                        ; implicit-def: $vgpr2
.LBB38_627:
	s_andn2_b64 vcc, exec, s[2:3]
	s_cbranch_vccnz .LBB38_629
; %bb.628:
	global_load_dword v2, v[0:1], off
.LBB38_629:
	s_mov_b64 s[2:3], 0
.LBB38_630:
	s_andn2_b64 vcc, exec, s[2:3]
	s_cbranch_vccnz .LBB38_632
; %bb.631:
	global_load_dword v2, v[0:1], off
	s_waitcnt vmcnt(0)
	v_cvt_f32_f16_e32 v2, v2
.LBB38_632:
	s_mov_b64 s[2:3], 0
.LBB38_633:
	s_andn2_b64 vcc, exec, s[2:3]
	s_cbranch_vccnz .LBB38_644
; %bb.634:
	v_cmp_gt_i16_e32 vcc, 6, v8
	s_cbranch_vccnz .LBB38_637
; %bb.635:
	v_cmp_lt_i16_e32 vcc, 6, v8
	s_cbranch_vccz .LBB38_638
; %bb.636:
	global_load_dwordx2 v[2:3], v[0:1], off
	s_mov_b64 s[2:3], 0
	s_waitcnt vmcnt(0)
	v_cvt_f32_f64_e32 v2, v[2:3]
	s_branch .LBB38_639
.LBB38_637:
	s_mov_b64 s[2:3], -1
                                        ; implicit-def: $vgpr2
	s_branch .LBB38_642
.LBB38_638:
	s_mov_b64 s[2:3], -1
                                        ; implicit-def: $vgpr2
.LBB38_639:
	s_andn2_b64 vcc, exec, s[2:3]
	s_cbranch_vccnz .LBB38_641
; %bb.640:
	global_load_dword v2, v[0:1], off
.LBB38_641:
	s_mov_b64 s[2:3], 0
.LBB38_642:
	s_andn2_b64 vcc, exec, s[2:3]
	s_cbranch_vccnz .LBB38_644
; %bb.643:
	global_load_ushort v2, v[0:1], off
	s_waitcnt vmcnt(0)
	v_cvt_f32_f16_e32 v2, v2
.LBB38_644:
	s_mov_b64 s[2:3], 0
.LBB38_645:
	s_andn2_b64 vcc, exec, s[2:3]
	s_cbranch_vccnz .LBB38_665
; %bb.646:
	v_cmp_gt_i16_e32 vcc, 2, v8
	s_cbranch_vccnz .LBB38_650
; %bb.647:
	v_cmp_gt_i16_e32 vcc, 3, v8
	s_cbranch_vccnz .LBB38_651
; %bb.648:
	v_cmp_lt_i16_e32 vcc, 3, v8
	s_cbranch_vccz .LBB38_652
; %bb.649:
	global_load_dwordx2 v[2:3], v[0:1], off
	s_mov_b64 s[2:3], 0
	s_waitcnt vmcnt(0)
	v_xor_b32_e32 v5, v2, v3
	v_ffbh_i32_e32 v4, v3
	v_ashrrev_i32_e32 v5, 31, v5
	v_add_u32_e32 v4, -1, v4
	v_add_u32_e32 v5, 32, v5
	v_min_u32_e32 v4, v4, v5
	v_lshlrev_b64 v[2:3], v4, v[2:3]
	v_min_u32_e32 v2, 1, v2
	v_or_b32_e32 v2, v3, v2
	v_cvt_f32_i32_e32 v2, v2
	v_sub_u32_e32 v3, 32, v4
	v_ldexp_f32 v2, v2, v3
	s_branch .LBB38_653
.LBB38_650:
	s_mov_b64 s[2:3], -1
                                        ; implicit-def: $vgpr2
	s_branch .LBB38_659
.LBB38_651:
	s_mov_b64 s[2:3], -1
                                        ; implicit-def: $vgpr2
	s_branch .LBB38_656
.LBB38_652:
	s_mov_b64 s[2:3], -1
                                        ; implicit-def: $vgpr2
.LBB38_653:
	s_andn2_b64 vcc, exec, s[2:3]
	s_cbranch_vccnz .LBB38_655
; %bb.654:
	global_load_dword v2, v[0:1], off
	s_waitcnt vmcnt(0)
	v_cvt_f32_i32_e32 v2, v2
.LBB38_655:
	s_mov_b64 s[2:3], 0
.LBB38_656:
	s_andn2_b64 vcc, exec, s[2:3]
	s_cbranch_vccnz .LBB38_658
; %bb.657:
	global_load_sshort v2, v[0:1], off
	s_waitcnt vmcnt(0)
	v_cvt_f32_i32_e32 v2, v2
.LBB38_658:
	s_mov_b64 s[2:3], 0
.LBB38_659:
	s_andn2_b64 vcc, exec, s[2:3]
	s_cbranch_vccnz .LBB38_665
; %bb.660:
	v_cmp_lt_i16_e32 vcc, 0, v8
	s_cbranch_vccz .LBB38_662
; %bb.661:
	global_load_sbyte v2, v[0:1], off
	s_mov_b64 s[2:3], 0
	s_waitcnt vmcnt(0)
	v_cvt_f32_i32_e32 v2, v2
	s_branch .LBB38_663
.LBB38_662:
	s_mov_b64 s[2:3], -1
                                        ; implicit-def: $vgpr2
.LBB38_663:
	s_andn2_b64 vcc, exec, s[2:3]
	s_cbranch_vccnz .LBB38_665
; %bb.664:
	global_load_ubyte v0, v[0:1], off
	s_waitcnt vmcnt(0)
	v_cvt_f32_ubyte0_e32 v2, v0
.LBB38_665:
	s_mov_b64 s[2:3], -1
.LBB38_666:
	s_andn2_b64 vcc, exec, s[2:3]
	s_cbranch_vccnz .LBB38_674
; %bb.667:
	s_andn2_b64 vcc, exec, s[18:19]
	v_mov_b32_e32 v0, 0
	s_cbranch_vccnz .LBB38_678
; %bb.668:
	v_cmp_lt_i64_e64 s[2:3], s[16:17], 1
	s_and_b64 vcc, exec, s[2:3]
	v_mov_b32_e32 v0, 1.0
	s_cbranch_vccnz .LBB38_678
; %bb.669:
	s_cmp_lg_u64 s[16:17], 1
	s_cbranch_scc0 .LBB38_675
; %bb.670:
	s_andn2_b64 vcc, exec, s[0:1]
	v_mov_b32_e32 v0, 0x7fc00000
	s_cbranch_vccnz .LBB38_673
; %bb.671:
	s_mov_b64 s[2:3], 1
	v_mov_b32_e32 v1, 1.0
	s_waitcnt vmcnt(0)
	v_mov_b32_e32 v0, v2
.LBB38_672:                             ; =>This Inner Loop Header: Depth=1
	s_flbit_i32_b32 s38, s3
	s_min_u32 s40, s38, 32
	s_lshl_b64 s[38:39], s[2:3], s40
	s_min_u32 s38, s38, 1
	s_or_b32 s38, s39, s38
	v_cvt_f32_u32_e32 v3, s38
	s_sub_i32 s40, 32, s40
	s_add_u32 s2, s2, 1
	s_addc_u32 s3, s3, 0
	v_ldexp_f32 v3, v3, s40
	v_mul_f32_e32 v3, v1, v3
	s_cmp_lg_u64 s[16:17], s[2:3]
	v_mov_b32_e32 v1, v0
	v_fma_f32 v0, v2, v0, -v3
	s_cbranch_scc1 .LBB38_672
.LBB38_673:
	s_mov_b64 s[2:3], 0
	s_branch .LBB38_676
.LBB38_674:
	s_mov_b64 s[40:41], 0
                                        ; implicit-def: $vgpr7
	s_mov_b64 s[2:3], s[28:29]
	s_branch .LBB38_801
.LBB38_675:
	s_mov_b64 s[2:3], -1
                                        ; implicit-def: $vgpr0
.LBB38_676:
	s_andn2_b64 vcc, exec, s[2:3]
	s_cbranch_vccnz .LBB38_678
; %bb.677:
	s_waitcnt vmcnt(0)
	v_mov_b32_e32 v0, v2
.LBB38_678:
	v_mul_lo_u32 v1, v7, s14
	v_ashrrev_i32_e32 v3, 31, v1
	v_mov_b32_e32 v4, s9
	s_waitcnt vmcnt(0)
	v_add_co_u32_e32 v2, vcc, s8, v1
	v_mov_b32_e32 v1, 11
	v_addc_co_u32_e32 v3, vcc, v4, v3, vcc
	v_cmp_lt_i16_sdwa s[2:3], s13, v1 src0_sel:BYTE_0 src1_sel:DWORD
	s_and_b64 vcc, exec, s[2:3]
	s_cbranch_vccnz .LBB38_685
; %bb.679:
	v_mov_b32_e32 v1, 25
	v_cmp_gt_i16_sdwa s[2:3], s13, v1 src0_sel:BYTE_0 src1_sel:DWORD
	s_and_b64 vcc, exec, s[2:3]
	s_cbranch_vccz .LBB38_686
; %bb.680:
	v_mov_b32_e32 v1, 28
	v_cmp_gt_i16_sdwa s[2:3], s13, v1 src0_sel:BYTE_0 src1_sel:DWORD
	s_and_b64 vcc, exec, s[2:3]
	s_cbranch_vccz .LBB38_687
	;; [unrolled: 5-line block ×4, first 2 shown]
; %bb.683:
	v_mov_b32_e32 v1, 46
	v_cmp_eq_u16_sdwa s[38:39], s13, v1 src0_sel:BYTE_0 src1_sel:DWORD
	s_mov_b64 s[40:41], 0
	s_mov_b64 s[2:3], -1
	s_and_b64 vcc, exec, s[38:39]
	s_mov_b64 s[38:39], 0
	s_cbranch_vccz .LBB38_690
; %bb.684:
	v_bfe_u32 v1, v0, 16, 1
	s_movk_i32 s2, 0x7fff
	v_add3_u32 v1, v0, v1, s2
	v_lshrrev_b32_e32 v1, 16, v1
	v_mov_b32_e32 v4, 0x7fc0
	v_cmp_o_f32_e32 vcc, v0, v0
	v_cndmask_b32_e32 v1, v4, v1, vcc
	global_store_dword v[2:3], v1, off
	s_mov_b64 s[38:39], -1
	s_mov_b64 s[2:3], 0
	s_branch .LBB38_690
.LBB38_685:
	s_mov_b64 s[40:41], -1
	s_mov_b64 s[38:39], 0
	s_mov_b64 s[2:3], s[28:29]
	s_branch .LBB38_759
.LBB38_686:
	s_mov_b64 s[40:41], -1
	s_mov_b64 s[38:39], 0
	s_mov_b64 s[2:3], s[28:29]
	s_branch .LBB38_717
.LBB38_687:
	s_mov_b64 s[40:41], -1
	s_mov_b64 s[38:39], 0
	s_mov_b64 s[2:3], s[28:29]
	s_branch .LBB38_700
.LBB38_688:
	s_mov_b64 s[40:41], -1
	s_mov_b64 s[38:39], 0
	s_mov_b64 s[2:3], s[28:29]
	s_branch .LBB38_696
.LBB38_689:
	s_mov_b64 s[40:41], -1
	s_mov_b64 s[38:39], 0
	s_mov_b64 s[2:3], s[28:29]
.LBB38_690:
	s_and_b64 vcc, exec, s[40:41]
	s_cbranch_vccz .LBB38_695
; %bb.691:
	v_mov_b32_e32 v1, 44
	v_cmp_eq_u16_sdwa s[40:41], s13, v1 src0_sel:BYTE_0 src1_sel:DWORD
	s_mov_b64 s[2:3], -1
	s_and_b64 vcc, exec, s[40:41]
	s_cbranch_vccz .LBB38_695
; %bb.692:
	v_bfe_u32 v1, v0, 23, 8
	s_movk_i32 s2, 0xff
	v_cmp_ne_u32_e32 vcc, s2, v1
	v_mov_b32_e32 v4, 0xff
	s_and_saveexec_b64 s[38:39], vcc
; %bb.693:
	s_mov_b32 s2, 0x3fffff
	v_and_b32_e32 v5, 0x400000, v0
	v_and_or_b32 v1, v0, s2, v1
	v_cmp_ne_u32_e32 vcc, 0, v5
	v_cmp_ne_u32_e64 s[2:3], 0, v1
	s_and_b64 s[2:3], vcc, s[2:3]
	v_lshrrev_b32_e32 v4, 23, v0
	v_cndmask_b32_e64 v1, 0, 1, s[2:3]
	v_add_u32_e32 v4, v4, v1
; %bb.694:
	s_or_b64 exec, exec, s[38:39]
	s_mov_b64 s[38:39], -1
	s_mov_b64 s[2:3], 0
	global_store_byte v[2:3], v4, off
.LBB38_695:
	s_mov_b64 s[40:41], 0
.LBB38_696:
	s_and_b64 vcc, exec, s[40:41]
	s_cbranch_vccz .LBB38_699
; %bb.697:
	v_mov_b32_e32 v1, 29
	v_cmp_eq_u16_sdwa s[40:41], s13, v1 src0_sel:BYTE_0 src1_sel:DWORD
	s_mov_b64 s[2:3], -1
	s_and_b64 vcc, exec, s[40:41]
	s_cbranch_vccz .LBB38_699
; %bb.698:
	v_trunc_f32_e32 v1, v0
	v_mul_f32_e32 v4, 0x2f800000, v1
	v_floor_f32_e32 v4, v4
	v_fmac_f32_e32 v1, 0xcf800000, v4
	v_cvt_u32_f32_e32 v5, v4
	v_cvt_u32_f32_e32 v4, v1
	s_mov_b64 s[38:39], -1
	s_mov_b64 s[2:3], 0
	s_mov_b64 s[40:41], 0
	global_store_dwordx2 v[2:3], v[4:5], off
	s_branch .LBB38_700
.LBB38_699:
	s_mov_b64 s[40:41], 0
.LBB38_700:
	s_and_b64 vcc, exec, s[40:41]
	s_cbranch_vccz .LBB38_716
; %bb.701:
	v_mov_b32_e32 v1, 27
	v_cmp_lt_i16_sdwa s[40:41], s13, v1 src0_sel:BYTE_0 src1_sel:DWORD
	s_mov_b64 s[38:39], -1
	s_and_b64 vcc, exec, s[40:41]
	s_cbranch_vccnz .LBB38_707
; %bb.702:
	v_cmp_gt_i16_sdwa s[40:41], s13, v1 src0_sel:BYTE_0 src1_sel:DWORD
	v_cvt_u32_f32_e32 v1, v0
	s_and_b64 vcc, exec, s[40:41]
	s_cbranch_vccz .LBB38_704
; %bb.703:
	s_mov_b64 s[38:39], 0
	global_store_dword v[2:3], v1, off
.LBB38_704:
	s_andn2_b64 vcc, exec, s[38:39]
	s_cbranch_vccnz .LBB38_706
; %bb.705:
	global_store_short v[2:3], v1, off
.LBB38_706:
	s_mov_b64 s[38:39], 0
.LBB38_707:
	s_andn2_b64 vcc, exec, s[38:39]
	s_cbranch_vccnz .LBB38_715
; %bb.708:
	v_and_b32_e32 v1, 0x7fffffff, v0
	s_mov_b32 s38, 0x43800000
	v_cmp_gt_u32_e32 vcc, s38, v1
	v_mov_b32_e32 v4, 0x80
	s_and_saveexec_b64 s[38:39], vcc
	s_cbranch_execz .LBB38_714
; %bb.709:
	s_mov_b32 s40, 0x3bffffff
	v_cmp_lt_u32_e32 vcc, s40, v1
	s_mov_b64 s[40:41], 0
                                        ; implicit-def: $vgpr1
	s_and_saveexec_b64 s[42:43], vcc
	s_xor_b64 s[42:43], exec, s[42:43]
	s_cbranch_execz .LBB38_815
; %bb.710:
	v_bfe_u32 v1, v0, 20, 1
	s_mov_b32 s44, 0x487ffff
	v_add3_u32 v1, v0, v1, s44
	s_mov_b64 s[40:41], exec
	v_lshrrev_b32_e32 v1, 20, v1
	s_or_saveexec_b64 s[42:43], s[42:43]
                                        ; implicit-def: $sgpr44
	s_xor_b64 exec, exec, s[42:43]
	s_cbranch_execnz .LBB38_816
.LBB38_711:
	s_or_b64 exec, exec, s[42:43]
	v_mov_b32_e32 v4, s44
	s_and_saveexec_b64 s[42:43], s[40:41]
.LBB38_712:
	v_lshrrev_b32_e32 v4, 24, v0
	s_movk_i32 s40, 0x80
	v_and_or_b32 v4, v4, s40, v1
.LBB38_713:
	s_or_b64 exec, exec, s[42:43]
.LBB38_714:
	s_or_b64 exec, exec, s[38:39]
	global_store_byte v[2:3], v4, off
.LBB38_715:
	s_mov_b64 s[38:39], -1
.LBB38_716:
	s_mov_b64 s[40:41], 0
.LBB38_717:
	s_and_b64 vcc, exec, s[40:41]
	s_cbranch_vccz .LBB38_758
; %bb.718:
	v_mov_b32_e32 v1, 22
	v_cmp_gt_i16_sdwa s[42:43], s13, v1 src0_sel:BYTE_0 src1_sel:DWORD
	s_mov_b64 s[40:41], -1
	s_and_b64 vcc, exec, s[42:43]
	s_cbranch_vccz .LBB38_750
; %bb.719:
	v_mov_b32_e32 v1, 24
	v_cmp_lt_i16_sdwa s[40:41], s13, v1 src0_sel:BYTE_0 src1_sel:DWORD
	s_mov_b64 s[38:39], -1
	s_and_b64 vcc, exec, s[40:41]
	s_cbranch_vccnz .LBB38_739
; %bb.720:
	v_cmp_gt_i16_sdwa s[40:41], s13, v1 src0_sel:BYTE_0 src1_sel:DWORD
	s_and_b64 vcc, exec, s[40:41]
	s_cbranch_vccz .LBB38_728
; %bb.721:
	v_and_b32_e32 v1, 0x7fffffff, v0
	s_mov_b32 s38, 0x47800000
	v_cmp_gt_u32_e32 vcc, s38, v1
	v_mov_b32_e32 v4, 0x80
	s_and_saveexec_b64 s[38:39], vcc
	s_cbranch_execz .LBB38_727
; %bb.722:
	s_mov_b32 s40, 0x37ffffff
	v_cmp_lt_u32_e32 vcc, s40, v1
	s_mov_b64 s[40:41], 0
                                        ; implicit-def: $vgpr1
	s_and_saveexec_b64 s[42:43], vcc
	s_xor_b64 s[42:43], exec, s[42:43]
	s_cbranch_execz .LBB38_818
; %bb.723:
	v_bfe_u32 v1, v0, 21, 1
	s_mov_b32 s44, 0x88fffff
	v_add3_u32 v1, v0, v1, s44
	s_mov_b64 s[40:41], exec
	v_lshrrev_b32_e32 v1, 21, v1
	s_or_saveexec_b64 s[42:43], s[42:43]
                                        ; implicit-def: $sgpr44
	s_xor_b64 exec, exec, s[42:43]
	s_cbranch_execnz .LBB38_819
.LBB38_724:
	s_or_b64 exec, exec, s[42:43]
	v_mov_b32_e32 v4, s44
	s_and_saveexec_b64 s[42:43], s[40:41]
.LBB38_725:
	v_lshrrev_b32_e32 v4, 24, v0
	s_movk_i32 s40, 0x80
	v_and_or_b32 v4, v4, s40, v1
.LBB38_726:
	s_or_b64 exec, exec, s[42:43]
.LBB38_727:
	s_or_b64 exec, exec, s[38:39]
	s_mov_b64 s[38:39], 0
	global_store_byte v[2:3], v4, off
.LBB38_728:
	s_and_b64 vcc, exec, s[38:39]
	s_cbranch_vccz .LBB38_738
; %bb.729:
	v_and_b32_e32 v4, 0x7fffffff, v0
	s_mov_b32 s38, 0x43f00000
	v_cmp_gt_u32_e32 vcc, s38, v4
                                        ; implicit-def: $vgpr1
	s_and_saveexec_b64 s[38:39], vcc
	s_xor_b64 s[38:39], exec, s[38:39]
	s_cbranch_execz .LBB38_735
; %bb.730:
	s_mov_b32 s40, 0x3c7fffff
	v_cmp_lt_u32_e32 vcc, s40, v4
                                        ; implicit-def: $vgpr1
	s_and_saveexec_b64 s[40:41], vcc
	s_xor_b64 s[40:41], exec, s[40:41]
; %bb.731:
	v_bfe_u32 v1, v0, 20, 1
	s_mov_b32 s42, 0x407ffff
	v_add3_u32 v1, v0, v1, s42
	v_lshrrev_b32_e32 v4, 20, v1
	v_and_b32_e32 v1, 0xff00000, v1
	s_mov_b32 s42, 0x7f00000
	v_mov_b32_e32 v5, 0x7e
	v_cmp_ne_u32_e32 vcc, s42, v1
	v_cndmask_b32_e32 v1, v5, v4, vcc
; %bb.732:
	s_andn2_saveexec_b64 s[40:41], s[40:41]
; %bb.733:
	s_mov_b32 s42, 0x46800000
	v_add_f32_e64 v1, |v0|, s42
; %bb.734:
	s_or_b64 exec, exec, s[40:41]
                                        ; implicit-def: $vgpr4
.LBB38_735:
	s_andn2_saveexec_b64 s[38:39], s[38:39]
; %bb.736:
	s_mov_b32 s40, 0x7f800000
	v_mov_b32_e32 v1, 0x7e
	v_mov_b32_e32 v5, 0x7f
	v_cmp_lt_u32_e32 vcc, s40, v4
	v_cndmask_b32_e32 v1, v1, v5, vcc
; %bb.737:
	s_or_b64 exec, exec, s[38:39]
	v_lshrrev_b32_e32 v4, 24, v0
	s_movk_i32 s38, 0x80
	v_and_or_b32 v1, v4, s38, v1
	global_store_byte v[2:3], v1, off
.LBB38_738:
	s_mov_b64 s[38:39], 0
.LBB38_739:
	s_andn2_b64 vcc, exec, s[38:39]
	s_cbranch_vccnz .LBB38_749
; %bb.740:
	v_and_b32_e32 v4, 0x7fffffff, v0
	s_mov_b32 s38, 0x47800000
	v_cmp_gt_u32_e32 vcc, s38, v4
                                        ; implicit-def: $vgpr1
	s_and_saveexec_b64 s[38:39], vcc
	s_xor_b64 s[38:39], exec, s[38:39]
	s_cbranch_execz .LBB38_746
; %bb.741:
	s_mov_b32 s40, 0x387fffff
	v_cmp_lt_u32_e32 vcc, s40, v4
                                        ; implicit-def: $vgpr1
	s_and_saveexec_b64 s[40:41], vcc
	s_xor_b64 s[40:41], exec, s[40:41]
; %bb.742:
	v_bfe_u32 v1, v0, 21, 1
	s_mov_b32 s42, 0x80fffff
	v_add3_u32 v1, v0, v1, s42
	v_lshrrev_b32_e32 v1, 21, v1
; %bb.743:
	s_andn2_saveexec_b64 s[40:41], s[40:41]
; %bb.744:
	s_mov_b32 s42, 0x43000000
	v_add_f32_e64 v1, |v0|, s42
; %bb.745:
	s_or_b64 exec, exec, s[40:41]
                                        ; implicit-def: $vgpr4
.LBB38_746:
	s_andn2_saveexec_b64 s[38:39], s[38:39]
; %bb.747:
	s_mov_b32 s40, 0x7f800000
	v_mov_b32_e32 v1, 0x7c
	v_mov_b32_e32 v5, 0x7f
	v_cmp_lt_u32_e32 vcc, s40, v4
	v_cndmask_b32_e32 v1, v1, v5, vcc
; %bb.748:
	s_or_b64 exec, exec, s[38:39]
	v_lshrrev_b32_e32 v4, 24, v0
	s_movk_i32 s38, 0x80
	v_and_or_b32 v1, v4, s38, v1
	global_store_byte v[2:3], v1, off
.LBB38_749:
	s_mov_b64 s[40:41], 0
	s_mov_b64 s[38:39], -1
.LBB38_750:
	s_andn2_b64 vcc, exec, s[40:41]
	s_cbranch_vccnz .LBB38_758
; %bb.751:
	v_mov_b32_e32 v1, 14
	v_cmp_gt_i16_sdwa s[42:43], s13, v1 src0_sel:BYTE_0 src1_sel:DWORD
	s_mov_b64 s[40:41], -1
	s_and_b64 vcc, exec, s[42:43]
	s_cbranch_vccz .LBB38_755
; %bb.752:
	v_mov_b32_e32 v1, 15
	v_cmp_eq_u16_sdwa s[40:41], s13, v1 src0_sel:BYTE_0 src1_sel:DWORD
	s_mov_b64 s[2:3], -1
	s_and_b64 vcc, exec, s[40:41]
	s_cbranch_vccz .LBB38_754
; %bb.753:
	v_bfe_u32 v1, v0, 16, 1
	s_movk_i32 s2, 0x7fff
	v_add3_u32 v1, v0, v1, s2
	v_lshrrev_b32_e32 v1, 16, v1
	v_mov_b32_e32 v4, 0x7fc0
	v_cmp_o_f32_e32 vcc, v0, v0
	v_cndmask_b32_e32 v1, v4, v1, vcc
	global_store_short v[2:3], v1, off
	s_mov_b64 s[38:39], -1
	s_mov_b64 s[2:3], 0
.LBB38_754:
	s_mov_b64 s[40:41], 0
.LBB38_755:
	s_and_b64 vcc, exec, s[40:41]
	s_cbranch_vccz .LBB38_758
; %bb.756:
	v_mov_b32_e32 v1, 11
	v_cmp_eq_u16_sdwa s[40:41], s13, v1 src0_sel:BYTE_0 src1_sel:DWORD
	s_mov_b64 s[2:3], -1
	s_and_b64 vcc, exec, s[40:41]
	s_cbranch_vccz .LBB38_758
; %bb.757:
	v_cmp_neq_f32_e32 vcc, 0, v0
	v_cndmask_b32_e64 v1, 0, 1, vcc
	s_mov_b64 s[38:39], -1
	s_mov_b64 s[2:3], 0
	global_store_byte v[2:3], v1, off
.LBB38_758:
	s_mov_b64 s[40:41], 0
.LBB38_759:
	s_and_b64 vcc, exec, s[40:41]
	s_cbranch_vccz .LBB38_798
; %bb.760:
	v_mov_b32_e32 v1, 5
	v_cmp_lt_i16_sdwa s[40:41], s13, v1 src0_sel:BYTE_0 src1_sel:DWORD
	s_mov_b64 s[38:39], -1
	s_and_b64 vcc, exec, s[40:41]
	s_cbranch_vccnz .LBB38_781
; %bb.761:
	v_mov_b32_e32 v1, 8
	v_cmp_lt_i16_sdwa s[40:41], s13, v1 src0_sel:BYTE_0 src1_sel:DWORD
	s_and_b64 vcc, exec, s[40:41]
	s_cbranch_vccnz .LBB38_771
; %bb.762:
	v_mov_b32_e32 v1, 9
	v_cmp_lt_i16_sdwa s[40:41], s13, v1 src0_sel:BYTE_0 src1_sel:DWORD
	s_and_b64 vcc, exec, s[40:41]
	s_cbranch_vccnz .LBB38_768
; %bb.763:
	v_cmp_gt_i16_sdwa s[40:41], s13, v1 src0_sel:BYTE_0 src1_sel:DWORD
	s_and_b64 vcc, exec, s[40:41]
	s_cbranch_vccz .LBB38_765
; %bb.764:
	v_mov_b32_e32 v12, 0
	v_cvt_f64_f32_e32 v[10:11], v0
	v_mov_b32_e32 v13, v12
	s_mov_b64 s[38:39], 0
	global_store_dwordx4 v[2:3], v[10:13], off
.LBB38_765:
	s_andn2_b64 vcc, exec, s[38:39]
	s_cbranch_vccnz .LBB38_767
; %bb.766:
	v_mov_b32_e32 v1, 0
	global_store_dwordx2 v[2:3], v[0:1], off
.LBB38_767:
	s_mov_b64 s[38:39], 0
.LBB38_768:
	s_andn2_b64 vcc, exec, s[38:39]
	s_cbranch_vccnz .LBB38_770
; %bb.769:
	v_cvt_f16_f32_e32 v1, v0
	global_store_dword v[2:3], v1, off
.LBB38_770:
	s_mov_b64 s[38:39], 0
.LBB38_771:
	s_andn2_b64 vcc, exec, s[38:39]
	s_cbranch_vccnz .LBB38_780
; %bb.772:
	v_mov_b32_e32 v1, 6
	v_cmp_lt_i16_sdwa s[40:41], s13, v1 src0_sel:BYTE_0 src1_sel:DWORD
	s_mov_b64 s[38:39], -1
	s_and_b64 vcc, exec, s[40:41]
	s_cbranch_vccnz .LBB38_778
; %bb.773:
	v_cmp_gt_i16_sdwa s[40:41], s13, v1 src0_sel:BYTE_0 src1_sel:DWORD
	s_and_b64 vcc, exec, s[40:41]
	s_cbranch_vccz .LBB38_775
; %bb.774:
	v_cvt_f64_f32_e32 v[4:5], v0
	s_mov_b64 s[38:39], 0
	global_store_dwordx2 v[2:3], v[4:5], off
.LBB38_775:
	s_andn2_b64 vcc, exec, s[38:39]
	s_cbranch_vccnz .LBB38_777
; %bb.776:
	global_store_dword v[2:3], v0, off
.LBB38_777:
	s_mov_b64 s[38:39], 0
.LBB38_778:
	s_andn2_b64 vcc, exec, s[38:39]
	s_cbranch_vccnz .LBB38_780
; %bb.779:
	v_cvt_f16_f32_e32 v1, v0
	global_store_short v[2:3], v1, off
.LBB38_780:
	s_mov_b64 s[38:39], 0
.LBB38_781:
	s_andn2_b64 vcc, exec, s[38:39]
	s_cbranch_vccnz .LBB38_797
; %bb.782:
	v_mov_b32_e32 v1, 2
	v_cmp_lt_i16_sdwa s[40:41], s13, v1 src0_sel:BYTE_0 src1_sel:DWORD
	s_mov_b64 s[38:39], -1
	s_and_b64 vcc, exec, s[40:41]
	s_cbranch_vccnz .LBB38_792
; %bb.783:
	v_mov_b32_e32 v1, 3
	v_cmp_lt_i16_sdwa s[40:41], s13, v1 src0_sel:BYTE_0 src1_sel:DWORD
	s_and_b64 vcc, exec, s[40:41]
	s_cbranch_vccnz .LBB38_789
; %bb.784:
	v_cmp_gt_i16_sdwa s[40:41], s13, v1 src0_sel:BYTE_0 src1_sel:DWORD
	s_and_b64 vcc, exec, s[40:41]
	s_cbranch_vccz .LBB38_786
; %bb.785:
	v_trunc_f32_e32 v1, v0
	s_mov_b32 s38, 0x2f800000
	v_mul_f32_e64 v4, |v1|, s38
	v_floor_f32_e32 v4, v4
	s_mov_b32 s38, 0xcf800000
	v_cvt_u32_f32_e32 v5, v4
	v_fma_f32 v4, v4, s38, |v1|
	v_cvt_u32_f32_e32 v4, v4
	v_ashrrev_i32_e32 v1, 31, v1
	v_xor_b32_e32 v5, v5, v1
	s_mov_b64 s[38:39], 0
	v_xor_b32_e32 v4, v4, v1
	v_sub_co_u32_e32 v4, vcc, v4, v1
	v_subb_co_u32_e32 v5, vcc, v5, v1, vcc
	global_store_dwordx2 v[2:3], v[4:5], off
.LBB38_786:
	s_andn2_b64 vcc, exec, s[38:39]
	s_cbranch_vccnz .LBB38_788
; %bb.787:
	v_cvt_i32_f32_e32 v1, v0
	global_store_dword v[2:3], v1, off
.LBB38_788:
	s_mov_b64 s[38:39], 0
.LBB38_789:
	s_andn2_b64 vcc, exec, s[38:39]
	s_cbranch_vccnz .LBB38_791
; %bb.790:
	v_cvt_i32_f32_e32 v1, v0
	global_store_short v[2:3], v1, off
.LBB38_791:
	s_mov_b64 s[38:39], 0
.LBB38_792:
	s_andn2_b64 vcc, exec, s[38:39]
	s_cbranch_vccnz .LBB38_797
; %bb.793:
	v_mov_b32_e32 v1, 0
	v_cmp_gt_i16_sdwa s[40:41], s13, v1 src0_sel:BYTE_0 src1_sel:DWORD
	s_mov_b64 s[38:39], -1
	s_and_b64 vcc, exec, s[40:41]
	s_cbranch_vccz .LBB38_795
; %bb.794:
	v_cvt_i32_f32_e32 v1, v0
	s_mov_b64 s[38:39], 0
	global_store_byte v[2:3], v1, off
.LBB38_795:
	s_andn2_b64 vcc, exec, s[38:39]
	s_cbranch_vccnz .LBB38_797
; %bb.796:
	v_trunc_f32_e32 v0, v0
	s_mov_b32 s38, 0x2f800000
	v_mul_f32_e64 v1, |v0|, s38
	v_floor_f32_e32 v1, v1
	s_mov_b32 s38, 0xcf800000
	v_fma_f32 v1, v1, s38, |v0|
	v_cvt_u32_f32_e32 v1, v1
	v_ashrrev_i32_e32 v0, 31, v0
	v_xor_b32_e32 v1, v1, v0
	v_sub_u32_e32 v0, v1, v0
	global_store_byte v[2:3], v0, off
.LBB38_797:
	s_mov_b64 s[38:39], -1
.LBB38_798:
	s_andn2_b64 vcc, exec, s[38:39]
	s_cbranch_vccnz .LBB38_800
; %bb.799:
	v_add_u32_e32 v7, 0x80, v7
	s_mov_b64 s[40:41], -1
	s_branch .LBB38_801
.LBB38_800:
	s_mov_b64 s[40:41], 0
                                        ; implicit-def: $vgpr7
.LBB38_801:
	s_andn2_b64 s[38:39], s[28:29], exec
	s_and_b64 s[2:3], s[2:3], exec
	s_or_b64 s[38:39], s[38:39], s[2:3]
	s_andn2_b64 s[2:3], s[26:27], exec
	s_and_b64 s[36:37], s[36:37], exec
	s_or_b64 s[2:3], s[2:3], s[36:37]
	s_orn2_b64 s[42:43], s[40:41], exec
.LBB38_802:
	s_or_b64 exec, exec, s[34:35]
	s_mov_b64 s[36:37], 0
	s_mov_b64 s[40:41], 0
	;; [unrolled: 1-line block ×3, first 2 shown]
                                        ; implicit-def: $vgpr0_vgpr1
                                        ; implicit-def: $vgpr5
	s_and_saveexec_b64 s[34:35], s[42:43]
	s_cbranch_execz .LBB38_887
; %bb.803:
	v_cmp_gt_i32_e32 vcc, s33, v7
	s_mov_b64 s[42:43], 0
	s_mov_b64 s[46:47], s[2:3]
	;; [unrolled: 1-line block ×3, first 2 shown]
                                        ; implicit-def: $vgpr0_vgpr1
                                        ; implicit-def: $vgpr5
	s_and_saveexec_b64 s[36:37], vcc
	s_cbranch_execz .LBB38_886
; %bb.804:
	v_mul_lo_u32 v0, v7, s15
	v_ashrrev_i32_e32 v1, 31, v0
	s_waitcnt vmcnt(0)
	v_mov_b32_e32 v2, s11
	v_add_co_u32_e32 v0, vcc, s10, v0
	v_addc_co_u32_e32 v1, vcc, v2, v1, vcc
	v_cmp_gt_i16_e32 vcc, 11, v8
	s_cbranch_vccnz .LBB38_811
; %bb.805:
	v_cmp_lt_i16_e32 vcc, 25, v8
	s_cbranch_vccz .LBB38_812
; %bb.806:
	v_cmp_lt_i16_e32 vcc, 28, v8
	s_cbranch_vccz .LBB38_813
; %bb.807:
	v_cmp_lt_i16_e32 vcc, 43, v8
	s_cbranch_vccz .LBB38_814
; %bb.808:
	v_cmp_lt_i16_e32 vcc, 45, v8
	s_cbranch_vccz .LBB38_817
; %bb.809:
	v_cmp_eq_u16_e32 vcc, 46, v8
	s_mov_b64 s[46:47], 0
	s_cbranch_vccz .LBB38_820
; %bb.810:
	global_load_dword v2, v[0:1], off
	s_mov_b64 s[44:45], -1
	s_waitcnt vmcnt(0)
	v_lshlrev_b32_e32 v5, 16, v2
	s_branch .LBB38_822
.LBB38_811:
	s_mov_b64 s[46:47], -1
                                        ; implicit-def: $vgpr5
	s_mov_b64 s[40:41], s[2:3]
	s_branch .LBB38_885
.LBB38_812:
	s_mov_b64 s[46:47], -1
	s_mov_b64 s[40:41], s[2:3]
                                        ; implicit-def: $vgpr5
	s_branch .LBB38_851
.LBB38_813:
	s_mov_b64 s[46:47], -1
	s_mov_b64 s[40:41], s[2:3]
                                        ; implicit-def: $vgpr5
	s_branch .LBB38_832
.LBB38_814:
	s_mov_b64 s[46:47], -1
	s_mov_b64 s[40:41], s[2:3]
                                        ; implicit-def: $vgpr5
	s_branch .LBB38_827
.LBB38_815:
	s_or_saveexec_b64 s[42:43], s[42:43]
                                        ; implicit-def: $sgpr44
	s_xor_b64 exec, exec, s[42:43]
	s_cbranch_execz .LBB38_711
.LBB38_816:
	s_mov_b32 s44, 0x46000000
	v_add_f32_e64 v1, |v0|, s44
	v_and_b32_e32 v1, 0xff, v1
	v_cmp_ne_u32_e32 vcc, 0, v1
	s_andn2_b64 s[40:41], s[40:41], exec
	s_and_b64 s[46:47], vcc, exec
	s_mov_b32 s44, 0
	s_or_b64 s[40:41], s[40:41], s[46:47]
	s_or_b64 exec, exec, s[42:43]
	v_mov_b32_e32 v4, s44
	s_and_saveexec_b64 s[42:43], s[40:41]
	s_cbranch_execnz .LBB38_712
	s_branch .LBB38_713
.LBB38_817:
	s_mov_b64 s[46:47], -1
	s_mov_b64 s[40:41], s[2:3]
	s_branch .LBB38_821
.LBB38_818:
	s_or_saveexec_b64 s[42:43], s[42:43]
                                        ; implicit-def: $sgpr44
	s_xor_b64 exec, exec, s[42:43]
	s_cbranch_execz .LBB38_724
.LBB38_819:
	s_mov_b32 s44, 0x42800000
	v_add_f32_e64 v1, |v0|, s44
	v_and_b32_e32 v1, 0xff, v1
	v_cmp_ne_u32_e32 vcc, 0, v1
	s_andn2_b64 s[40:41], s[40:41], exec
	s_and_b64 s[46:47], vcc, exec
	s_mov_b32 s44, 0
	s_or_b64 s[40:41], s[40:41], s[46:47]
	s_or_b64 exec, exec, s[42:43]
	v_mov_b32_e32 v4, s44
	s_and_saveexec_b64 s[42:43], s[40:41]
	s_cbranch_execnz .LBB38_725
	s_branch .LBB38_726
.LBB38_820:
	s_mov_b64 s[40:41], -1
.LBB38_821:
                                        ; implicit-def: $vgpr5
.LBB38_822:
	s_and_b64 vcc, exec, s[46:47]
	s_cbranch_vccz .LBB38_826
; %bb.823:
	v_cmp_eq_u16_e32 vcc, 44, v8
	s_cbranch_vccz .LBB38_825
; %bb.824:
	global_load_ubyte v2, v[0:1], off
	s_movk_i32 s33, 0xff
	v_mov_b32_e32 v3, 0x7f800001
	v_mov_b32_e32 v4, 0x400000
	s_mov_b64 s[40:41], 0
	s_mov_b64 s[44:45], -1
	s_waitcnt vmcnt(0)
	v_lshlrev_b32_e32 v5, 23, v2
	v_cmp_ne_u32_e32 vcc, s33, v2
	v_cndmask_b32_e32 v3, v3, v5, vcc
	v_cmp_ne_u32_e32 vcc, 0, v2
	v_cndmask_b32_e32 v5, v4, v3, vcc
	s_branch .LBB38_826
.LBB38_825:
	s_mov_b64 s[40:41], -1
                                        ; implicit-def: $vgpr5
.LBB38_826:
	s_mov_b64 s[46:47], 0
.LBB38_827:
	s_and_b64 vcc, exec, s[46:47]
	s_cbranch_vccz .LBB38_831
; %bb.828:
	v_cmp_eq_u16_e32 vcc, 29, v8
	s_cbranch_vccz .LBB38_830
; %bb.829:
	global_load_dwordx2 v[2:3], v[0:1], off
	s_mov_b64 s[40:41], 0
	s_mov_b64 s[44:45], -1
	s_mov_b64 s[46:47], 0
	s_waitcnt vmcnt(0)
	v_ffbh_u32_e32 v4, v3
	v_min_u32_e32 v4, 32, v4
	v_lshlrev_b64 v[2:3], v4, v[2:3]
	v_min_u32_e32 v2, 1, v2
	v_or_b32_e32 v2, v3, v2
	v_cvt_f32_u32_e32 v2, v2
	v_sub_u32_e32 v3, 32, v4
	v_ldexp_f32 v5, v2, v3
	s_branch .LBB38_832
.LBB38_830:
	s_mov_b64 s[40:41], -1
                                        ; implicit-def: $vgpr5
.LBB38_831:
	s_mov_b64 s[46:47], 0
.LBB38_832:
	s_and_b64 vcc, exec, s[46:47]
	s_cbranch_vccz .LBB38_850
; %bb.833:
	v_cmp_gt_i16_e32 vcc, 27, v8
	s_cbranch_vccnz .LBB38_836
; %bb.834:
	v_cmp_lt_i16_e32 vcc, 27, v8
	s_cbranch_vccz .LBB38_837
; %bb.835:
	global_load_dword v2, v[0:1], off
	s_mov_b64 s[44:45], 0
	s_waitcnt vmcnt(0)
	v_cvt_f32_u32_e32 v5, v2
	s_branch .LBB38_838
.LBB38_836:
	s_mov_b64 s[44:45], -1
                                        ; implicit-def: $vgpr5
	s_branch .LBB38_841
.LBB38_837:
	s_mov_b64 s[44:45], -1
                                        ; implicit-def: $vgpr5
.LBB38_838:
	s_andn2_b64 vcc, exec, s[44:45]
	s_cbranch_vccnz .LBB38_840
; %bb.839:
	global_load_ushort v2, v[0:1], off
	s_waitcnt vmcnt(0)
	v_cvt_f32_u32_e32 v5, v2
.LBB38_840:
	s_mov_b64 s[44:45], 0
.LBB38_841:
	s_andn2_b64 vcc, exec, s[44:45]
	s_cbranch_vccnz .LBB38_849
; %bb.842:
	global_load_ubyte v2, v[0:1], off
	s_movk_i32 s33, 0x7f
	s_mov_b64 s[44:45], 0
	s_waitcnt vmcnt(0)
	v_cmp_lt_i16_e32 vcc, s33, v2
                                        ; implicit-def: $sgpr33
	s_and_saveexec_b64 s[46:47], vcc
	s_xor_b64 s[46:47], exec, s[46:47]
	s_cbranch_execz .LBB38_863
; %bb.843:
	s_movk_i32 s33, 0x80
	v_cmp_eq_u16_e32 vcc, s33, v2
	s_mov_b64 s[44:45], -1
                                        ; implicit-def: $sgpr33
	s_and_saveexec_b64 s[48:49], vcc
; %bb.844:
	s_mov_b32 s33, 0x7f800001
	s_xor_b64 s[44:45], exec, -1
; %bb.845:
	s_or_b64 exec, exec, s[48:49]
	s_and_b64 s[44:45], s[44:45], exec
	s_or_saveexec_b64 s[46:47], s[46:47]
	v_mov_b32_e32 v5, s33
	s_xor_b64 exec, exec, s[46:47]
	s_cbranch_execnz .LBB38_864
.LBB38_846:
	s_or_b64 exec, exec, s[46:47]
	s_and_saveexec_b64 s[46:47], s[44:45]
	s_cbranch_execz .LBB38_848
.LBB38_847:
	v_lshlrev_b32_e32 v3, 24, v2
	v_and_b32_e32 v2, 0xffff, v2
	v_and_b32_e32 v4, 7, v2
	v_ffbh_u32_e32 v6, v4
	v_min_u32_e32 v6, 32, v6
	v_subrev_u32_e32 v9, 28, v6
	v_bfe_u32 v5, v2, 3, 4
	v_lshlrev_b32_e32 v2, v9, v2
	v_sub_u32_e32 v6, 29, v6
	v_and_b32_e32 v2, 7, v2
	v_cmp_eq_u32_e32 vcc, 0, v5
	v_cndmask_b32_e32 v5, v5, v6, vcc
	v_cndmask_b32_e32 v2, v4, v2, vcc
	v_mov_b32_e32 v4, 0x3b800000
	v_lshlrev_b32_e32 v2, 20, v2
	v_and_b32_e32 v3, 0x80000000, v3
	v_lshl_add_u32 v4, v5, 23, v4
	v_or3_b32 v5, v3, v4, v2
.LBB38_848:
	s_or_b64 exec, exec, s[46:47]
.LBB38_849:
	s_mov_b64 s[44:45], -1
.LBB38_850:
	s_mov_b64 s[46:47], 0
.LBB38_851:
	s_and_b64 vcc, exec, s[46:47]
	s_cbranch_vccz .LBB38_884
; %bb.852:
	v_cmp_lt_i16_e32 vcc, 22, v8
	s_cbranch_vccz .LBB38_862
; %bb.853:
	v_cmp_gt_i16_e32 vcc, 24, v8
	s_cbranch_vccnz .LBB38_865
; %bb.854:
	v_cmp_lt_i16_e32 vcc, 24, v8
	s_cbranch_vccz .LBB38_866
; %bb.855:
	global_load_ubyte v2, v[0:1], off
	s_movk_i32 s33, 0x7f
	s_waitcnt vmcnt(0)
	v_cmp_lt_i16_e32 vcc, s33, v2
                                        ; implicit-def: $sgpr33
	s_and_saveexec_b64 s[44:45], vcc
	s_xor_b64 s[44:45], exec, s[44:45]
	s_cbranch_execz .LBB38_878
; %bb.856:
	s_movk_i32 s33, 0x80
	v_cmp_eq_u16_e32 vcc, s33, v2
	s_mov_b64 s[42:43], -1
                                        ; implicit-def: $sgpr33
	s_and_saveexec_b64 s[46:47], vcc
; %bb.857:
	s_mov_b32 s33, 0x7f800001
	s_xor_b64 s[42:43], exec, -1
; %bb.858:
	s_or_b64 exec, exec, s[46:47]
	s_and_b64 s[42:43], s[42:43], exec
	s_or_saveexec_b64 s[44:45], s[44:45]
	v_mov_b32_e32 v5, s33
	s_xor_b64 exec, exec, s[44:45]
	s_cbranch_execnz .LBB38_879
.LBB38_859:
	s_or_b64 exec, exec, s[44:45]
	s_and_saveexec_b64 s[44:45], s[42:43]
	s_cbranch_execz .LBB38_861
.LBB38_860:
	v_lshlrev_b32_e32 v3, 24, v2
	v_and_b32_e32 v2, 0xffff, v2
	v_and_b32_e32 v4, 3, v2
	v_ffbh_u32_e32 v6, v4
	v_min_u32_e32 v6, 32, v6
	v_subrev_u32_e32 v9, 29, v6
	v_bfe_u32 v5, v2, 2, 5
	v_lshlrev_b32_e32 v2, v9, v2
	v_sub_u32_e32 v6, 30, v6
	v_and_b32_e32 v2, 3, v2
	v_cmp_eq_u32_e32 vcc, 0, v5
	v_cndmask_b32_e32 v5, v5, v6, vcc
	v_cndmask_b32_e32 v2, v4, v2, vcc
	v_mov_b32_e32 v4, 0x37800000
	v_lshlrev_b32_e32 v2, 21, v2
	v_and_b32_e32 v3, 0x80000000, v3
	v_lshl_add_u32 v4, v5, 23, v4
	v_or3_b32 v5, v3, v4, v2
.LBB38_861:
	s_or_b64 exec, exec, s[44:45]
	s_mov_b64 s[42:43], 0
	s_branch .LBB38_867
.LBB38_862:
	s_mov_b64 s[42:43], -1
                                        ; implicit-def: $vgpr5
	s_branch .LBB38_873
.LBB38_863:
	s_or_saveexec_b64 s[46:47], s[46:47]
	v_mov_b32_e32 v5, s33
	s_xor_b64 exec, exec, s[46:47]
	s_cbranch_execz .LBB38_846
.LBB38_864:
	v_cmp_ne_u16_e32 vcc, 0, v2
	s_andn2_b64 s[44:45], s[44:45], exec
	s_and_b64 s[48:49], vcc, exec
	v_mov_b32_e32 v5, 0
	s_or_b64 s[44:45], s[44:45], s[48:49]
	s_or_b64 exec, exec, s[46:47]
	s_and_saveexec_b64 s[46:47], s[44:45]
	s_cbranch_execnz .LBB38_847
	s_branch .LBB38_848
.LBB38_865:
	s_mov_b64 s[42:43], -1
                                        ; implicit-def: $vgpr5
	s_branch .LBB38_870
.LBB38_866:
	s_mov_b64 s[42:43], -1
                                        ; implicit-def: $vgpr5
.LBB38_867:
	s_and_b64 vcc, exec, s[42:43]
	s_cbranch_vccz .LBB38_869
; %bb.868:
	global_load_ubyte v2, v[0:1], off
	s_mov_b32 s33, 0x7f800000
	s_waitcnt vmcnt(0)
	v_lshlrev_b32_e32 v2, 24, v2
	v_and_b32_e32 v3, 0x7f000000, v2
	v_ffbh_u32_e32 v4, v3
	v_min_u32_e32 v4, 32, v4
	v_sub_u32_e64 v4, v4, 4 clamp
	v_lshlrev_b32_e32 v6, v4, v3
	v_lshlrev_b32_e32 v4, 23, v4
	v_lshrrev_b32_e32 v6, 4, v6
	v_add_u32_e32 v5, 0x1000000, v3
	v_sub_u32_e32 v4, v6, v4
	v_ashrrev_i32_e32 v5, 8, v5
	v_add_u32_e32 v4, 0x3c000000, v4
	v_and_or_b32 v4, v5, s33, v4
	v_cmp_ne_u32_e32 vcc, 0, v3
	v_cndmask_b32_e32 v3, 0, v4, vcc
	s_brev_b32 s33, 1
	v_and_or_b32 v5, v2, s33, v3
.LBB38_869:
	s_mov_b64 s[42:43], 0
.LBB38_870:
	s_andn2_b64 vcc, exec, s[42:43]
	s_cbranch_vccnz .LBB38_872
; %bb.871:
	global_load_ubyte v2, v[0:1], off
	s_movk_i32 s33, 0x7f00
	s_brev_b32 s42, 16
	s_waitcnt vmcnt(0)
	v_lshlrev_b16_e32 v3, 8, v2
	v_lshlrev_b32_e32 v2, 25, v2
	v_lshrrev_b32_e32 v4, 4, v2
	v_and_or_b32 v5, v3, s33, 0.5
	v_or_b32_e32 v4, 0x70000000, v4
	v_add_f32_e32 v5, -0.5, v5
	v_mul_f32_e32 v4, 0x7800000, v4
	v_cmp_gt_u32_e32 vcc, s42, v2
	v_bfe_i32 v3, v3, 0, 16
	v_cndmask_b32_e32 v2, v4, v5, vcc
	s_brev_b32 s33, 1
	v_and_or_b32 v5, v3, s33, v2
.LBB38_872:
	s_mov_b64 s[42:43], 0
	s_mov_b64 s[44:45], -1
.LBB38_873:
	s_andn2_b64 vcc, exec, s[42:43]
	s_mov_b64 s[42:43], 0
	s_cbranch_vccnz .LBB38_884
; %bb.874:
	v_cmp_lt_i16_e32 vcc, 14, v8
	s_cbranch_vccz .LBB38_877
; %bb.875:
	v_cmp_eq_u16_e32 vcc, 15, v8
	s_cbranch_vccz .LBB38_880
; %bb.876:
	global_load_ushort v2, v[0:1], off
	s_mov_b64 s[40:41], 0
	s_mov_b64 s[44:45], -1
	s_waitcnt vmcnt(0)
	v_lshlrev_b32_e32 v5, 16, v2
	s_branch .LBB38_881
.LBB38_877:
	s_mov_b64 s[46:47], -1
                                        ; implicit-def: $vgpr5
	s_branch .LBB38_882
.LBB38_878:
	s_or_saveexec_b64 s[44:45], s[44:45]
	v_mov_b32_e32 v5, s33
	s_xor_b64 exec, exec, s[44:45]
	s_cbranch_execz .LBB38_859
.LBB38_879:
	v_cmp_ne_u16_e32 vcc, 0, v2
	s_andn2_b64 s[42:43], s[42:43], exec
	s_and_b64 s[46:47], vcc, exec
	v_mov_b32_e32 v5, 0
	s_or_b64 s[42:43], s[42:43], s[46:47]
	s_or_b64 exec, exec, s[44:45]
	s_and_saveexec_b64 s[44:45], s[42:43]
	s_cbranch_execnz .LBB38_860
	s_branch .LBB38_861
.LBB38_880:
	s_mov_b64 s[40:41], -1
                                        ; implicit-def: $vgpr5
.LBB38_881:
	s_mov_b64 s[46:47], 0
.LBB38_882:
	s_and_b64 vcc, exec, s[46:47]
	s_cbranch_vccz .LBB38_884
; %bb.883:
	v_cmp_ne_u16_e32 vcc, 11, v8
	s_andn2_b64 s[40:41], s[40:41], exec
	s_and_b64 s[46:47], vcc, exec
	s_mov_b64 s[42:43], -1
	s_or_b64 s[40:41], s[40:41], s[46:47]
                                        ; implicit-def: $vgpr5
.LBB38_884:
	s_mov_b64 s[46:47], 0
.LBB38_885:
	s_and_b64 s[48:49], s[46:47], exec
	s_andn2_b64 s[46:47], s[2:3], exec
	s_and_b64 s[40:41], s[40:41], exec
	s_and_b64 s[44:45], s[44:45], exec
	;; [unrolled: 1-line block ×3, first 2 shown]
	s_or_b64 s[46:47], s[46:47], s[40:41]
.LBB38_886:
	s_or_b64 exec, exec, s[36:37]
	s_and_b64 s[36:37], s[42:43], exec
	s_andn2_b64 s[2:3], s[2:3], exec
	s_and_b64 s[42:43], s[46:47], exec
	s_and_b64 s[44:45], s[44:45], exec
	;; [unrolled: 1-line block ×3, first 2 shown]
	s_or_b64 s[2:3], s[2:3], s[42:43]
.LBB38_887:
	s_or_b64 exec, exec, s[34:35]
	s_andn2_b64 s[28:29], s[28:29], exec
	s_and_b64 s[34:35], s[38:39], exec
	s_andn2_b64 s[26:27], s[26:27], exec
	s_and_b64 s[2:3], s[2:3], exec
	s_or_b64 s[28:29], s[28:29], s[34:35]
	s_and_b64 s[38:39], s[44:45], exec
	s_and_b64 s[34:35], s[40:41], exec
	;; [unrolled: 1-line block ×3, first 2 shown]
	s_or_b64 s[26:27], s[26:27], s[2:3]
.LBB38_888:
	s_or_b64 exec, exec, s[30:31]
	s_andn2_b64 s[2:3], s[20:21], exec
	s_and_b64 s[20:21], s[28:29], exec
	s_or_b64 s[20:21], s[2:3], s[20:21]
	s_andn2_b64 s[2:3], s[22:23], exec
	s_and_b64 s[22:23], s[26:27], exec
	s_and_b64 s[30:31], s[38:39], exec
	;; [unrolled: 1-line block ×4, first 2 shown]
	s_or_b64 s[22:23], s[2:3], s[22:23]
	s_or_b64 exec, exec, s[24:25]
	s_mov_b64 s[2:3], 0
	s_and_saveexec_b64 s[24:25], s[22:23]
	s_cbranch_execz .LBB38_272
.LBB38_889:
	s_mov_b64 s[2:3], exec
	s_andn2_b64 s[28:29], s[28:29], exec
	s_trap 2
                                        ; implicit-def: $vgpr5
	s_or_b64 exec, exec, s[24:25]
	s_and_saveexec_b64 s[22:23], s[28:29]
	s_xor_b64 s[22:23], exec, s[22:23]
	s_cbranch_execnz .LBB38_273
.LBB38_890:
	s_or_b64 exec, exec, s[22:23]
	s_and_saveexec_b64 s[22:23], s[34:35]
	s_cbranch_execz .LBB38_936
.LBB38_891:
	v_cmp_gt_i16_e32 vcc, 5, v8
	s_cbranch_vccnz .LBB38_896
; %bb.892:
	v_cmp_gt_i16_e32 vcc, 8, v8
	s_cbranch_vccnz .LBB38_897
; %bb.893:
	;; [unrolled: 3-line block ×3, first 2 shown]
	v_cmp_lt_i16_e32 vcc, 9, v8
	s_cbranch_vccz .LBB38_899
; %bb.895:
	global_load_dwordx2 v[2:3], v[0:1], off
	s_mov_b64 s[24:25], 0
	s_waitcnt vmcnt(0)
	v_cvt_f32_f64_e32 v5, v[2:3]
	s_branch .LBB38_900
.LBB38_896:
                                        ; implicit-def: $vgpr5
	s_branch .LBB38_917
.LBB38_897:
                                        ; implicit-def: $vgpr5
	s_branch .LBB38_906
.LBB38_898:
	s_mov_b64 s[24:25], -1
                                        ; implicit-def: $vgpr5
	s_branch .LBB38_903
.LBB38_899:
	s_mov_b64 s[24:25], -1
                                        ; implicit-def: $vgpr5
.LBB38_900:
	s_andn2_b64 vcc, exec, s[24:25]
	s_cbranch_vccnz .LBB38_902
; %bb.901:
	global_load_dword v5, v[0:1], off
.LBB38_902:
	s_mov_b64 s[24:25], 0
.LBB38_903:
	s_andn2_b64 vcc, exec, s[24:25]
	s_cbranch_vccnz .LBB38_905
; %bb.904:
	global_load_dword v2, v[0:1], off
	s_waitcnt vmcnt(0)
	v_cvt_f32_f16_e32 v5, v2
.LBB38_905:
	s_cbranch_execnz .LBB38_916
.LBB38_906:
	v_cmp_gt_i16_e32 vcc, 6, v8
	s_cbranch_vccnz .LBB38_909
; %bb.907:
	v_cmp_lt_i16_e32 vcc, 6, v8
	s_cbranch_vccz .LBB38_910
; %bb.908:
	global_load_dwordx2 v[2:3], v[0:1], off
	s_mov_b64 s[24:25], 0
	s_waitcnt vmcnt(0)
	v_cvt_f32_f64_e32 v5, v[2:3]
	s_branch .LBB38_911
.LBB38_909:
	s_mov_b64 s[24:25], -1
                                        ; implicit-def: $vgpr5
	s_branch .LBB38_914
.LBB38_910:
	s_mov_b64 s[24:25], -1
                                        ; implicit-def: $vgpr5
.LBB38_911:
	s_andn2_b64 vcc, exec, s[24:25]
	s_cbranch_vccnz .LBB38_913
; %bb.912:
	global_load_dword v5, v[0:1], off
.LBB38_913:
	s_mov_b64 s[24:25], 0
.LBB38_914:
	s_andn2_b64 vcc, exec, s[24:25]
	s_cbranch_vccnz .LBB38_916
; %bb.915:
	global_load_ushort v2, v[0:1], off
	s_waitcnt vmcnt(0)
	v_cvt_f32_f16_e32 v5, v2
.LBB38_916:
	s_cbranch_execnz .LBB38_935
.LBB38_917:
	v_cmp_gt_i16_e32 vcc, 2, v8
	s_cbranch_vccnz .LBB38_921
; %bb.918:
	v_cmp_gt_i16_e32 vcc, 3, v8
	s_cbranch_vccnz .LBB38_922
; %bb.919:
	v_cmp_lt_i16_e32 vcc, 3, v8
	s_cbranch_vccz .LBB38_923
; %bb.920:
	global_load_dwordx2 v[2:3], v[0:1], off
	s_mov_b64 s[24:25], 0
	s_waitcnt vmcnt(0)
	v_xor_b32_e32 v5, v2, v3
	v_ffbh_i32_e32 v4, v3
	v_ashrrev_i32_e32 v5, 31, v5
	v_add_u32_e32 v4, -1, v4
	v_add_u32_e32 v5, 32, v5
	v_min_u32_e32 v4, v4, v5
	v_lshlrev_b64 v[2:3], v4, v[2:3]
	v_min_u32_e32 v2, 1, v2
	v_or_b32_e32 v2, v3, v2
	v_cvt_f32_i32_e32 v2, v2
	v_sub_u32_e32 v3, 32, v4
	v_ldexp_f32 v5, v2, v3
	s_branch .LBB38_924
.LBB38_921:
                                        ; implicit-def: $vgpr5
	s_branch .LBB38_930
.LBB38_922:
	s_mov_b64 s[24:25], -1
                                        ; implicit-def: $vgpr5
	s_branch .LBB38_927
.LBB38_923:
	s_mov_b64 s[24:25], -1
                                        ; implicit-def: $vgpr5
.LBB38_924:
	s_andn2_b64 vcc, exec, s[24:25]
	s_cbranch_vccnz .LBB38_926
; %bb.925:
	global_load_dword v2, v[0:1], off
	s_waitcnt vmcnt(0)
	v_cvt_f32_i32_e32 v5, v2
.LBB38_926:
	s_mov_b64 s[24:25], 0
.LBB38_927:
	s_andn2_b64 vcc, exec, s[24:25]
	s_cbranch_vccnz .LBB38_929
; %bb.928:
	global_load_sshort v2, v[0:1], off
	s_waitcnt vmcnt(0)
	v_cvt_f32_i32_e32 v5, v2
.LBB38_929:
	s_cbranch_execnz .LBB38_935
.LBB38_930:
	v_cmp_lt_i16_e32 vcc, 0, v8
	s_cbranch_vccz .LBB38_932
; %bb.931:
	global_load_sbyte v2, v[0:1], off
	s_mov_b64 s[24:25], 0
	s_waitcnt vmcnt(0)
	v_cvt_f32_i32_e32 v5, v2
	s_branch .LBB38_933
.LBB38_932:
	s_mov_b64 s[24:25], -1
                                        ; implicit-def: $vgpr5
.LBB38_933:
	s_andn2_b64 vcc, exec, s[24:25]
	s_cbranch_vccnz .LBB38_935
; %bb.934:
	global_load_ubyte v0, v[0:1], off
	s_waitcnt vmcnt(0)
	v_cvt_f32_ubyte0_e32 v5, v0
.LBB38_935:
	s_or_b64 s[30:31], s[30:31], exec
.LBB38_936:
	s_or_b64 exec, exec, s[22:23]
	s_mov_b64 s[26:27], 0
	s_mov_b64 s[24:25], 0
                                        ; implicit-def: $vgpr4
                                        ; implicit-def: $vgpr2_vgpr3
                                        ; implicit-def: $vgpr0
	s_and_saveexec_b64 s[22:23], s[30:31]
	s_cbranch_execz .LBB38_944
; %bb.937:
	s_andn2_b64 vcc, exec, s[18:19]
	v_mov_b32_e32 v0, 0
	s_cbranch_vccnz .LBB38_950
; %bb.938:
	v_cmp_lt_i64_e64 s[18:19], s[16:17], 1
	s_and_b64 vcc, exec, s[18:19]
	v_mov_b32_e32 v0, 1.0
	s_cbranch_vccnz .LBB38_950
; %bb.939:
	s_cmp_lg_u64 s[16:17], 1
	s_cbranch_scc0 .LBB38_947
; %bb.940:
	s_andn2_b64 vcc, exec, s[0:1]
	v_mov_b32_e32 v0, 0x7fc00000
	s_cbranch_vccnz .LBB38_943
; %bb.941:
	s_mov_b64 s[0:1], 1
	v_mov_b32_e32 v1, 1.0
	s_waitcnt vmcnt(0)
	v_mov_b32_e32 v0, v5
.LBB38_942:                             ; =>This Inner Loop Header: Depth=1
	s_flbit_i32_b32 s18, s1
	s_min_u32 s24, s18, 32
	s_lshl_b64 s[18:19], s[0:1], s24
	s_min_u32 s18, s18, 1
	s_or_b32 s18, s19, s18
	v_cvt_f32_u32_e32 v2, s18
	s_sub_i32 s24, 32, s24
	s_add_u32 s0, s0, 1
	s_addc_u32 s1, s1, 0
	v_ldexp_f32 v2, v2, s24
	v_mul_f32_e32 v2, v1, v2
	s_cmp_lg_u64 s[16:17], s[0:1]
	v_mov_b32_e32 v1, v0
	v_fma_f32 v0, v5, v0, -v2
	s_cbranch_scc1 .LBB38_942
.LBB38_943:
	s_mov_b64 s[0:1], 0
	s_branch .LBB38_948
.LBB38_944:
	s_or_b64 exec, exec, s[22:23]
	s_and_saveexec_b64 s[0:1], s[20:21]
	s_cbranch_execnz .LBB38_1027
.LBB38_945:
	s_or_b64 exec, exec, s[0:1]
	s_and_saveexec_b64 s[0:1], s[26:27]
	s_xor_b64 s[0:1], exec, s[0:1]
	s_cbranch_execz .LBB38_1028
.LBB38_946:
	v_cmp_neq_f32_e32 vcc, 0, v0
	v_cndmask_b32_e64 v1, 0, 1, vcc
	s_waitcnt vmcnt(0)
	global_store_byte v[2:3], v1, off
	s_or_b64 exec, exec, s[0:1]
	s_and_saveexec_b64 s[0:1], s[24:25]
	s_xor_b64 s[0:1], exec, s[0:1]
	s_cbranch_execz .LBB38_1066
	s_branch .LBB38_1029
.LBB38_947:
	s_mov_b64 s[0:1], -1
                                        ; implicit-def: $vgpr0
.LBB38_948:
	s_andn2_b64 vcc, exec, s[0:1]
	s_cbranch_vccnz .LBB38_950
; %bb.949:
	s_waitcnt vmcnt(0)
	v_mov_b32_e32 v0, v5
.LBB38_950:
	v_mul_lo_u32 v1, v7, s14
	v_ashrrev_i32_e32 v3, 31, v1
	v_mov_b32_e32 v4, s9
	s_waitcnt vmcnt(0)
	v_add_co_u32_e32 v2, vcc, s8, v1
	v_mov_b32_e32 v1, 0xff
	v_addc_co_u32_e32 v3, vcc, v4, v3, vcc
	v_and_b32_e32 v4, s13, v1
	v_cmp_gt_i16_e32 vcc, 11, v4
	s_cbranch_vccnz .LBB38_967
; %bb.951:
	v_cmp_lt_i16_e32 vcc, 25, v4
	s_mov_b64 s[18:19], -1
	s_mov_b64 s[0:1], s[20:21]
	s_cbranch_vccz .LBB38_985
; %bb.952:
	v_cmp_lt_i16_e32 vcc, 28, v4
	s_mov_b64 s[16:17], -1
	s_mov_b64 s[0:1], s[20:21]
	s_cbranch_vccz .LBB38_969
; %bb.953:
	v_cmp_lt_i16_e32 vcc, 43, v4
	s_mov_b64 s[0:1], s[20:21]
	s_cbranch_vccz .LBB38_964
; %bb.954:
	v_cmp_lt_i16_e32 vcc, 45, v4
	s_mov_b64 s[0:1], s[20:21]
	s_cbranch_vccz .LBB38_958
; %bb.955:
	v_cmp_eq_u16_e32 vcc, 46, v4
	s_mov_b64 s[0:1], -1
	s_cbranch_vccz .LBB38_957
; %bb.956:
	v_bfe_u32 v1, v0, 16, 1
	s_movk_i32 s0, 0x7fff
	v_add3_u32 v1, v0, v1, s0
	v_lshrrev_b32_e32 v1, 16, v1
	v_mov_b32_e32 v5, 0x7fc0
	v_cmp_o_f32_e32 vcc, v0, v0
	v_cndmask_b32_e32 v1, v5, v1, vcc
	global_store_dword v[2:3], v1, off
	s_mov_b64 s[0:1], 0
.LBB38_957:
	s_mov_b64 s[16:17], 0
.LBB38_958:
	s_and_b64 vcc, exec, s[16:17]
	s_cbranch_vccz .LBB38_963
; %bb.959:
	v_cmp_eq_u16_e32 vcc, 44, v4
	s_mov_b64 s[0:1], -1
	s_cbranch_vccz .LBB38_963
; %bb.960:
	v_bfe_u32 v1, v0, 23, 8
	s_movk_i32 s0, 0xff
	v_cmp_ne_u32_e32 vcc, s0, v1
	v_mov_b32_e32 v5, 0xff
	s_and_saveexec_b64 s[16:17], vcc
; %bb.961:
	s_mov_b32 s0, 0x3fffff
	v_and_b32_e32 v6, 0x400000, v0
	v_and_or_b32 v1, v0, s0, v1
	v_cmp_ne_u32_e32 vcc, 0, v6
	v_cmp_ne_u32_e64 s[0:1], 0, v1
	s_and_b64 s[0:1], vcc, s[0:1]
	v_lshrrev_b32_e32 v5, 23, v0
	v_cndmask_b32_e64 v1, 0, 1, s[0:1]
	v_add_u32_e32 v5, v5, v1
; %bb.962:
	s_or_b64 exec, exec, s[16:17]
	s_mov_b64 s[0:1], 0
	global_store_byte v[2:3], v5, off
.LBB38_963:
	s_mov_b64 s[16:17], 0
.LBB38_964:
	s_and_b64 vcc, exec, s[16:17]
	s_cbranch_vccz .LBB38_968
; %bb.965:
	v_cmp_eq_u16_e32 vcc, 29, v4
	s_mov_b64 s[0:1], -1
	s_cbranch_vccz .LBB38_968
; %bb.966:
	v_trunc_f32_e32 v1, v0
	v_mul_f32_e32 v5, 0x2f800000, v1
	v_floor_f32_e32 v5, v5
	v_fmac_f32_e32 v1, 0xcf800000, v5
	v_cvt_u32_f32_e32 v7, v5
	v_cvt_u32_f32_e32 v6, v1
	s_mov_b64 s[0:1], 0
	s_mov_b64 s[16:17], 0
	global_store_dwordx2 v[2:3], v[6:7], off
	s_branch .LBB38_969
.LBB38_967:
	s_mov_b64 s[18:19], 0
	s_mov_b64 s[16:17], -1
	s_mov_b64 s[0:1], s[20:21]
	s_branch .LBB38_1026
.LBB38_968:
	s_mov_b64 s[16:17], 0
.LBB38_969:
	s_and_b64 vcc, exec, s[16:17]
	s_cbranch_vccz .LBB38_984
; %bb.970:
	v_cmp_gt_i16_e32 vcc, 27, v4
	s_mov_b64 s[16:17], -1
	s_cbranch_vccnz .LBB38_976
; %bb.971:
	v_cvt_u32_f32_e32 v1, v0
	v_cmp_lt_i16_e32 vcc, 27, v4
	s_cbranch_vccz .LBB38_973
; %bb.972:
	s_mov_b64 s[16:17], 0
	global_store_dword v[2:3], v1, off
.LBB38_973:
	s_andn2_b64 vcc, exec, s[16:17]
	s_cbranch_vccnz .LBB38_975
; %bb.974:
	global_store_short v[2:3], v1, off
.LBB38_975:
	s_mov_b64 s[16:17], 0
.LBB38_976:
	s_andn2_b64 vcc, exec, s[16:17]
	s_cbranch_vccnz .LBB38_984
; %bb.977:
	v_and_b32_e32 v1, 0x7fffffff, v0
	s_mov_b32 s16, 0x43800000
	v_cmp_gt_u32_e32 vcc, s16, v1
	v_mov_b32_e32 v5, 0x80
	s_and_saveexec_b64 s[16:17], vcc
	s_cbranch_execz .LBB38_983
; %bb.978:
	s_mov_b32 s18, 0x3bffffff
	v_cmp_lt_u32_e32 vcc, s18, v1
	s_mov_b64 s[18:19], 0
                                        ; implicit-def: $vgpr1
	s_and_saveexec_b64 s[24:25], vcc
	s_xor_b64 s[24:25], exec, s[24:25]
	s_cbranch_execz .LBB38_1081
; %bb.979:
	v_bfe_u32 v1, v0, 20, 1
	s_mov_b32 s26, 0x487ffff
	v_add3_u32 v1, v0, v1, s26
	s_mov_b64 s[18:19], exec
	v_lshrrev_b32_e32 v1, 20, v1
	s_or_saveexec_b64 s[24:25], s[24:25]
                                        ; implicit-def: $sgpr26
	s_xor_b64 exec, exec, s[24:25]
	s_cbranch_execnz .LBB38_1082
.LBB38_980:
	s_or_b64 exec, exec, s[24:25]
	v_mov_b32_e32 v5, s26
	s_and_saveexec_b64 s[24:25], s[18:19]
.LBB38_981:
	v_lshrrev_b32_e32 v5, 24, v0
	s_movk_i32 s18, 0x80
	v_and_or_b32 v5, v5, s18, v1
.LBB38_982:
	s_or_b64 exec, exec, s[24:25]
.LBB38_983:
	s_or_b64 exec, exec, s[16:17]
	global_store_byte v[2:3], v5, off
.LBB38_984:
	s_mov_b64 s[18:19], 0
.LBB38_985:
	s_mov_b64 s[16:17], 0
	s_and_b64 vcc, exec, s[18:19]
	s_cbranch_vccz .LBB38_1025
; %bb.986:
	v_cmp_lt_i16_e32 vcc, 22, v4
	s_mov_b64 s[18:19], -1
	s_cbranch_vccz .LBB38_1018
; %bb.987:
	v_cmp_gt_i16_e32 vcc, 24, v4
	s_cbranch_vccnz .LBB38_1007
; %bb.988:
	v_cmp_lt_i16_e32 vcc, 24, v4
	s_cbranch_vccz .LBB38_996
; %bb.989:
	v_and_b32_e32 v1, 0x7fffffff, v0
	s_mov_b32 s18, 0x47800000
	v_cmp_gt_u32_e32 vcc, s18, v1
	v_mov_b32_e32 v5, 0x80
	s_and_saveexec_b64 s[18:19], vcc
	s_cbranch_execz .LBB38_995
; %bb.990:
	s_mov_b32 s24, 0x37ffffff
	v_cmp_lt_u32_e32 vcc, s24, v1
	s_mov_b64 s[24:25], 0
                                        ; implicit-def: $vgpr1
	s_and_saveexec_b64 s[26:27], vcc
	s_xor_b64 s[26:27], exec, s[26:27]
	s_cbranch_execz .LBB38_1216
; %bb.991:
	v_bfe_u32 v1, v0, 21, 1
	s_mov_b32 s28, 0x88fffff
	v_add3_u32 v1, v0, v1, s28
	s_mov_b64 s[24:25], exec
	v_lshrrev_b32_e32 v1, 21, v1
	s_or_saveexec_b64 s[26:27], s[26:27]
                                        ; implicit-def: $sgpr28
	s_xor_b64 exec, exec, s[26:27]
	s_cbranch_execnz .LBB38_1217
.LBB38_992:
	s_or_b64 exec, exec, s[26:27]
	v_mov_b32_e32 v5, s28
	s_and_saveexec_b64 s[26:27], s[24:25]
.LBB38_993:
	v_lshrrev_b32_e32 v5, 24, v0
	s_movk_i32 s24, 0x80
	v_and_or_b32 v5, v5, s24, v1
.LBB38_994:
	s_or_b64 exec, exec, s[26:27]
.LBB38_995:
	s_or_b64 exec, exec, s[18:19]
	s_mov_b64 s[18:19], 0
	global_store_byte v[2:3], v5, off
.LBB38_996:
	s_and_b64 vcc, exec, s[18:19]
	s_cbranch_vccz .LBB38_1006
; %bb.997:
	v_and_b32_e32 v5, 0x7fffffff, v0
	s_mov_b32 s18, 0x43f00000
	v_cmp_gt_u32_e32 vcc, s18, v5
                                        ; implicit-def: $vgpr1
	s_and_saveexec_b64 s[18:19], vcc
	s_xor_b64 s[18:19], exec, s[18:19]
	s_cbranch_execz .LBB38_1003
; %bb.998:
	s_mov_b32 s24, 0x3c7fffff
	v_cmp_lt_u32_e32 vcc, s24, v5
                                        ; implicit-def: $vgpr1
	s_and_saveexec_b64 s[24:25], vcc
	s_xor_b64 s[24:25], exec, s[24:25]
; %bb.999:
	v_bfe_u32 v1, v0, 20, 1
	s_mov_b32 s26, 0x407ffff
	v_add3_u32 v1, v0, v1, s26
	v_lshrrev_b32_e32 v5, 20, v1
	v_and_b32_e32 v1, 0xff00000, v1
	s_mov_b32 s26, 0x7f00000
	v_mov_b32_e32 v6, 0x7e
	v_cmp_ne_u32_e32 vcc, s26, v1
	v_cndmask_b32_e32 v1, v6, v5, vcc
; %bb.1000:
	s_andn2_saveexec_b64 s[24:25], s[24:25]
; %bb.1001:
	s_mov_b32 s26, 0x46800000
	v_add_f32_e64 v1, |v0|, s26
; %bb.1002:
	s_or_b64 exec, exec, s[24:25]
                                        ; implicit-def: $vgpr5
.LBB38_1003:
	s_andn2_saveexec_b64 s[18:19], s[18:19]
; %bb.1004:
	s_mov_b32 s24, 0x7f800000
	v_mov_b32_e32 v1, 0x7e
	v_mov_b32_e32 v6, 0x7f
	v_cmp_lt_u32_e32 vcc, s24, v5
	v_cndmask_b32_e32 v1, v1, v6, vcc
; %bb.1005:
	s_or_b64 exec, exec, s[18:19]
	v_lshrrev_b32_e32 v5, 24, v0
	s_movk_i32 s18, 0x80
	v_and_or_b32 v1, v5, s18, v1
	global_store_byte v[2:3], v1, off
.LBB38_1006:
	s_mov_b64 s[18:19], 0
.LBB38_1007:
	s_andn2_b64 vcc, exec, s[18:19]
	s_cbranch_vccnz .LBB38_1017
; %bb.1008:
	v_and_b32_e32 v5, 0x7fffffff, v0
	s_mov_b32 s18, 0x47800000
	v_cmp_gt_u32_e32 vcc, s18, v5
                                        ; implicit-def: $vgpr1
	s_and_saveexec_b64 s[18:19], vcc
	s_xor_b64 s[18:19], exec, s[18:19]
	s_cbranch_execz .LBB38_1014
; %bb.1009:
	s_mov_b32 s24, 0x387fffff
	v_cmp_lt_u32_e32 vcc, s24, v5
                                        ; implicit-def: $vgpr1
	s_and_saveexec_b64 s[24:25], vcc
	s_xor_b64 s[24:25], exec, s[24:25]
; %bb.1010:
	v_bfe_u32 v1, v0, 21, 1
	s_mov_b32 s26, 0x80fffff
	v_add3_u32 v1, v0, v1, s26
	v_lshrrev_b32_e32 v1, 21, v1
; %bb.1011:
	s_andn2_saveexec_b64 s[24:25], s[24:25]
; %bb.1012:
	s_mov_b32 s26, 0x43000000
	v_add_f32_e64 v1, |v0|, s26
; %bb.1013:
	s_or_b64 exec, exec, s[24:25]
                                        ; implicit-def: $vgpr5
.LBB38_1014:
	s_andn2_saveexec_b64 s[18:19], s[18:19]
; %bb.1015:
	s_mov_b32 s24, 0x7f800000
	v_mov_b32_e32 v1, 0x7c
	v_mov_b32_e32 v6, 0x7f
	v_cmp_lt_u32_e32 vcc, s24, v5
	v_cndmask_b32_e32 v1, v1, v6, vcc
; %bb.1016:
	s_or_b64 exec, exec, s[18:19]
	v_lshrrev_b32_e32 v5, 24, v0
	s_movk_i32 s18, 0x80
	v_and_or_b32 v1, v5, s18, v1
	global_store_byte v[2:3], v1, off
.LBB38_1017:
	s_mov_b64 s[18:19], 0
.LBB38_1018:
	s_andn2_b64 vcc, exec, s[18:19]
	s_mov_b64 s[18:19], 0
	s_cbranch_vccnz .LBB38_1026
; %bb.1019:
	v_cmp_lt_i16_e32 vcc, 14, v4
	s_mov_b64 s[24:25], -1
	s_cbranch_vccz .LBB38_1023
; %bb.1020:
	v_cmp_eq_u16_e32 vcc, 15, v4
	s_mov_b64 s[0:1], -1
	s_cbranch_vccz .LBB38_1022
; %bb.1021:
	v_bfe_u32 v1, v0, 16, 1
	s_movk_i32 s0, 0x7fff
	v_add3_u32 v1, v0, v1, s0
	v_lshrrev_b32_e32 v1, 16, v1
	v_mov_b32_e32 v5, 0x7fc0
	v_cmp_o_f32_e32 vcc, v0, v0
	v_cndmask_b32_e32 v1, v5, v1, vcc
	global_store_short v[2:3], v1, off
	s_mov_b64 s[0:1], 0
.LBB38_1022:
	s_mov_b64 s[24:25], 0
.LBB38_1023:
	s_and_b64 vcc, exec, s[24:25]
	s_cbranch_vccz .LBB38_1026
; %bb.1024:
	v_cmp_ne_u16_e32 vcc, 11, v4
	s_andn2_b64 s[0:1], s[0:1], exec
	s_and_b64 s[24:25], vcc, exec
	s_mov_b64 s[18:19], -1
	s_or_b64 s[0:1], s[0:1], s[24:25]
	s_branch .LBB38_1026
.LBB38_1025:
	s_mov_b64 s[18:19], 0
.LBB38_1026:
	s_and_b64 s[24:25], s[16:17], exec
	s_andn2_b64 s[16:17], s[20:21], exec
	s_and_b64 s[0:1], s[0:1], exec
	s_and_b64 s[26:27], s[18:19], exec
	s_or_b64 s[20:21], s[16:17], s[0:1]
	s_or_b64 exec, exec, s[22:23]
	s_and_saveexec_b64 s[0:1], s[20:21]
	s_cbranch_execz .LBB38_945
.LBB38_1027:
	s_or_b64 s[2:3], s[2:3], exec
	s_andn2_b64 s[26:27], s[26:27], exec
	s_trap 2
	s_or_b64 exec, exec, s[0:1]
	s_and_saveexec_b64 s[0:1], s[26:27]
	s_xor_b64 s[0:1], exec, s[0:1]
	s_cbranch_execnz .LBB38_946
.LBB38_1028:
	s_or_b64 exec, exec, s[0:1]
	s_and_saveexec_b64 s[0:1], s[24:25]
	s_xor_b64 s[0:1], exec, s[0:1]
	s_cbranch_execz .LBB38_1066
.LBB38_1029:
	v_cmp_gt_i16_e32 vcc, 5, v4
	s_mov_b64 s[16:17], -1
	s_cbranch_vccnz .LBB38_1050
; %bb.1030:
	v_cmp_gt_i16_e32 vcc, 8, v4
	s_cbranch_vccnz .LBB38_1040
; %bb.1031:
	v_cmp_gt_i16_e32 vcc, 9, v4
	s_cbranch_vccnz .LBB38_1037
; %bb.1032:
	v_cmp_lt_i16_e32 vcc, 9, v4
	s_cbranch_vccz .LBB38_1034
; %bb.1033:
	v_mov_b32_e32 v8, 0
	v_cvt_f64_f32_e32 v[6:7], v0
	v_mov_b32_e32 v9, v8
	s_mov_b64 s[16:17], 0
	s_waitcnt vmcnt(0)
	global_store_dwordx4 v[2:3], v[6:9], off
.LBB38_1034:
	s_andn2_b64 vcc, exec, s[16:17]
	s_cbranch_vccnz .LBB38_1036
; %bb.1035:
	v_mov_b32_e32 v1, 0
	s_waitcnt vmcnt(0)
	global_store_dwordx2 v[2:3], v[0:1], off
.LBB38_1036:
	s_mov_b64 s[16:17], 0
.LBB38_1037:
	s_andn2_b64 vcc, exec, s[16:17]
	s_cbranch_vccnz .LBB38_1039
; %bb.1038:
	v_cvt_f16_f32_e32 v1, v0
	s_waitcnt vmcnt(0)
	global_store_dword v[2:3], v1, off
.LBB38_1039:
	s_mov_b64 s[16:17], 0
.LBB38_1040:
	s_andn2_b64 vcc, exec, s[16:17]
	s_cbranch_vccnz .LBB38_1049
; %bb.1041:
	v_cmp_gt_i16_e32 vcc, 6, v4
	s_mov_b64 s[16:17], -1
	s_cbranch_vccnz .LBB38_1047
; %bb.1042:
	v_cmp_lt_i16_e32 vcc, 6, v4
	s_cbranch_vccz .LBB38_1044
; %bb.1043:
	v_cvt_f64_f32_e32 v[6:7], v0
	s_mov_b64 s[16:17], 0
	s_waitcnt vmcnt(0)
	global_store_dwordx2 v[2:3], v[6:7], off
.LBB38_1044:
	s_andn2_b64 vcc, exec, s[16:17]
	s_cbranch_vccnz .LBB38_1046
; %bb.1045:
	s_waitcnt vmcnt(0)
	global_store_dword v[2:3], v0, off
.LBB38_1046:
	s_mov_b64 s[16:17], 0
.LBB38_1047:
	s_andn2_b64 vcc, exec, s[16:17]
	s_cbranch_vccnz .LBB38_1049
; %bb.1048:
	v_cvt_f16_f32_e32 v1, v0
	s_waitcnt vmcnt(0)
	global_store_short v[2:3], v1, off
.LBB38_1049:
	s_mov_b64 s[16:17], 0
.LBB38_1050:
	s_andn2_b64 vcc, exec, s[16:17]
	s_cbranch_vccnz .LBB38_1066
; %bb.1051:
	v_cmp_gt_i16_e32 vcc, 2, v4
	s_mov_b64 s[16:17], -1
	s_cbranch_vccnz .LBB38_1061
; %bb.1052:
	v_cmp_gt_i16_e32 vcc, 3, v4
	s_cbranch_vccnz .LBB38_1058
; %bb.1053:
	v_cmp_lt_i16_e32 vcc, 3, v4
	s_cbranch_vccz .LBB38_1055
; %bb.1054:
	v_trunc_f32_e32 v1, v0
	s_mov_b32 s16, 0x2f800000
	s_waitcnt vmcnt(0)
	v_mul_f32_e64 v5, |v1|, s16
	v_floor_f32_e32 v5, v5
	s_mov_b32 s16, 0xcf800000
	v_cvt_u32_f32_e32 v6, v5
	v_fma_f32 v5, v5, s16, |v1|
	v_cvt_u32_f32_e32 v5, v5
	v_ashrrev_i32_e32 v1, 31, v1
	v_xor_b32_e32 v7, v6, v1
	s_mov_b64 s[16:17], 0
	v_xor_b32_e32 v5, v5, v1
	v_sub_co_u32_e32 v6, vcc, v5, v1
	v_subb_co_u32_e32 v7, vcc, v7, v1, vcc
	global_store_dwordx2 v[2:3], v[6:7], off
.LBB38_1055:
	s_andn2_b64 vcc, exec, s[16:17]
	s_cbranch_vccnz .LBB38_1057
; %bb.1056:
	v_cvt_i32_f32_e32 v1, v0
	s_waitcnt vmcnt(0)
	global_store_dword v[2:3], v1, off
.LBB38_1057:
	s_mov_b64 s[16:17], 0
.LBB38_1058:
	s_andn2_b64 vcc, exec, s[16:17]
	s_cbranch_vccnz .LBB38_1060
; %bb.1059:
	v_cvt_i32_f32_e32 v1, v0
	s_waitcnt vmcnt(0)
	global_store_short v[2:3], v1, off
.LBB38_1060:
	s_mov_b64 s[16:17], 0
.LBB38_1061:
	s_andn2_b64 vcc, exec, s[16:17]
	s_cbranch_vccnz .LBB38_1066
; %bb.1062:
	v_cmp_lt_i16_e32 vcc, 0, v4
	s_mov_b64 s[16:17], -1
	s_cbranch_vccz .LBB38_1064
; %bb.1063:
	v_cvt_i32_f32_e32 v1, v0
	s_mov_b64 s[16:17], 0
	s_waitcnt vmcnt(0)
	global_store_byte v[2:3], v1, off
.LBB38_1064:
	s_andn2_b64 vcc, exec, s[16:17]
	s_cbranch_vccnz .LBB38_1066
; %bb.1065:
	v_trunc_f32_e32 v0, v0
	s_mov_b32 s16, 0x2f800000
	v_mul_f32_e64 v1, |v0|, s16
	v_floor_f32_e32 v1, v1
	s_mov_b32 s16, 0xcf800000
	v_fma_f32 v1, v1, s16, |v0|
	v_cvt_u32_f32_e32 v1, v1
	v_ashrrev_i32_e32 v0, 31, v0
	v_xor_b32_e32 v1, v1, v0
	v_sub_u32_e32 v0, v1, v0
	s_waitcnt vmcnt(0)
	global_store_byte v[2:3], v0, off
.LBB38_1066:
	s_or_b64 exec, exec, s[0:1]
	s_and_b64 s[16:17], s[2:3], exec
                                        ; implicit-def: $vgpr7
                                        ; implicit-def: $vgpr8
.LBB38_1067:
	s_or_saveexec_b64 s[6:7], s[6:7]
	s_mov_b64 s[0:1], 0
                                        ; implicit-def: $vgpr2
                                        ; implicit-def: $vgpr0_vgpr1
                                        ; implicit-def: $vgpr4
	s_xor_b64 exec, exec, s[6:7]
	s_cbranch_execz .LBB38_1620
; %bb.1068:
	s_waitcnt vmcnt(0)
	v_mul_lo_u32 v2, s15, v7
	v_ashrrev_i32_e32 v1, 31, v2
	v_mov_b32_e32 v3, s11
	v_add_co_u32_e32 v0, vcc, s10, v2
	v_addc_co_u32_e32 v1, vcc, v3, v1, vcc
	v_cmp_gt_i16_e64 s[0:1], 11, v8
	s_and_b64 vcc, exec, s[0:1]
	s_cbranch_vccnz .LBB38_1075
; %bb.1069:
	v_cmp_lt_i16_e32 vcc, 25, v8
	s_mov_b64 s[4:5], 0
	s_cbranch_vccz .LBB38_1077
; %bb.1070:
	v_cmp_lt_i16_e32 vcc, 28, v8
	s_cbranch_vccz .LBB38_1078
; %bb.1071:
	v_cmp_lt_i16_e32 vcc, 43, v8
	;; [unrolled: 3-line block ×3, first 2 shown]
	s_cbranch_vccz .LBB38_1080
; %bb.1073:
	v_cmp_eq_u16_e32 vcc, 46, v8
	s_mov_b64 s[18:19], 0
	s_cbranch_vccz .LBB38_1083
; %bb.1074:
	global_load_dword v3, v[0:1], off
	s_mov_b64 s[2:3], 0
	s_mov_b64 s[20:21], -1
	s_waitcnt vmcnt(0)
	v_lshlrev_b32_e32 v3, 16, v3
	s_branch .LBB38_1084
.LBB38_1075:
	s_mov_b64 s[20:21], 0
                                        ; implicit-def: $vgpr3
	s_mov_b64 s[18:19], s[16:17]
	s_cbranch_execnz .LBB38_1147
.LBB38_1076:
	s_andn2_b64 vcc, exec, s[20:21]
	s_cbranch_vccz .LBB38_1192
	s_branch .LBB38_1617
.LBB38_1077:
	s_mov_b64 s[20:21], 0
	s_mov_b64 s[2:3], 0
                                        ; implicit-def: $vgpr3
	s_cbranch_execnz .LBB38_1112
	s_branch .LBB38_1143
.LBB38_1078:
	s_mov_b64 s[18:19], -1
	s_mov_b64 s[20:21], 0
	s_mov_b64 s[2:3], 0
                                        ; implicit-def: $vgpr3
	s_branch .LBB38_1093
.LBB38_1079:
	s_mov_b64 s[20:21], 0
	s_mov_b64 s[2:3], 0
                                        ; implicit-def: $vgpr3
	s_cbranch_execnz .LBB38_1089
	s_branch .LBB38_1092
.LBB38_1080:
	s_mov_b64 s[18:19], -1
	s_mov_b64 s[20:21], 0
	s_mov_b64 s[2:3], 0
                                        ; implicit-def: $vgpr3
	s_branch .LBB38_1084
.LBB38_1081:
	s_or_saveexec_b64 s[24:25], s[24:25]
                                        ; implicit-def: $sgpr26
	s_xor_b64 exec, exec, s[24:25]
	s_cbranch_execz .LBB38_980
.LBB38_1082:
	s_mov_b32 s26, 0x46000000
	v_add_f32_e64 v1, |v0|, s26
	v_and_b32_e32 v1, 0xff, v1
	v_cmp_ne_u32_e32 vcc, 0, v1
	s_andn2_b64 s[18:19], s[18:19], exec
	s_and_b64 s[28:29], vcc, exec
	s_mov_b32 s26, 0
	s_or_b64 s[18:19], s[18:19], s[28:29]
	s_or_b64 exec, exec, s[24:25]
	v_mov_b32_e32 v5, s26
	s_and_saveexec_b64 s[24:25], s[18:19]
	s_cbranch_execnz .LBB38_981
	s_branch .LBB38_982
.LBB38_1083:
	s_mov_b64 s[2:3], -1
                                        ; implicit-def: $vgpr3
	s_mov_b64 s[20:21], 0
.LBB38_1084:
	s_and_b64 vcc, exec, s[18:19]
	s_cbranch_vccz .LBB38_1087
; %bb.1085:
	v_cmp_eq_u16_e32 vcc, 44, v8
	s_cbranch_vccz .LBB38_1088
; %bb.1086:
	global_load_ubyte v3, v[0:1], off
	s_movk_i32 s18, 0xff
	v_mov_b32_e32 v4, 0x7f800001
	v_mov_b32_e32 v5, 0x400000
	s_mov_b64 s[2:3], 0
	s_mov_b64 s[20:21], -1
	s_waitcnt vmcnt(0)
	v_lshlrev_b32_e32 v6, 23, v3
	v_cmp_ne_u32_e32 vcc, s18, v3
	v_cndmask_b32_e32 v4, v4, v6, vcc
	v_cmp_ne_u32_e32 vcc, 0, v3
	v_cndmask_b32_e32 v3, v5, v4, vcc
.LBB38_1087:
	s_branch .LBB38_1092
.LBB38_1088:
	s_mov_b64 s[2:3], -1
                                        ; implicit-def: $vgpr3
	s_branch .LBB38_1092
.LBB38_1089:
	v_cmp_eq_u16_e32 vcc, 29, v8
	s_cbranch_vccz .LBB38_1091
; %bb.1090:
	global_load_dwordx2 v[4:5], v[0:1], off
	s_mov_b64 s[2:3], 0
	s_mov_b64 s[20:21], -1
	s_mov_b64 s[18:19], 0
	s_waitcnt vmcnt(0)
	v_ffbh_u32_e32 v3, v5
	v_min_u32_e32 v3, 32, v3
	v_lshlrev_b64 v[4:5], v3, v[4:5]
	v_min_u32_e32 v4, 1, v4
	v_or_b32_e32 v4, v5, v4
	v_cvt_f32_u32_e32 v4, v4
	v_sub_u32_e32 v3, 32, v3
	v_ldexp_f32 v3, v4, v3
	s_branch .LBB38_1093
.LBB38_1091:
	s_mov_b64 s[2:3], -1
                                        ; implicit-def: $vgpr3
.LBB38_1092:
	s_mov_b64 s[18:19], 0
.LBB38_1093:
	s_and_b64 vcc, exec, s[18:19]
	s_cbranch_vccz .LBB38_1111
; %bb.1094:
	v_cmp_gt_i16_e32 vcc, 27, v8
	s_cbranch_vccnz .LBB38_1097
; %bb.1095:
	v_cmp_lt_i16_e32 vcc, 27, v8
	s_cbranch_vccz .LBB38_1098
; %bb.1096:
	global_load_dword v3, v[0:1], off
	s_mov_b64 s[18:19], 0
	s_waitcnt vmcnt(0)
	v_cvt_f32_u32_e32 v3, v3
	s_branch .LBB38_1099
.LBB38_1097:
	s_mov_b64 s[18:19], -1
                                        ; implicit-def: $vgpr3
	s_branch .LBB38_1102
.LBB38_1098:
	s_mov_b64 s[18:19], -1
                                        ; implicit-def: $vgpr3
.LBB38_1099:
	s_andn2_b64 vcc, exec, s[18:19]
	s_cbranch_vccnz .LBB38_1101
; %bb.1100:
	global_load_ushort v3, v[0:1], off
	s_waitcnt vmcnt(0)
	v_cvt_f32_u32_e32 v3, v3
.LBB38_1101:
	s_mov_b64 s[18:19], 0
.LBB38_1102:
	s_andn2_b64 vcc, exec, s[18:19]
	s_cbranch_vccnz .LBB38_1110
; %bb.1103:
	global_load_ubyte v4, v[0:1], off
	s_movk_i32 s18, 0x7f
                                        ; implicit-def: $sgpr24
	s_waitcnt vmcnt(0)
	v_cmp_lt_i16_e32 vcc, s18, v4
	s_mov_b64 s[18:19], 0
	s_and_saveexec_b64 s[20:21], vcc
	s_xor_b64 s[20:21], exec, s[20:21]
	s_cbranch_execz .LBB38_1123
; %bb.1104:
	s_movk_i32 s18, 0x80
	v_cmp_eq_u16_e32 vcc, s18, v4
	s_mov_b64 s[18:19], -1
                                        ; implicit-def: $sgpr24
	s_and_saveexec_b64 s[22:23], vcc
; %bb.1105:
	s_mov_b32 s24, 0x7f800001
	s_xor_b64 s[18:19], exec, -1
; %bb.1106:
	s_or_b64 exec, exec, s[22:23]
	s_and_b64 s[18:19], s[18:19], exec
	s_or_saveexec_b64 s[20:21], s[20:21]
	v_mov_b32_e32 v3, s24
	s_xor_b64 exec, exec, s[20:21]
	s_cbranch_execnz .LBB38_1124
.LBB38_1107:
	s_or_b64 exec, exec, s[20:21]
	s_and_saveexec_b64 s[20:21], s[18:19]
	s_cbranch_execz .LBB38_1109
.LBB38_1108:
	v_lshlrev_b32_e32 v3, 24, v4
	v_and_b32_e32 v4, 0xffff, v4
	v_and_b32_e32 v5, 7, v4
	v_ffbh_u32_e32 v9, v5
	v_min_u32_e32 v9, 32, v9
	v_subrev_u32_e32 v10, 28, v9
	v_bfe_u32 v6, v4, 3, 4
	v_lshlrev_b32_e32 v4, v10, v4
	v_sub_u32_e32 v9, 29, v9
	v_and_b32_e32 v4, 7, v4
	v_cmp_eq_u32_e32 vcc, 0, v6
	v_cndmask_b32_e32 v6, v6, v9, vcc
	v_cndmask_b32_e32 v4, v5, v4, vcc
	v_mov_b32_e32 v5, 0x3b800000
	v_lshlrev_b32_e32 v4, 20, v4
	v_and_b32_e32 v3, 0x80000000, v3
	v_lshl_add_u32 v5, v6, 23, v5
	v_or3_b32 v3, v3, v5, v4
.LBB38_1109:
	s_or_b64 exec, exec, s[20:21]
.LBB38_1110:
	s_mov_b64 s[20:21], -1
.LBB38_1111:
	s_branch .LBB38_1143
.LBB38_1112:
	v_cmp_lt_i16_e32 vcc, 22, v8
	s_cbranch_vccz .LBB38_1122
; %bb.1113:
	v_cmp_gt_i16_e32 vcc, 24, v8
	s_cbranch_vccnz .LBB38_1125
; %bb.1114:
	v_cmp_lt_i16_e32 vcc, 24, v8
	s_cbranch_vccz .LBB38_1126
; %bb.1115:
	global_load_ubyte v4, v[0:1], off
	s_movk_i32 s4, 0x7f
                                        ; implicit-def: $sgpr22
	s_waitcnt vmcnt(0)
	v_cmp_lt_i16_e32 vcc, s4, v4
	s_mov_b64 s[4:5], 0
	s_and_saveexec_b64 s[18:19], vcc
	s_xor_b64 s[18:19], exec, s[18:19]
	s_cbranch_execz .LBB38_1137
; %bb.1116:
	s_movk_i32 s4, 0x80
	v_cmp_eq_u16_e32 vcc, s4, v4
	s_mov_b64 s[4:5], -1
                                        ; implicit-def: $sgpr22
	s_and_saveexec_b64 s[20:21], vcc
; %bb.1117:
	s_mov_b32 s22, 0x7f800001
	s_xor_b64 s[4:5], exec, -1
; %bb.1118:
	s_or_b64 exec, exec, s[20:21]
	s_and_b64 s[4:5], s[4:5], exec
	s_or_saveexec_b64 s[18:19], s[18:19]
	v_mov_b32_e32 v3, s22
	s_xor_b64 exec, exec, s[18:19]
	s_cbranch_execnz .LBB38_1138
.LBB38_1119:
	s_or_b64 exec, exec, s[18:19]
	s_and_saveexec_b64 s[18:19], s[4:5]
	s_cbranch_execz .LBB38_1121
.LBB38_1120:
	v_lshlrev_b32_e32 v3, 24, v4
	v_and_b32_e32 v4, 0xffff, v4
	v_and_b32_e32 v5, 3, v4
	v_ffbh_u32_e32 v9, v5
	v_min_u32_e32 v9, 32, v9
	v_subrev_u32_e32 v10, 29, v9
	v_bfe_u32 v6, v4, 2, 5
	v_lshlrev_b32_e32 v4, v10, v4
	v_sub_u32_e32 v9, 30, v9
	v_and_b32_e32 v4, 3, v4
	v_cmp_eq_u32_e32 vcc, 0, v6
	v_cndmask_b32_e32 v6, v6, v9, vcc
	v_cndmask_b32_e32 v4, v5, v4, vcc
	v_mov_b32_e32 v5, 0x37800000
	v_lshlrev_b32_e32 v4, 21, v4
	v_and_b32_e32 v3, 0x80000000, v3
	v_lshl_add_u32 v5, v6, 23, v5
	v_or3_b32 v3, v3, v5, v4
.LBB38_1121:
	s_or_b64 exec, exec, s[18:19]
	s_mov_b64 s[4:5], 0
	s_branch .LBB38_1127
.LBB38_1122:
                                        ; implicit-def: $vgpr3
	s_mov_b64 s[4:5], 0
	s_branch .LBB38_1133
.LBB38_1123:
	s_or_saveexec_b64 s[20:21], s[20:21]
	v_mov_b32_e32 v3, s24
	s_xor_b64 exec, exec, s[20:21]
	s_cbranch_execz .LBB38_1107
.LBB38_1124:
	v_cmp_ne_u16_e32 vcc, 0, v4
	s_andn2_b64 s[18:19], s[18:19], exec
	s_and_b64 s[22:23], vcc, exec
	v_mov_b32_e32 v3, 0
	s_or_b64 s[18:19], s[18:19], s[22:23]
	s_or_b64 exec, exec, s[20:21]
	s_and_saveexec_b64 s[20:21], s[18:19]
	s_cbranch_execnz .LBB38_1108
	s_branch .LBB38_1109
.LBB38_1125:
	s_mov_b64 s[4:5], -1
                                        ; implicit-def: $vgpr3
	s_branch .LBB38_1130
.LBB38_1126:
	s_mov_b64 s[4:5], -1
                                        ; implicit-def: $vgpr3
.LBB38_1127:
	s_and_b64 vcc, exec, s[4:5]
	s_cbranch_vccz .LBB38_1129
; %bb.1128:
	global_load_ubyte v3, v[0:1], off
	s_mov_b32 s4, 0x7f800000
	s_waitcnt vmcnt(0)
	v_lshlrev_b32_e32 v3, 24, v3
	v_and_b32_e32 v4, 0x7f000000, v3
	v_ffbh_u32_e32 v5, v4
	v_min_u32_e32 v5, 32, v5
	v_sub_u32_e64 v5, v5, 4 clamp
	v_lshlrev_b32_e32 v9, v5, v4
	v_lshlrev_b32_e32 v5, 23, v5
	v_lshrrev_b32_e32 v9, 4, v9
	v_add_u32_e32 v6, 0x1000000, v4
	v_sub_u32_e32 v5, v9, v5
	v_ashrrev_i32_e32 v6, 8, v6
	v_add_u32_e32 v5, 0x3c000000, v5
	v_and_or_b32 v5, v6, s4, v5
	v_cmp_ne_u32_e32 vcc, 0, v4
	v_cndmask_b32_e32 v4, 0, v5, vcc
	s_brev_b32 s4, 1
	v_and_or_b32 v3, v3, s4, v4
.LBB38_1129:
	s_mov_b64 s[4:5], 0
.LBB38_1130:
	s_andn2_b64 vcc, exec, s[4:5]
	s_cbranch_vccnz .LBB38_1132
; %bb.1131:
	global_load_ubyte v3, v[0:1], off
	s_movk_i32 s4, 0x7f00
	s_brev_b32 s5, 16
	s_waitcnt vmcnt(0)
	v_lshlrev_b16_e32 v4, 8, v3
	v_lshlrev_b32_e32 v3, 25, v3
	v_lshrrev_b32_e32 v5, 4, v3
	v_and_or_b32 v6, v4, s4, 0.5
	v_or_b32_e32 v5, 0x70000000, v5
	v_add_f32_e32 v6, -0.5, v6
	v_mul_f32_e32 v5, 0x7800000, v5
	v_cmp_gt_u32_e32 vcc, s5, v3
	v_bfe_i32 v4, v4, 0, 16
	v_cndmask_b32_e32 v3, v5, v6, vcc
	s_brev_b32 s4, 1
	v_and_or_b32 v3, v4, s4, v3
.LBB38_1132:
	s_mov_b64 s[20:21], -1
	s_mov_b64 s[4:5], 0
	s_cbranch_execnz .LBB38_1143
.LBB38_1133:
	v_cmp_lt_i16_e32 vcc, 14, v8
	s_cbranch_vccz .LBB38_1136
; %bb.1134:
	v_cmp_eq_u16_e32 vcc, 15, v8
	s_cbranch_vccz .LBB38_1139
; %bb.1135:
	global_load_ushort v3, v[0:1], off
	s_mov_b64 s[2:3], 0
	s_mov_b64 s[20:21], -1
	s_waitcnt vmcnt(0)
	v_lshlrev_b32_e32 v3, 16, v3
	s_branch .LBB38_1140
.LBB38_1136:
	s_mov_b64 s[18:19], -1
                                        ; implicit-def: $vgpr3
	s_branch .LBB38_1141
.LBB38_1137:
	s_or_saveexec_b64 s[18:19], s[18:19]
	v_mov_b32_e32 v3, s22
	s_xor_b64 exec, exec, s[18:19]
	s_cbranch_execz .LBB38_1119
.LBB38_1138:
	v_cmp_ne_u16_e32 vcc, 0, v4
	s_andn2_b64 s[4:5], s[4:5], exec
	s_and_b64 s[20:21], vcc, exec
	v_mov_b32_e32 v3, 0
	s_or_b64 s[4:5], s[4:5], s[20:21]
	s_or_b64 exec, exec, s[18:19]
	s_and_saveexec_b64 s[18:19], s[4:5]
	s_cbranch_execnz .LBB38_1120
	s_branch .LBB38_1121
.LBB38_1139:
	s_mov_b64 s[2:3], -1
                                        ; implicit-def: $vgpr3
.LBB38_1140:
	s_mov_b64 s[18:19], 0
.LBB38_1141:
	s_and_b64 vcc, exec, s[18:19]
	s_cbranch_vccz .LBB38_1143
; %bb.1142:
	v_cmp_ne_u16_e64 s[2:3], 11, v8
	s_mov_b64 s[4:5], -1
                                        ; implicit-def: $vgpr3
.LBB38_1143:
	s_and_b64 vcc, exec, s[2:3]
	s_mov_b64 s[18:19], s[16:17]
	s_cbranch_vccnz .LBB38_1214
; %bb.1144:
	s_andn2_b64 vcc, exec, s[4:5]
	s_cbranch_vccnz .LBB38_1146
.LBB38_1145:
	global_load_ubyte v3, v[0:1], off
	s_mov_b64 s[20:21], -1
	s_waitcnt vmcnt(0)
	v_cmp_ne_u16_e32 vcc, 0, v3
	v_cndmask_b32_e64 v3, 0, 1.0, vcc
.LBB38_1146:
	s_branch .LBB38_1076
.LBB38_1147:
	v_cmp_gt_i16_e32 vcc, 5, v8
	s_cbranch_vccnz .LBB38_1152
; %bb.1148:
	v_cmp_gt_i16_e32 vcc, 8, v8
	s_cbranch_vccnz .LBB38_1153
; %bb.1149:
	;; [unrolled: 3-line block ×3, first 2 shown]
	v_cmp_lt_i16_e32 vcc, 9, v8
	s_cbranch_vccz .LBB38_1155
; %bb.1151:
	global_load_dwordx2 v[4:5], v[0:1], off
	s_mov_b64 s[2:3], 0
	s_waitcnt vmcnt(0)
	v_cvt_f32_f64_e32 v3, v[4:5]
	s_branch .LBB38_1156
.LBB38_1152:
                                        ; implicit-def: $vgpr3
	s_branch .LBB38_1173
.LBB38_1153:
                                        ; implicit-def: $vgpr3
	s_branch .LBB38_1162
.LBB38_1154:
	s_mov_b64 s[2:3], -1
                                        ; implicit-def: $vgpr3
	s_branch .LBB38_1159
.LBB38_1155:
	s_mov_b64 s[2:3], -1
                                        ; implicit-def: $vgpr3
.LBB38_1156:
	s_andn2_b64 vcc, exec, s[2:3]
	s_cbranch_vccnz .LBB38_1158
; %bb.1157:
	global_load_dword v3, v[0:1], off
.LBB38_1158:
	s_mov_b64 s[2:3], 0
.LBB38_1159:
	s_andn2_b64 vcc, exec, s[2:3]
	s_cbranch_vccnz .LBB38_1161
; %bb.1160:
	global_load_dword v3, v[0:1], off
	s_waitcnt vmcnt(0)
	v_cvt_f32_f16_e32 v3, v3
.LBB38_1161:
	s_cbranch_execnz .LBB38_1172
.LBB38_1162:
	v_cmp_gt_i16_e32 vcc, 6, v8
	s_cbranch_vccnz .LBB38_1165
; %bb.1163:
	v_cmp_lt_i16_e32 vcc, 6, v8
	s_cbranch_vccz .LBB38_1166
; %bb.1164:
	global_load_dwordx2 v[4:5], v[0:1], off
	s_mov_b64 s[2:3], 0
	s_waitcnt vmcnt(0)
	v_cvt_f32_f64_e32 v3, v[4:5]
	s_branch .LBB38_1167
.LBB38_1165:
	s_mov_b64 s[2:3], -1
                                        ; implicit-def: $vgpr3
	s_branch .LBB38_1170
.LBB38_1166:
	s_mov_b64 s[2:3], -1
                                        ; implicit-def: $vgpr3
.LBB38_1167:
	s_andn2_b64 vcc, exec, s[2:3]
	s_cbranch_vccnz .LBB38_1169
; %bb.1168:
	global_load_dword v3, v[0:1], off
.LBB38_1169:
	s_mov_b64 s[2:3], 0
.LBB38_1170:
	s_andn2_b64 vcc, exec, s[2:3]
	s_cbranch_vccnz .LBB38_1172
; %bb.1171:
	global_load_ushort v3, v[0:1], off
	s_waitcnt vmcnt(0)
	v_cvt_f32_f16_e32 v3, v3
.LBB38_1172:
	s_cbranch_execnz .LBB38_1191
.LBB38_1173:
	v_cmp_gt_i16_e32 vcc, 2, v8
	s_cbranch_vccnz .LBB38_1177
; %bb.1174:
	v_cmp_gt_i16_e32 vcc, 3, v8
	s_cbranch_vccnz .LBB38_1178
; %bb.1175:
	v_cmp_lt_i16_e32 vcc, 3, v8
	s_cbranch_vccz .LBB38_1179
; %bb.1176:
	global_load_dwordx2 v[4:5], v[0:1], off
	s_mov_b64 s[2:3], 0
	s_waitcnt vmcnt(0)
	v_xor_b32_e32 v6, v4, v5
	v_ffbh_i32_e32 v3, v5
	v_ashrrev_i32_e32 v6, 31, v6
	v_add_u32_e32 v3, -1, v3
	v_add_u32_e32 v6, 32, v6
	v_min_u32_e32 v3, v3, v6
	v_lshlrev_b64 v[4:5], v3, v[4:5]
	v_min_u32_e32 v4, 1, v4
	v_or_b32_e32 v4, v5, v4
	v_cvt_f32_i32_e32 v4, v4
	v_sub_u32_e32 v3, 32, v3
	v_ldexp_f32 v3, v4, v3
	s_branch .LBB38_1180
.LBB38_1177:
                                        ; implicit-def: $vgpr3
	s_branch .LBB38_1186
.LBB38_1178:
	s_mov_b64 s[2:3], -1
                                        ; implicit-def: $vgpr3
	s_branch .LBB38_1183
.LBB38_1179:
	s_mov_b64 s[2:3], -1
                                        ; implicit-def: $vgpr3
.LBB38_1180:
	s_andn2_b64 vcc, exec, s[2:3]
	s_cbranch_vccnz .LBB38_1182
; %bb.1181:
	global_load_dword v3, v[0:1], off
	s_waitcnt vmcnt(0)
	v_cvt_f32_i32_e32 v3, v3
.LBB38_1182:
	s_mov_b64 s[2:3], 0
.LBB38_1183:
	s_andn2_b64 vcc, exec, s[2:3]
	s_cbranch_vccnz .LBB38_1185
; %bb.1184:
	global_load_sshort v3, v[0:1], off
	s_waitcnt vmcnt(0)
	v_cvt_f32_i32_e32 v3, v3
.LBB38_1185:
	s_cbranch_execnz .LBB38_1191
.LBB38_1186:
	v_cmp_lt_i16_e32 vcc, 0, v8
	s_cbranch_vccz .LBB38_1188
; %bb.1187:
	global_load_sbyte v3, v[0:1], off
	s_mov_b64 s[2:3], 0
	s_waitcnt vmcnt(0)
	v_cvt_f32_i32_e32 v3, v3
	s_branch .LBB38_1189
.LBB38_1188:
	s_mov_b64 s[2:3], -1
                                        ; implicit-def: $vgpr3
.LBB38_1189:
	s_andn2_b64 vcc, exec, s[2:3]
	s_cbranch_vccnz .LBB38_1191
; %bb.1190:
	global_load_ubyte v0, v[0:1], off
	s_waitcnt vmcnt(0)
	v_cvt_f32_ubyte0_e32 v3, v0
.LBB38_1191:
.LBB38_1192:
	v_trunc_f32_e32 v0, s12
	s_mov_b32 s2, 0x2f800000
	v_mul_f32_e64 v1, |v0|, s2
	v_floor_f32_e32 v1, v1
	s_mov_b32 s2, 0xcf800000
	v_fma_f32 v4, v1, s2, |v0|
	v_cvt_u32_f32_e32 v4, v4
	v_cvt_u32_f32_e32 v1, v1
	v_readfirstlane_b32 s4, v0
	s_ashr_i32 s20, s4, 31
	v_readfirstlane_b32 s2, v4
	v_readfirstlane_b32 s3, v1
	s_mov_b32 s21, s20
	s_xor_b64 s[2:3], s[2:3], s[20:21]
	s_sub_u32 s4, s2, s20
	s_subb_u32 s5, s3, s20
	v_cmp_lt_i64_e64 s[2:3], s[4:5], 0
	v_cmp_gt_i64_e64 s[20:21], s[4:5], -1
	s_and_b64 vcc, exec, s[2:3]
	v_mov_b32_e32 v0, 0
	s_cbranch_vccnz .LBB38_1202
; %bb.1193:
	v_cmp_lt_i64_e64 s[2:3], s[4:5], 1
	s_and_b64 vcc, exec, s[2:3]
	v_mov_b32_e32 v0, 1.0
	s_cbranch_vccnz .LBB38_1202
; %bb.1194:
	s_cmp_lg_u64 s[4:5], 1
	s_cbranch_scc0 .LBB38_1199
; %bb.1195:
	v_mov_b32_e32 v0, 0x80
	v_mov_b32_e32 v1, 0
	v_cmp_gt_u64_e32 vcc, s[4:5], v[0:1]
	v_mov_b32_e32 v0, 0x7fc00000
	s_cbranch_vccnz .LBB38_1198
; %bb.1196:
	s_mov_b64 s[2:3], 1
	v_mov_b32_e32 v1, 1.0
	s_waitcnt vmcnt(0)
	v_mov_b32_e32 v0, v3
.LBB38_1197:                            ; =>This Inner Loop Header: Depth=1
	s_flbit_i32_b32 s12, s3
	s_min_u32 s12, s12, 32
	s_lshl_b64 s[22:23], s[2:3], s12
	s_min_u32 s22, s22, 1
	s_or_b32 s22, s23, s22
	v_cvt_f32_u32_e32 v4, s22
	s_sub_i32 s12, 32, s12
	s_add_u32 s2, s2, 1
	s_addc_u32 s3, s3, 0
	v_ldexp_f32 v4, v4, s12
	v_mul_f32_e32 v4, v1, v4
	s_cmp_lg_u64 s[4:5], s[2:3]
	v_mov_b32_e32 v1, v0
	v_fma_f32 v0, v3, v0, -v4
	s_cbranch_scc1 .LBB38_1197
.LBB38_1198:
	s_mov_b64 s[2:3], 0
	s_branch .LBB38_1200
.LBB38_1199:
	s_mov_b64 s[2:3], -1
                                        ; implicit-def: $vgpr0
.LBB38_1200:
	s_andn2_b64 vcc, exec, s[2:3]
	s_cbranch_vccnz .LBB38_1202
; %bb.1201:
	s_waitcnt vmcnt(0)
	v_mov_b32_e32 v0, v3
.LBB38_1202:
	s_lshl_b32 s12, s15, 7
	v_add_u32_e32 v1, s12, v2
	s_waitcnt vmcnt(0)
	v_ashrrev_i32_e32 v3, 31, v1
	v_mov_b32_e32 v4, s11
	v_add_co_u32_e32 v2, vcc, s10, v1
	v_addc_co_u32_e32 v3, vcc, v4, v3, vcc
	s_and_b64 vcc, exec, s[0:1]
	s_cbranch_vccnz .LBB38_1209
; %bb.1203:
	v_cmp_lt_i16_e32 vcc, 25, v8
	s_mov_b64 s[22:23], 0
	s_cbranch_vccz .LBB38_1211
; %bb.1204:
	v_cmp_lt_i16_e32 vcc, 28, v8
	s_cbranch_vccz .LBB38_1212
; %bb.1205:
	v_cmp_lt_i16_e32 vcc, 43, v8
	;; [unrolled: 3-line block ×3, first 2 shown]
	s_cbranch_vccz .LBB38_1215
; %bb.1207:
	v_cmp_eq_u16_e32 vcc, 46, v8
	s_mov_b64 s[26:27], 0
	s_cbranch_vccz .LBB38_1218
; %bb.1208:
	global_load_dword v4, v[2:3], off
	s_mov_b64 s[2:3], 0
	s_mov_b64 s[24:25], -1
	s_waitcnt vmcnt(0)
	v_lshlrev_b32_e32 v4, 16, v4
	s_branch .LBB38_1219
.LBB38_1209:
	s_mov_b64 s[24:25], 0
                                        ; implicit-def: $vgpr4
	s_cbranch_execnz .LBB38_1284
.LBB38_1210:
	s_andn2_b64 vcc, exec, s[24:25]
	s_cbranch_vccnz .LBB38_1617
	s_branch .LBB38_1331
.LBB38_1211:
	s_mov_b64 s[24:25], 0
	s_mov_b64 s[2:3], 0
                                        ; implicit-def: $vgpr4
	s_cbranch_execnz .LBB38_1248
	s_branch .LBB38_1280
.LBB38_1212:
	s_mov_b64 s[26:27], -1
	s_mov_b64 s[24:25], 0
	s_mov_b64 s[2:3], 0
                                        ; implicit-def: $vgpr4
	s_branch .LBB38_1229
.LBB38_1213:
	s_mov_b64 s[26:27], -1
	s_mov_b64 s[24:25], 0
	s_mov_b64 s[2:3], 0
                                        ; implicit-def: $vgpr4
	s_branch .LBB38_1224
.LBB38_1214:
	s_or_b64 s[18:19], s[16:17], exec
	s_trap 2
                                        ; implicit-def: $vgpr3
	s_cbranch_execz .LBB38_1145
	s_branch .LBB38_1146
.LBB38_1215:
	s_mov_b64 s[26:27], -1
	s_mov_b64 s[24:25], 0
	s_mov_b64 s[2:3], 0
                                        ; implicit-def: $vgpr4
	s_branch .LBB38_1219
.LBB38_1216:
	s_or_saveexec_b64 s[26:27], s[26:27]
                                        ; implicit-def: $sgpr28
	s_xor_b64 exec, exec, s[26:27]
	s_cbranch_execz .LBB38_992
.LBB38_1217:
	s_mov_b32 s28, 0x42800000
	v_add_f32_e64 v1, |v0|, s28
	v_and_b32_e32 v1, 0xff, v1
	v_cmp_ne_u32_e32 vcc, 0, v1
	s_andn2_b64 s[24:25], s[24:25], exec
	s_and_b64 s[30:31], vcc, exec
	s_mov_b32 s28, 0
	s_or_b64 s[24:25], s[24:25], s[30:31]
	s_or_b64 exec, exec, s[26:27]
	v_mov_b32_e32 v5, s28
	s_and_saveexec_b64 s[26:27], s[24:25]
	s_cbranch_execnz .LBB38_993
	s_branch .LBB38_994
.LBB38_1218:
	s_mov_b64 s[2:3], -1
                                        ; implicit-def: $vgpr4
	s_mov_b64 s[24:25], 0
.LBB38_1219:
	s_and_b64 vcc, exec, s[26:27]
	s_cbranch_vccz .LBB38_1223
; %bb.1220:
	v_cmp_eq_u16_e32 vcc, 44, v8
	s_cbranch_vccz .LBB38_1222
; %bb.1221:
	global_load_ubyte v4, v[2:3], off
	s_movk_i32 s15, 0xff
	v_mov_b32_e32 v5, 0x7f800001
	v_mov_b32_e32 v6, 0x400000
	s_mov_b64 s[2:3], 0
	s_mov_b64 s[24:25], -1
	s_waitcnt vmcnt(0)
	v_lshlrev_b32_e32 v9, 23, v4
	v_cmp_ne_u32_e32 vcc, s15, v4
	v_cndmask_b32_e32 v5, v5, v9, vcc
	v_cmp_ne_u32_e32 vcc, 0, v4
	v_cndmask_b32_e32 v4, v6, v5, vcc
	s_branch .LBB38_1223
.LBB38_1222:
	s_mov_b64 s[2:3], -1
                                        ; implicit-def: $vgpr4
.LBB38_1223:
	s_mov_b64 s[26:27], 0
.LBB38_1224:
	s_and_b64 vcc, exec, s[26:27]
	s_cbranch_vccz .LBB38_1228
; %bb.1225:
	v_cmp_eq_u16_e32 vcc, 29, v8
	s_cbranch_vccz .LBB38_1227
; %bb.1226:
	global_load_dwordx2 v[4:5], v[2:3], off
	s_mov_b64 s[2:3], 0
	s_mov_b64 s[24:25], -1
	s_mov_b64 s[26:27], 0
	s_waitcnt vmcnt(0)
	v_ffbh_u32_e32 v6, v5
	v_min_u32_e32 v6, 32, v6
	v_lshlrev_b64 v[4:5], v6, v[4:5]
	v_min_u32_e32 v4, 1, v4
	v_or_b32_e32 v4, v5, v4
	v_cvt_f32_u32_e32 v4, v4
	v_sub_u32_e32 v5, 32, v6
	v_ldexp_f32 v4, v4, v5
	s_branch .LBB38_1229
.LBB38_1227:
	s_mov_b64 s[2:3], -1
                                        ; implicit-def: $vgpr4
.LBB38_1228:
	s_mov_b64 s[26:27], 0
.LBB38_1229:
	s_and_b64 vcc, exec, s[26:27]
	s_cbranch_vccz .LBB38_1247
; %bb.1230:
	v_cmp_gt_i16_e32 vcc, 27, v8
	s_cbranch_vccnz .LBB38_1233
; %bb.1231:
	v_cmp_lt_i16_e32 vcc, 27, v8
	s_cbranch_vccz .LBB38_1234
; %bb.1232:
	global_load_dword v4, v[2:3], off
	s_mov_b64 s[24:25], 0
	s_waitcnt vmcnt(0)
	v_cvt_f32_u32_e32 v4, v4
	s_branch .LBB38_1235
.LBB38_1233:
	s_mov_b64 s[24:25], -1
                                        ; implicit-def: $vgpr4
	s_branch .LBB38_1238
.LBB38_1234:
	s_mov_b64 s[24:25], -1
                                        ; implicit-def: $vgpr4
.LBB38_1235:
	s_andn2_b64 vcc, exec, s[24:25]
	s_cbranch_vccnz .LBB38_1237
; %bb.1236:
	global_load_ushort v4, v[2:3], off
	s_waitcnt vmcnt(0)
	v_cvt_f32_u32_e32 v4, v4
.LBB38_1237:
	s_mov_b64 s[24:25], 0
.LBB38_1238:
	s_andn2_b64 vcc, exec, s[24:25]
	s_cbranch_vccnz .LBB38_1246
; %bb.1239:
	global_load_ubyte v5, v[2:3], off
	s_movk_i32 s15, 0x7f
	s_mov_b64 s[24:25], 0
	s_waitcnt vmcnt(0)
	v_cmp_lt_i16_e32 vcc, s15, v5
                                        ; implicit-def: $sgpr15
	s_and_saveexec_b64 s[26:27], vcc
	s_xor_b64 s[26:27], exec, s[26:27]
	s_cbranch_execz .LBB38_1259
; %bb.1240:
	s_movk_i32 s15, 0x80
	v_cmp_eq_u16_e32 vcc, s15, v5
	s_mov_b64 s[24:25], -1
                                        ; implicit-def: $sgpr15
	s_and_saveexec_b64 s[28:29], vcc
; %bb.1241:
	s_mov_b32 s15, 0x7f800001
	s_xor_b64 s[24:25], exec, -1
; %bb.1242:
	s_or_b64 exec, exec, s[28:29]
	s_and_b64 s[24:25], s[24:25], exec
	s_or_saveexec_b64 s[26:27], s[26:27]
	v_mov_b32_e32 v4, s15
	s_xor_b64 exec, exec, s[26:27]
	s_cbranch_execnz .LBB38_1260
.LBB38_1243:
	s_or_b64 exec, exec, s[26:27]
	s_and_saveexec_b64 s[26:27], s[24:25]
	s_cbranch_execz .LBB38_1245
.LBB38_1244:
	v_lshlrev_b32_e32 v4, 24, v5
	v_and_b32_e32 v5, 0xffff, v5
	v_and_b32_e32 v6, 7, v5
	v_ffbh_u32_e32 v10, v6
	v_min_u32_e32 v10, 32, v10
	v_subrev_u32_e32 v11, 28, v10
	v_bfe_u32 v9, v5, 3, 4
	v_lshlrev_b32_e32 v5, v11, v5
	v_sub_u32_e32 v10, 29, v10
	v_and_b32_e32 v5, 7, v5
	v_cmp_eq_u32_e32 vcc, 0, v9
	v_cndmask_b32_e32 v9, v9, v10, vcc
	v_cndmask_b32_e32 v5, v6, v5, vcc
	v_mov_b32_e32 v6, 0x3b800000
	v_lshlrev_b32_e32 v5, 20, v5
	v_and_b32_e32 v4, 0x80000000, v4
	v_lshl_add_u32 v6, v9, 23, v6
	v_or3_b32 v4, v4, v6, v5
.LBB38_1245:
	s_or_b64 exec, exec, s[26:27]
.LBB38_1246:
	s_mov_b64 s[24:25], -1
.LBB38_1247:
	s_branch .LBB38_1280
.LBB38_1248:
	v_cmp_lt_i16_e32 vcc, 22, v8
	s_cbranch_vccz .LBB38_1258
; %bb.1249:
	v_cmp_gt_i16_e32 vcc, 24, v8
	s_cbranch_vccnz .LBB38_1261
; %bb.1250:
	v_cmp_lt_i16_e32 vcc, 24, v8
	s_cbranch_vccz .LBB38_1262
; %bb.1251:
	global_load_ubyte v5, v[2:3], off
	s_movk_i32 s15, 0x7f
	s_waitcnt vmcnt(0)
	v_cmp_lt_i16_e32 vcc, s15, v5
                                        ; implicit-def: $sgpr15
	s_and_saveexec_b64 s[24:25], vcc
	s_xor_b64 s[24:25], exec, s[24:25]
	s_cbranch_execz .LBB38_1274
; %bb.1252:
	s_movk_i32 s15, 0x80
	v_cmp_eq_u16_e32 vcc, s15, v5
	s_mov_b64 s[22:23], -1
                                        ; implicit-def: $sgpr15
	s_and_saveexec_b64 s[26:27], vcc
; %bb.1253:
	s_mov_b32 s15, 0x7f800001
	s_xor_b64 s[22:23], exec, -1
; %bb.1254:
	s_or_b64 exec, exec, s[26:27]
	s_and_b64 s[22:23], s[22:23], exec
	s_or_saveexec_b64 s[24:25], s[24:25]
	v_mov_b32_e32 v4, s15
	s_xor_b64 exec, exec, s[24:25]
	s_cbranch_execnz .LBB38_1275
.LBB38_1255:
	s_or_b64 exec, exec, s[24:25]
	s_and_saveexec_b64 s[24:25], s[22:23]
	s_cbranch_execz .LBB38_1257
.LBB38_1256:
	v_lshlrev_b32_e32 v4, 24, v5
	v_and_b32_e32 v5, 0xffff, v5
	v_and_b32_e32 v6, 3, v5
	v_ffbh_u32_e32 v10, v6
	v_min_u32_e32 v10, 32, v10
	v_subrev_u32_e32 v11, 29, v10
	v_bfe_u32 v9, v5, 2, 5
	v_lshlrev_b32_e32 v5, v11, v5
	v_sub_u32_e32 v10, 30, v10
	v_and_b32_e32 v5, 3, v5
	v_cmp_eq_u32_e32 vcc, 0, v9
	v_cndmask_b32_e32 v9, v9, v10, vcc
	v_cndmask_b32_e32 v5, v6, v5, vcc
	v_mov_b32_e32 v6, 0x37800000
	v_lshlrev_b32_e32 v5, 21, v5
	v_and_b32_e32 v4, 0x80000000, v4
	v_lshl_add_u32 v6, v9, 23, v6
	v_or3_b32 v4, v4, v6, v5
.LBB38_1257:
	s_or_b64 exec, exec, s[24:25]
	s_mov_b64 s[22:23], 0
	s_branch .LBB38_1263
.LBB38_1258:
	s_mov_b64 s[22:23], -1
                                        ; implicit-def: $vgpr4
	s_branch .LBB38_1269
.LBB38_1259:
	s_or_saveexec_b64 s[26:27], s[26:27]
	v_mov_b32_e32 v4, s15
	s_xor_b64 exec, exec, s[26:27]
	s_cbranch_execz .LBB38_1243
.LBB38_1260:
	v_cmp_ne_u16_e32 vcc, 0, v5
	s_andn2_b64 s[24:25], s[24:25], exec
	s_and_b64 s[28:29], vcc, exec
	v_mov_b32_e32 v4, 0
	s_or_b64 s[24:25], s[24:25], s[28:29]
	s_or_b64 exec, exec, s[26:27]
	s_and_saveexec_b64 s[26:27], s[24:25]
	s_cbranch_execnz .LBB38_1244
	s_branch .LBB38_1245
.LBB38_1261:
	s_mov_b64 s[22:23], -1
                                        ; implicit-def: $vgpr4
	s_branch .LBB38_1266
.LBB38_1262:
	s_mov_b64 s[22:23], -1
                                        ; implicit-def: $vgpr4
.LBB38_1263:
	s_and_b64 vcc, exec, s[22:23]
	s_cbranch_vccz .LBB38_1265
; %bb.1264:
	global_load_ubyte v4, v[2:3], off
	s_mov_b32 s15, 0x7f800000
	s_waitcnt vmcnt(0)
	v_lshlrev_b32_e32 v4, 24, v4
	v_and_b32_e32 v5, 0x7f000000, v4
	v_ffbh_u32_e32 v6, v5
	v_min_u32_e32 v6, 32, v6
	v_sub_u32_e64 v6, v6, 4 clamp
	v_lshlrev_b32_e32 v10, v6, v5
	v_lshlrev_b32_e32 v6, 23, v6
	v_lshrrev_b32_e32 v10, 4, v10
	v_add_u32_e32 v9, 0x1000000, v5
	v_sub_u32_e32 v6, v10, v6
	v_ashrrev_i32_e32 v9, 8, v9
	v_add_u32_e32 v6, 0x3c000000, v6
	v_and_or_b32 v6, v9, s15, v6
	v_cmp_ne_u32_e32 vcc, 0, v5
	v_cndmask_b32_e32 v5, 0, v6, vcc
	s_brev_b32 s15, 1
	v_and_or_b32 v4, v4, s15, v5
.LBB38_1265:
	s_mov_b64 s[22:23], 0
.LBB38_1266:
	s_andn2_b64 vcc, exec, s[22:23]
	s_cbranch_vccnz .LBB38_1268
; %bb.1267:
	global_load_ubyte v4, v[2:3], off
	s_movk_i32 s15, 0x7f00
	s_brev_b32 s22, 16
	s_waitcnt vmcnt(0)
	v_lshlrev_b16_e32 v5, 8, v4
	v_lshlrev_b32_e32 v4, 25, v4
	v_lshrrev_b32_e32 v6, 4, v4
	v_and_or_b32 v9, v5, s15, 0.5
	v_or_b32_e32 v6, 0x70000000, v6
	v_add_f32_e32 v9, -0.5, v9
	v_mul_f32_e32 v6, 0x7800000, v6
	v_cmp_gt_u32_e32 vcc, s22, v4
	v_bfe_i32 v5, v5, 0, 16
	v_cndmask_b32_e32 v4, v6, v9, vcc
	s_brev_b32 s15, 1
	v_and_or_b32 v4, v5, s15, v4
.LBB38_1268:
	s_mov_b64 s[22:23], 0
	s_mov_b64 s[24:25], -1
.LBB38_1269:
	s_andn2_b64 vcc, exec, s[22:23]
	s_mov_b64 s[22:23], 0
	s_cbranch_vccnz .LBB38_1280
; %bb.1270:
	v_cmp_lt_i16_e32 vcc, 14, v8
	s_cbranch_vccz .LBB38_1273
; %bb.1271:
	v_cmp_eq_u16_e32 vcc, 15, v8
	s_cbranch_vccz .LBB38_1276
; %bb.1272:
	global_load_ushort v4, v[2:3], off
	s_mov_b64 s[2:3], 0
	s_mov_b64 s[24:25], -1
	s_waitcnt vmcnt(0)
	v_lshlrev_b32_e32 v4, 16, v4
	s_branch .LBB38_1277
.LBB38_1273:
	s_mov_b64 s[26:27], -1
                                        ; implicit-def: $vgpr4
	s_branch .LBB38_1278
.LBB38_1274:
	s_or_saveexec_b64 s[24:25], s[24:25]
	v_mov_b32_e32 v4, s15
	s_xor_b64 exec, exec, s[24:25]
	s_cbranch_execz .LBB38_1255
.LBB38_1275:
	v_cmp_ne_u16_e32 vcc, 0, v5
	s_andn2_b64 s[22:23], s[22:23], exec
	s_and_b64 s[26:27], vcc, exec
	v_mov_b32_e32 v4, 0
	s_or_b64 s[22:23], s[22:23], s[26:27]
	s_or_b64 exec, exec, s[24:25]
	s_and_saveexec_b64 s[24:25], s[22:23]
	s_cbranch_execnz .LBB38_1256
	s_branch .LBB38_1257
.LBB38_1276:
	s_mov_b64 s[2:3], -1
                                        ; implicit-def: $vgpr4
.LBB38_1277:
	s_mov_b64 s[26:27], 0
.LBB38_1278:
	s_and_b64 vcc, exec, s[26:27]
	s_cbranch_vccz .LBB38_1280
; %bb.1279:
	v_cmp_ne_u16_e64 s[2:3], 11, v8
	s_mov_b64 s[22:23], -1
                                        ; implicit-def: $vgpr4
.LBB38_1280:
	s_and_b64 vcc, exec, s[2:3]
	s_cbranch_vccnz .LBB38_1353
; %bb.1281:
	s_andn2_b64 vcc, exec, s[22:23]
	s_cbranch_vccnz .LBB38_1283
.LBB38_1282:
	global_load_ubyte v4, v[2:3], off
	s_mov_b64 s[24:25], -1
	s_waitcnt vmcnt(0)
	v_cmp_ne_u16_e32 vcc, 0, v4
	v_cndmask_b32_e64 v4, 0, 1.0, vcc
.LBB38_1283:
	s_branch .LBB38_1210
.LBB38_1284:
	v_cmp_gt_i16_e32 vcc, 5, v8
	s_cbranch_vccnz .LBB38_1289
; %bb.1285:
	v_cmp_gt_i16_e32 vcc, 8, v8
	s_cbranch_vccnz .LBB38_1290
; %bb.1286:
	;; [unrolled: 3-line block ×3, first 2 shown]
	v_cmp_lt_i16_e32 vcc, 9, v8
	s_cbranch_vccz .LBB38_1292
; %bb.1288:
	global_load_dwordx2 v[4:5], v[2:3], off
	s_mov_b64 s[2:3], 0
	s_waitcnt vmcnt(0)
	v_cvt_f32_f64_e32 v4, v[4:5]
	s_branch .LBB38_1293
.LBB38_1289:
                                        ; implicit-def: $vgpr4
	s_branch .LBB38_1311
.LBB38_1290:
	s_mov_b64 s[2:3], -1
                                        ; implicit-def: $vgpr4
	s_branch .LBB38_1299
.LBB38_1291:
	s_mov_b64 s[2:3], -1
                                        ; implicit-def: $vgpr4
	s_branch .LBB38_1296
.LBB38_1292:
	s_mov_b64 s[2:3], -1
                                        ; implicit-def: $vgpr4
.LBB38_1293:
	s_andn2_b64 vcc, exec, s[2:3]
	s_cbranch_vccnz .LBB38_1295
; %bb.1294:
	global_load_dword v4, v[2:3], off
.LBB38_1295:
	s_mov_b64 s[2:3], 0
.LBB38_1296:
	s_andn2_b64 vcc, exec, s[2:3]
	s_cbranch_vccnz .LBB38_1298
; %bb.1297:
	global_load_dword v4, v[2:3], off
	s_waitcnt vmcnt(0)
	v_cvt_f32_f16_e32 v4, v4
.LBB38_1298:
	s_mov_b64 s[2:3], 0
.LBB38_1299:
	s_andn2_b64 vcc, exec, s[2:3]
	s_cbranch_vccnz .LBB38_1310
; %bb.1300:
	v_cmp_gt_i16_e32 vcc, 6, v8
	s_cbranch_vccnz .LBB38_1303
; %bb.1301:
	v_cmp_lt_i16_e32 vcc, 6, v8
	s_cbranch_vccz .LBB38_1304
; %bb.1302:
	global_load_dwordx2 v[4:5], v[2:3], off
	s_mov_b64 s[2:3], 0
	s_waitcnt vmcnt(0)
	v_cvt_f32_f64_e32 v4, v[4:5]
	s_branch .LBB38_1305
.LBB38_1303:
	s_mov_b64 s[2:3], -1
                                        ; implicit-def: $vgpr4
	s_branch .LBB38_1308
.LBB38_1304:
	s_mov_b64 s[2:3], -1
                                        ; implicit-def: $vgpr4
.LBB38_1305:
	s_andn2_b64 vcc, exec, s[2:3]
	s_cbranch_vccnz .LBB38_1307
; %bb.1306:
	global_load_dword v4, v[2:3], off
.LBB38_1307:
	s_mov_b64 s[2:3], 0
.LBB38_1308:
	s_andn2_b64 vcc, exec, s[2:3]
	s_cbranch_vccnz .LBB38_1310
; %bb.1309:
	global_load_ushort v4, v[2:3], off
	s_waitcnt vmcnt(0)
	v_cvt_f32_f16_e32 v4, v4
.LBB38_1310:
	s_cbranch_execnz .LBB38_1330
.LBB38_1311:
	v_cmp_gt_i16_e32 vcc, 2, v8
	s_cbranch_vccnz .LBB38_1315
; %bb.1312:
	v_cmp_gt_i16_e32 vcc, 3, v8
	s_cbranch_vccnz .LBB38_1316
; %bb.1313:
	v_cmp_lt_i16_e32 vcc, 3, v8
	s_cbranch_vccz .LBB38_1317
; %bb.1314:
	global_load_dwordx2 v[4:5], v[2:3], off
	s_mov_b64 s[2:3], 0
	s_waitcnt vmcnt(0)
	v_xor_b32_e32 v9, v4, v5
	v_ffbh_i32_e32 v6, v5
	v_ashrrev_i32_e32 v9, 31, v9
	v_add_u32_e32 v6, -1, v6
	v_add_u32_e32 v9, 32, v9
	v_min_u32_e32 v6, v6, v9
	v_lshlrev_b64 v[4:5], v6, v[4:5]
	v_min_u32_e32 v4, 1, v4
	v_or_b32_e32 v4, v5, v4
	v_cvt_f32_i32_e32 v4, v4
	v_sub_u32_e32 v5, 32, v6
	v_ldexp_f32 v4, v4, v5
	s_branch .LBB38_1318
.LBB38_1315:
	s_mov_b64 s[2:3], -1
                                        ; implicit-def: $vgpr4
	s_branch .LBB38_1324
.LBB38_1316:
	s_mov_b64 s[2:3], -1
                                        ; implicit-def: $vgpr4
	s_branch .LBB38_1321
.LBB38_1317:
	s_mov_b64 s[2:3], -1
                                        ; implicit-def: $vgpr4
.LBB38_1318:
	s_andn2_b64 vcc, exec, s[2:3]
	s_cbranch_vccnz .LBB38_1320
; %bb.1319:
	global_load_dword v4, v[2:3], off
	s_waitcnt vmcnt(0)
	v_cvt_f32_i32_e32 v4, v4
.LBB38_1320:
	s_mov_b64 s[2:3], 0
.LBB38_1321:
	s_andn2_b64 vcc, exec, s[2:3]
	s_cbranch_vccnz .LBB38_1323
; %bb.1322:
	global_load_sshort v4, v[2:3], off
	s_waitcnt vmcnt(0)
	v_cvt_f32_i32_e32 v4, v4
.LBB38_1323:
	s_mov_b64 s[2:3], 0
.LBB38_1324:
	s_andn2_b64 vcc, exec, s[2:3]
	s_cbranch_vccnz .LBB38_1330
; %bb.1325:
	v_cmp_lt_i16_e32 vcc, 0, v8
	s_cbranch_vccz .LBB38_1327
; %bb.1326:
	global_load_sbyte v4, v[2:3], off
	s_mov_b64 s[2:3], 0
	s_waitcnt vmcnt(0)
	v_cvt_f32_i32_e32 v4, v4
	s_branch .LBB38_1328
.LBB38_1327:
	s_mov_b64 s[2:3], -1
                                        ; implicit-def: $vgpr4
.LBB38_1328:
	s_andn2_b64 vcc, exec, s[2:3]
	s_cbranch_vccnz .LBB38_1330
; %bb.1329:
	global_load_ubyte v2, v[2:3], off
	s_waitcnt vmcnt(0)
	v_cvt_f32_ubyte0_e32 v4, v2
.LBB38_1330:
.LBB38_1331:
	v_cndmask_b32_e64 v2, 0, 1, s[20:21]
	v_cmp_ne_u32_e64 s[2:3], 1, v2
	s_andn2_b64 vcc, exec, s[20:21]
	v_mov_b32_e32 v2, 0
	s_cbranch_vccnz .LBB38_1341
; %bb.1332:
	v_cmp_lt_i64_e64 s[20:21], s[4:5], 1
	s_and_b64 vcc, exec, s[20:21]
	v_mov_b32_e32 v2, 1.0
	s_cbranch_vccnz .LBB38_1341
; %bb.1333:
	s_cmp_lg_u64 s[4:5], 1
	s_cbranch_scc0 .LBB38_1338
; %bb.1334:
	v_mov_b32_e32 v2, 0x80
	v_mov_b32_e32 v3, 0
	v_cmp_gt_u64_e32 vcc, s[4:5], v[2:3]
	v_mov_b32_e32 v2, 0x7fc00000
	s_cbranch_vccnz .LBB38_1337
; %bb.1335:
	s_mov_b64 s[20:21], 1
	v_mov_b32_e32 v3, 1.0
	s_waitcnt vmcnt(0)
	v_mov_b32_e32 v2, v4
.LBB38_1336:                            ; =>This Inner Loop Header: Depth=1
	s_flbit_i32_b32 s15, s21
	s_min_u32 s15, s15, 32
	s_lshl_b64 s[22:23], s[20:21], s15
	s_min_u32 s22, s22, 1
	s_or_b32 s22, s23, s22
	v_cvt_f32_u32_e32 v5, s22
	s_sub_i32 s15, 32, s15
	s_add_u32 s20, s20, 1
	s_addc_u32 s21, s21, 0
	v_ldexp_f32 v5, v5, s15
	v_mul_f32_e32 v5, v3, v5
	s_cmp_lg_u64 s[4:5], s[20:21]
	v_mov_b32_e32 v3, v2
	v_fma_f32 v2, v4, v2, -v5
	s_cbranch_scc1 .LBB38_1336
.LBB38_1337:
	s_mov_b64 s[20:21], 0
	s_branch .LBB38_1339
.LBB38_1338:
	s_mov_b64 s[20:21], -1
                                        ; implicit-def: $vgpr2
.LBB38_1339:
	s_andn2_b64 vcc, exec, s[20:21]
	s_cbranch_vccnz .LBB38_1341
; %bb.1340:
	s_waitcnt vmcnt(0)
	v_mov_b32_e32 v2, v4
.LBB38_1341:
	v_add_u32_e32 v1, s12, v1
	v_ashrrev_i32_e32 v3, 31, v1
	v_mov_b32_e32 v5, s11
	s_waitcnt vmcnt(0)
	v_add_co_u32_e32 v4, vcc, s10, v1
	v_addc_co_u32_e32 v5, vcc, v5, v3, vcc
	s_and_b64 vcc, exec, s[0:1]
	s_cbranch_vccnz .LBB38_1348
; %bb.1342:
	v_cmp_lt_i16_e32 vcc, 25, v8
	s_mov_b64 s[22:23], 0
	s_cbranch_vccz .LBB38_1350
; %bb.1343:
	v_cmp_lt_i16_e32 vcc, 28, v8
	s_cbranch_vccz .LBB38_1351
; %bb.1344:
	v_cmp_lt_i16_e32 vcc, 43, v8
	;; [unrolled: 3-line block ×3, first 2 shown]
	s_cbranch_vccz .LBB38_1354
; %bb.1346:
	v_cmp_eq_u16_e32 vcc, 46, v8
	s_mov_b64 s[26:27], 0
	s_cbranch_vccz .LBB38_1355
; %bb.1347:
	global_load_dword v3, v[4:5], off
	s_mov_b64 s[20:21], 0
	s_mov_b64 s[24:25], -1
	s_waitcnt vmcnt(0)
	v_lshlrev_b32_e32 v3, 16, v3
	s_branch .LBB38_1356
.LBB38_1348:
	s_mov_b64 s[24:25], 0
                                        ; implicit-def: $vgpr3
	s_cbranch_execnz .LBB38_1422
.LBB38_1349:
	s_andn2_b64 vcc, exec, s[24:25]
	s_cbranch_vccnz .LBB38_1617
	s_branch .LBB38_1470
.LBB38_1350:
	s_mov_b64 s[26:27], -1
	s_mov_b64 s[24:25], 0
	s_mov_b64 s[20:21], 0
                                        ; implicit-def: $vgpr3
	s_branch .LBB38_1385
.LBB38_1351:
	s_mov_b64 s[26:27], -1
	s_mov_b64 s[24:25], 0
	s_mov_b64 s[20:21], 0
                                        ; implicit-def: $vgpr3
	s_branch .LBB38_1366
.LBB38_1352:
	s_mov_b64 s[26:27], -1
	s_mov_b64 s[24:25], 0
	s_mov_b64 s[20:21], 0
                                        ; implicit-def: $vgpr3
	s_branch .LBB38_1361
.LBB38_1353:
	s_trap 2
	s_or_b64 s[18:19], s[18:19], exec
                                        ; implicit-def: $vgpr4
	s_cbranch_execz .LBB38_1282
	s_branch .LBB38_1283
.LBB38_1354:
	s_mov_b64 s[26:27], -1
	s_mov_b64 s[24:25], 0
	s_mov_b64 s[20:21], 0
                                        ; implicit-def: $vgpr3
	s_branch .LBB38_1356
.LBB38_1355:
	s_mov_b64 s[20:21], -1
                                        ; implicit-def: $vgpr3
	s_mov_b64 s[24:25], 0
.LBB38_1356:
	s_and_b64 vcc, exec, s[26:27]
	s_cbranch_vccz .LBB38_1360
; %bb.1357:
	v_cmp_eq_u16_e32 vcc, 44, v8
	s_cbranch_vccz .LBB38_1359
; %bb.1358:
	global_load_ubyte v3, v[4:5], off
	s_movk_i32 s15, 0xff
	v_mov_b32_e32 v6, 0x7f800001
	v_mov_b32_e32 v9, 0x400000
	s_mov_b64 s[20:21], 0
	s_mov_b64 s[24:25], -1
	s_waitcnt vmcnt(0)
	v_lshlrev_b32_e32 v10, 23, v3
	v_cmp_ne_u32_e32 vcc, s15, v3
	v_cndmask_b32_e32 v6, v6, v10, vcc
	v_cmp_ne_u32_e32 vcc, 0, v3
	v_cndmask_b32_e32 v3, v9, v6, vcc
	s_branch .LBB38_1360
.LBB38_1359:
	s_mov_b64 s[20:21], -1
                                        ; implicit-def: $vgpr3
.LBB38_1360:
	s_mov_b64 s[26:27], 0
.LBB38_1361:
	s_and_b64 vcc, exec, s[26:27]
	s_cbranch_vccz .LBB38_1365
; %bb.1362:
	v_cmp_eq_u16_e32 vcc, 29, v8
	s_cbranch_vccz .LBB38_1364
; %bb.1363:
	global_load_dwordx2 v[10:11], v[4:5], off
	s_mov_b64 s[20:21], 0
	s_mov_b64 s[24:25], -1
	s_mov_b64 s[26:27], 0
	s_waitcnt vmcnt(0)
	v_ffbh_u32_e32 v3, v11
	v_min_u32_e32 v3, 32, v3
	v_lshlrev_b64 v[10:11], v3, v[10:11]
	v_min_u32_e32 v6, 1, v10
	v_or_b32_e32 v6, v11, v6
	v_cvt_f32_u32_e32 v6, v6
	v_sub_u32_e32 v3, 32, v3
	v_ldexp_f32 v3, v6, v3
	s_branch .LBB38_1366
.LBB38_1364:
	s_mov_b64 s[20:21], -1
                                        ; implicit-def: $vgpr3
.LBB38_1365:
	s_mov_b64 s[26:27], 0
.LBB38_1366:
	s_and_b64 vcc, exec, s[26:27]
	s_cbranch_vccz .LBB38_1384
; %bb.1367:
	v_cmp_gt_i16_e32 vcc, 27, v8
	s_cbranch_vccnz .LBB38_1370
; %bb.1368:
	v_cmp_lt_i16_e32 vcc, 27, v8
	s_cbranch_vccz .LBB38_1371
; %bb.1369:
	global_load_dword v3, v[4:5], off
	s_mov_b64 s[24:25], 0
	s_waitcnt vmcnt(0)
	v_cvt_f32_u32_e32 v3, v3
	s_branch .LBB38_1372
.LBB38_1370:
	s_mov_b64 s[24:25], -1
                                        ; implicit-def: $vgpr3
	s_branch .LBB38_1375
.LBB38_1371:
	s_mov_b64 s[24:25], -1
                                        ; implicit-def: $vgpr3
.LBB38_1372:
	s_andn2_b64 vcc, exec, s[24:25]
	s_cbranch_vccnz .LBB38_1374
; %bb.1373:
	global_load_ushort v3, v[4:5], off
	s_waitcnt vmcnt(0)
	v_cvt_f32_u32_e32 v3, v3
.LBB38_1374:
	s_mov_b64 s[24:25], 0
.LBB38_1375:
	s_andn2_b64 vcc, exec, s[24:25]
	s_cbranch_vccnz .LBB38_1383
; %bb.1376:
	global_load_ubyte v6, v[4:5], off
	s_movk_i32 s15, 0x7f
	s_mov_b64 s[24:25], 0
	s_waitcnt vmcnt(0)
	v_cmp_lt_i16_e32 vcc, s15, v6
                                        ; implicit-def: $sgpr15
	s_and_saveexec_b64 s[26:27], vcc
	s_xor_b64 s[26:27], exec, s[26:27]
	s_cbranch_execz .LBB38_1397
; %bb.1377:
	s_movk_i32 s15, 0x80
	v_cmp_eq_u16_e32 vcc, s15, v6
	s_mov_b64 s[24:25], -1
                                        ; implicit-def: $sgpr15
	s_and_saveexec_b64 s[28:29], vcc
; %bb.1378:
	s_mov_b32 s15, 0x7f800001
	s_xor_b64 s[24:25], exec, -1
; %bb.1379:
	s_or_b64 exec, exec, s[28:29]
	s_and_b64 s[24:25], s[24:25], exec
	s_or_saveexec_b64 s[26:27], s[26:27]
	v_mov_b32_e32 v3, s15
	s_xor_b64 exec, exec, s[26:27]
	s_cbranch_execnz .LBB38_1398
.LBB38_1380:
	s_or_b64 exec, exec, s[26:27]
	s_and_saveexec_b64 s[26:27], s[24:25]
	s_cbranch_execz .LBB38_1382
.LBB38_1381:
	v_lshlrev_b32_e32 v3, 24, v6
	v_and_b32_e32 v6, 0xffff, v6
	v_and_b32_e32 v9, 7, v6
	v_ffbh_u32_e32 v11, v9
	v_min_u32_e32 v11, 32, v11
	v_subrev_u32_e32 v12, 28, v11
	v_bfe_u32 v10, v6, 3, 4
	v_lshlrev_b32_e32 v6, v12, v6
	v_sub_u32_e32 v11, 29, v11
	v_and_b32_e32 v6, 7, v6
	v_cmp_eq_u32_e32 vcc, 0, v10
	v_cndmask_b32_e32 v10, v10, v11, vcc
	v_cndmask_b32_e32 v6, v9, v6, vcc
	v_mov_b32_e32 v9, 0x3b800000
	v_lshlrev_b32_e32 v6, 20, v6
	v_and_b32_e32 v3, 0x80000000, v3
	v_lshl_add_u32 v9, v10, 23, v9
	v_or3_b32 v3, v3, v9, v6
.LBB38_1382:
	s_or_b64 exec, exec, s[26:27]
.LBB38_1383:
	s_mov_b64 s[24:25], -1
.LBB38_1384:
	s_mov_b64 s[26:27], 0
.LBB38_1385:
	s_and_b64 vcc, exec, s[26:27]
	s_cbranch_vccz .LBB38_1418
; %bb.1386:
	v_cmp_lt_i16_e32 vcc, 22, v8
	s_cbranch_vccz .LBB38_1396
; %bb.1387:
	v_cmp_gt_i16_e32 vcc, 24, v8
	s_cbranch_vccnz .LBB38_1399
; %bb.1388:
	v_cmp_lt_i16_e32 vcc, 24, v8
	s_cbranch_vccz .LBB38_1400
; %bb.1389:
	global_load_ubyte v6, v[4:5], off
	s_movk_i32 s15, 0x7f
	s_waitcnt vmcnt(0)
	v_cmp_lt_i16_e32 vcc, s15, v6
                                        ; implicit-def: $sgpr15
	s_and_saveexec_b64 s[24:25], vcc
	s_xor_b64 s[24:25], exec, s[24:25]
	s_cbranch_execz .LBB38_1412
; %bb.1390:
	s_movk_i32 s15, 0x80
	v_cmp_eq_u16_e32 vcc, s15, v6
	s_mov_b64 s[22:23], -1
                                        ; implicit-def: $sgpr15
	s_and_saveexec_b64 s[26:27], vcc
; %bb.1391:
	s_mov_b32 s15, 0x7f800001
	s_xor_b64 s[22:23], exec, -1
; %bb.1392:
	s_or_b64 exec, exec, s[26:27]
	s_and_b64 s[22:23], s[22:23], exec
	s_or_saveexec_b64 s[24:25], s[24:25]
	v_mov_b32_e32 v3, s15
	s_xor_b64 exec, exec, s[24:25]
	s_cbranch_execnz .LBB38_1413
.LBB38_1393:
	s_or_b64 exec, exec, s[24:25]
	s_and_saveexec_b64 s[24:25], s[22:23]
	s_cbranch_execz .LBB38_1395
.LBB38_1394:
	v_lshlrev_b32_e32 v3, 24, v6
	v_and_b32_e32 v6, 0xffff, v6
	v_and_b32_e32 v9, 3, v6
	v_ffbh_u32_e32 v11, v9
	v_min_u32_e32 v11, 32, v11
	v_subrev_u32_e32 v12, 29, v11
	v_bfe_u32 v10, v6, 2, 5
	v_lshlrev_b32_e32 v6, v12, v6
	v_sub_u32_e32 v11, 30, v11
	v_and_b32_e32 v6, 3, v6
	v_cmp_eq_u32_e32 vcc, 0, v10
	v_cndmask_b32_e32 v10, v10, v11, vcc
	v_cndmask_b32_e32 v6, v9, v6, vcc
	v_mov_b32_e32 v9, 0x37800000
	v_lshlrev_b32_e32 v6, 21, v6
	v_and_b32_e32 v3, 0x80000000, v3
	v_lshl_add_u32 v9, v10, 23, v9
	v_or3_b32 v3, v3, v9, v6
.LBB38_1395:
	s_or_b64 exec, exec, s[24:25]
	s_mov_b64 s[22:23], 0
	s_branch .LBB38_1401
.LBB38_1396:
	s_mov_b64 s[22:23], -1
                                        ; implicit-def: $vgpr3
	s_branch .LBB38_1407
.LBB38_1397:
	s_or_saveexec_b64 s[26:27], s[26:27]
	v_mov_b32_e32 v3, s15
	s_xor_b64 exec, exec, s[26:27]
	s_cbranch_execz .LBB38_1380
.LBB38_1398:
	v_cmp_ne_u16_e32 vcc, 0, v6
	s_andn2_b64 s[24:25], s[24:25], exec
	s_and_b64 s[28:29], vcc, exec
	v_mov_b32_e32 v3, 0
	s_or_b64 s[24:25], s[24:25], s[28:29]
	s_or_b64 exec, exec, s[26:27]
	s_and_saveexec_b64 s[26:27], s[24:25]
	s_cbranch_execnz .LBB38_1381
	s_branch .LBB38_1382
.LBB38_1399:
	s_mov_b64 s[22:23], -1
                                        ; implicit-def: $vgpr3
	s_branch .LBB38_1404
.LBB38_1400:
	s_mov_b64 s[22:23], -1
                                        ; implicit-def: $vgpr3
.LBB38_1401:
	s_and_b64 vcc, exec, s[22:23]
	s_cbranch_vccz .LBB38_1403
; %bb.1402:
	global_load_ubyte v3, v[4:5], off
	s_mov_b32 s15, 0x7f800000
	s_waitcnt vmcnt(0)
	v_lshlrev_b32_e32 v3, 24, v3
	v_and_b32_e32 v6, 0x7f000000, v3
	v_ffbh_u32_e32 v9, v6
	v_min_u32_e32 v9, 32, v9
	v_sub_u32_e64 v9, v9, 4 clamp
	v_lshlrev_b32_e32 v11, v9, v6
	v_lshlrev_b32_e32 v9, 23, v9
	v_lshrrev_b32_e32 v11, 4, v11
	v_add_u32_e32 v10, 0x1000000, v6
	v_sub_u32_e32 v9, v11, v9
	v_ashrrev_i32_e32 v10, 8, v10
	v_add_u32_e32 v9, 0x3c000000, v9
	v_and_or_b32 v9, v10, s15, v9
	v_cmp_ne_u32_e32 vcc, 0, v6
	v_cndmask_b32_e32 v6, 0, v9, vcc
	s_brev_b32 s15, 1
	v_and_or_b32 v3, v3, s15, v6
.LBB38_1403:
	s_mov_b64 s[22:23], 0
.LBB38_1404:
	s_andn2_b64 vcc, exec, s[22:23]
	s_cbranch_vccnz .LBB38_1406
; %bb.1405:
	global_load_ubyte v3, v[4:5], off
	s_movk_i32 s15, 0x7f00
	s_brev_b32 s22, 16
	s_waitcnt vmcnt(0)
	v_lshlrev_b16_e32 v6, 8, v3
	v_lshlrev_b32_e32 v3, 25, v3
	v_lshrrev_b32_e32 v9, 4, v3
	v_and_or_b32 v10, v6, s15, 0.5
	v_or_b32_e32 v9, 0x70000000, v9
	v_add_f32_e32 v10, -0.5, v10
	v_mul_f32_e32 v9, 0x7800000, v9
	v_cmp_gt_u32_e32 vcc, s22, v3
	v_bfe_i32 v6, v6, 0, 16
	v_cndmask_b32_e32 v3, v9, v10, vcc
	s_brev_b32 s15, 1
	v_and_or_b32 v3, v6, s15, v3
.LBB38_1406:
	s_mov_b64 s[22:23], 0
	s_mov_b64 s[24:25], -1
.LBB38_1407:
	s_andn2_b64 vcc, exec, s[22:23]
	s_mov_b64 s[22:23], 0
	s_cbranch_vccnz .LBB38_1418
; %bb.1408:
	v_cmp_lt_i16_e32 vcc, 14, v8
	s_cbranch_vccz .LBB38_1411
; %bb.1409:
	v_cmp_eq_u16_e32 vcc, 15, v8
	s_cbranch_vccz .LBB38_1414
; %bb.1410:
	global_load_ushort v3, v[4:5], off
	s_mov_b64 s[20:21], 0
	s_mov_b64 s[24:25], -1
	s_waitcnt vmcnt(0)
	v_lshlrev_b32_e32 v3, 16, v3
	s_branch .LBB38_1415
.LBB38_1411:
	s_mov_b64 s[26:27], -1
                                        ; implicit-def: $vgpr3
	s_branch .LBB38_1416
.LBB38_1412:
	s_or_saveexec_b64 s[24:25], s[24:25]
	v_mov_b32_e32 v3, s15
	s_xor_b64 exec, exec, s[24:25]
	s_cbranch_execz .LBB38_1393
.LBB38_1413:
	v_cmp_ne_u16_e32 vcc, 0, v6
	s_andn2_b64 s[22:23], s[22:23], exec
	s_and_b64 s[26:27], vcc, exec
	v_mov_b32_e32 v3, 0
	s_or_b64 s[22:23], s[22:23], s[26:27]
	s_or_b64 exec, exec, s[24:25]
	s_and_saveexec_b64 s[24:25], s[22:23]
	s_cbranch_execnz .LBB38_1394
	s_branch .LBB38_1395
.LBB38_1414:
	s_mov_b64 s[20:21], -1
                                        ; implicit-def: $vgpr3
.LBB38_1415:
	s_mov_b64 s[26:27], 0
.LBB38_1416:
	s_and_b64 vcc, exec, s[26:27]
	s_cbranch_vccz .LBB38_1418
; %bb.1417:
	v_cmp_ne_u16_e64 s[20:21], 11, v8
	s_mov_b64 s[22:23], -1
                                        ; implicit-def: $vgpr3
.LBB38_1418:
	s_and_b64 vcc, exec, s[20:21]
	s_cbranch_vccnz .LBB38_1491
; %bb.1419:
	s_andn2_b64 vcc, exec, s[22:23]
	s_cbranch_vccnz .LBB38_1421
.LBB38_1420:
	global_load_ubyte v3, v[4:5], off
	s_mov_b64 s[24:25], -1
	s_waitcnt vmcnt(0)
	v_cmp_ne_u16_e32 vcc, 0, v3
	v_cndmask_b32_e64 v3, 0, 1.0, vcc
.LBB38_1421:
	s_branch .LBB38_1349
.LBB38_1422:
	v_cmp_gt_i16_e32 vcc, 5, v8
	s_cbranch_vccnz .LBB38_1427
; %bb.1423:
	v_cmp_gt_i16_e32 vcc, 8, v8
	s_cbranch_vccnz .LBB38_1428
; %bb.1424:
	;; [unrolled: 3-line block ×3, first 2 shown]
	v_cmp_lt_i16_e32 vcc, 9, v8
	s_cbranch_vccz .LBB38_1430
; %bb.1426:
	global_load_dwordx2 v[10:11], v[4:5], off
	s_mov_b64 s[20:21], 0
	s_waitcnt vmcnt(0)
	v_cvt_f32_f64_e32 v3, v[10:11]
	s_branch .LBB38_1431
.LBB38_1427:
	s_mov_b64 s[20:21], -1
                                        ; implicit-def: $vgpr3
	s_branch .LBB38_1449
.LBB38_1428:
	s_mov_b64 s[20:21], -1
                                        ; implicit-def: $vgpr3
	s_branch .LBB38_1437
.LBB38_1429:
	s_mov_b64 s[20:21], -1
                                        ; implicit-def: $vgpr3
	s_branch .LBB38_1434
.LBB38_1430:
	s_mov_b64 s[20:21], -1
                                        ; implicit-def: $vgpr3
.LBB38_1431:
	s_andn2_b64 vcc, exec, s[20:21]
	s_cbranch_vccnz .LBB38_1433
; %bb.1432:
	global_load_dword v3, v[4:5], off
.LBB38_1433:
	s_mov_b64 s[20:21], 0
.LBB38_1434:
	s_andn2_b64 vcc, exec, s[20:21]
	s_cbranch_vccnz .LBB38_1436
; %bb.1435:
	global_load_dword v3, v[4:5], off
	s_waitcnt vmcnt(0)
	v_cvt_f32_f16_e32 v3, v3
.LBB38_1436:
	s_mov_b64 s[20:21], 0
.LBB38_1437:
	s_andn2_b64 vcc, exec, s[20:21]
	s_cbranch_vccnz .LBB38_1448
; %bb.1438:
	v_cmp_gt_i16_e32 vcc, 6, v8
	s_cbranch_vccnz .LBB38_1441
; %bb.1439:
	v_cmp_lt_i16_e32 vcc, 6, v8
	s_cbranch_vccz .LBB38_1442
; %bb.1440:
	global_load_dwordx2 v[10:11], v[4:5], off
	s_mov_b64 s[20:21], 0
	s_waitcnt vmcnt(0)
	v_cvt_f32_f64_e32 v3, v[10:11]
	s_branch .LBB38_1443
.LBB38_1441:
	s_mov_b64 s[20:21], -1
                                        ; implicit-def: $vgpr3
	s_branch .LBB38_1446
.LBB38_1442:
	s_mov_b64 s[20:21], -1
                                        ; implicit-def: $vgpr3
.LBB38_1443:
	s_andn2_b64 vcc, exec, s[20:21]
	s_cbranch_vccnz .LBB38_1445
; %bb.1444:
	global_load_dword v3, v[4:5], off
.LBB38_1445:
	s_mov_b64 s[20:21], 0
.LBB38_1446:
	s_andn2_b64 vcc, exec, s[20:21]
	s_cbranch_vccnz .LBB38_1448
; %bb.1447:
	global_load_ushort v3, v[4:5], off
	s_waitcnt vmcnt(0)
	v_cvt_f32_f16_e32 v3, v3
.LBB38_1448:
	s_mov_b64 s[20:21], 0
.LBB38_1449:
	s_andn2_b64 vcc, exec, s[20:21]
	s_cbranch_vccnz .LBB38_1469
; %bb.1450:
	v_cmp_gt_i16_e32 vcc, 2, v8
	s_cbranch_vccnz .LBB38_1454
; %bb.1451:
	v_cmp_gt_i16_e32 vcc, 3, v8
	s_cbranch_vccnz .LBB38_1455
; %bb.1452:
	v_cmp_lt_i16_e32 vcc, 3, v8
	s_cbranch_vccz .LBB38_1456
; %bb.1453:
	global_load_dwordx2 v[10:11], v[4:5], off
	s_mov_b64 s[20:21], 0
	s_waitcnt vmcnt(0)
	v_xor_b32_e32 v6, v10, v11
	v_ffbh_i32_e32 v3, v11
	v_ashrrev_i32_e32 v6, 31, v6
	v_add_u32_e32 v3, -1, v3
	v_add_u32_e32 v6, 32, v6
	v_min_u32_e32 v3, v3, v6
	v_lshlrev_b64 v[10:11], v3, v[10:11]
	v_min_u32_e32 v6, 1, v10
	v_or_b32_e32 v6, v11, v6
	v_cvt_f32_i32_e32 v6, v6
	v_sub_u32_e32 v3, 32, v3
	v_ldexp_f32 v3, v6, v3
	s_branch .LBB38_1457
.LBB38_1454:
	s_mov_b64 s[20:21], -1
                                        ; implicit-def: $vgpr3
	s_branch .LBB38_1463
.LBB38_1455:
	s_mov_b64 s[20:21], -1
                                        ; implicit-def: $vgpr3
	s_branch .LBB38_1460
.LBB38_1456:
	s_mov_b64 s[20:21], -1
                                        ; implicit-def: $vgpr3
.LBB38_1457:
	s_andn2_b64 vcc, exec, s[20:21]
	s_cbranch_vccnz .LBB38_1459
; %bb.1458:
	global_load_dword v3, v[4:5], off
	s_waitcnt vmcnt(0)
	v_cvt_f32_i32_e32 v3, v3
.LBB38_1459:
	s_mov_b64 s[20:21], 0
.LBB38_1460:
	s_andn2_b64 vcc, exec, s[20:21]
	s_cbranch_vccnz .LBB38_1462
; %bb.1461:
	global_load_sshort v3, v[4:5], off
	s_waitcnt vmcnt(0)
	v_cvt_f32_i32_e32 v3, v3
.LBB38_1462:
	s_mov_b64 s[20:21], 0
.LBB38_1463:
	s_andn2_b64 vcc, exec, s[20:21]
	s_cbranch_vccnz .LBB38_1469
; %bb.1464:
	v_cmp_lt_i16_e32 vcc, 0, v8
	s_cbranch_vccz .LBB38_1466
; %bb.1465:
	global_load_sbyte v3, v[4:5], off
	s_mov_b64 s[20:21], 0
	s_waitcnt vmcnt(0)
	v_cvt_f32_i32_e32 v3, v3
	s_branch .LBB38_1467
.LBB38_1466:
	s_mov_b64 s[20:21], -1
                                        ; implicit-def: $vgpr3
.LBB38_1467:
	s_andn2_b64 vcc, exec, s[20:21]
	s_cbranch_vccnz .LBB38_1469
; %bb.1468:
	global_load_ubyte v3, v[4:5], off
	s_waitcnt vmcnt(0)
	v_cvt_f32_ubyte0_e32 v3, v3
.LBB38_1469:
.LBB38_1470:
	s_and_b64 vcc, exec, s[2:3]
	v_mov_b32_e32 v6, 0
	s_cbranch_vccnz .LBB38_1480
; %bb.1471:
	v_cmp_lt_i64_e64 s[20:21], s[4:5], 1
	s_and_b64 vcc, exec, s[20:21]
	v_mov_b32_e32 v6, 1.0
	s_cbranch_vccnz .LBB38_1480
; %bb.1472:
	s_cmp_lg_u64 s[4:5], 1
	s_cbranch_scc0 .LBB38_1477
; %bb.1473:
	v_mov_b32_e32 v4, 0x80
	v_mov_b32_e32 v5, 0
	v_cmp_gt_u64_e32 vcc, s[4:5], v[4:5]
	v_mov_b32_e32 v6, 0x7fc00000
	s_cbranch_vccnz .LBB38_1476
; %bb.1474:
	s_mov_b64 s[20:21], 1
	v_mov_b32_e32 v4, 1.0
	s_waitcnt vmcnt(0)
	v_mov_b32_e32 v6, v3
.LBB38_1475:                            ; =>This Inner Loop Header: Depth=1
	s_flbit_i32_b32 s15, s21
	s_min_u32 s15, s15, 32
	s_lshl_b64 s[22:23], s[20:21], s15
	s_min_u32 s22, s22, 1
	s_or_b32 s22, s23, s22
	v_mov_b32_e32 v5, v6
	v_cvt_f32_u32_e32 v6, s22
	s_sub_i32 s15, 32, s15
	s_add_u32 s20, s20, 1
	s_addc_u32 s21, s21, 0
	v_ldexp_f32 v6, v6, s15
	v_mul_f32_e32 v6, v4, v6
	s_cmp_lg_u64 s[4:5], s[20:21]
	v_mov_b32_e32 v4, v5
	v_fma_f32 v6, v3, v5, -v6
	s_cbranch_scc1 .LBB38_1475
.LBB38_1476:
	s_mov_b64 s[20:21], 0
	s_branch .LBB38_1478
.LBB38_1477:
	s_mov_b64 s[20:21], -1
                                        ; implicit-def: $vgpr6
.LBB38_1478:
	s_andn2_b64 vcc, exec, s[20:21]
	s_cbranch_vccnz .LBB38_1480
; %bb.1479:
	s_waitcnt vmcnt(0)
	v_mov_b32_e32 v6, v3
.LBB38_1480:
	v_add_u32_e32 v1, s12, v1
	s_waitcnt vmcnt(0)
	v_ashrrev_i32_e32 v3, 31, v1
	v_mov_b32_e32 v5, s11
	v_add_co_u32_e32 v4, vcc, s10, v1
	v_addc_co_u32_e32 v5, vcc, v5, v3, vcc
	s_and_b64 vcc, exec, s[0:1]
	s_cbranch_vccnz .LBB38_1487
; %bb.1481:
	v_cmp_lt_i16_e32 vcc, 25, v8
	s_mov_b64 s[10:11], 0
	s_cbranch_vccz .LBB38_1488
; %bb.1482:
	v_cmp_lt_i16_e32 vcc, 28, v8
	s_cbranch_vccz .LBB38_1489
; %bb.1483:
	v_cmp_lt_i16_e32 vcc, 43, v8
	;; [unrolled: 3-line block ×3, first 2 shown]
	s_cbranch_vccz .LBB38_1492
; %bb.1485:
	v_cmp_eq_u16_e32 vcc, 46, v8
	s_mov_b64 s[22:23], 0
	s_cbranch_vccz .LBB38_1493
; %bb.1486:
	global_load_dword v1, v[4:5], off
	s_mov_b64 s[0:1], 0
	s_mov_b64 s[20:21], -1
	s_waitcnt vmcnt(0)
	v_lshlrev_b32_e32 v1, 16, v1
	s_branch .LBB38_1494
.LBB38_1487:
	s_mov_b64 s[0:1], -1
	s_mov_b64 s[20:21], 0
                                        ; implicit-def: $vgpr1
	s_branch .LBB38_1560
.LBB38_1488:
	s_mov_b64 s[22:23], -1
	s_mov_b64 s[20:21], 0
	s_mov_b64 s[0:1], 0
                                        ; implicit-def: $vgpr1
	s_branch .LBB38_1523
.LBB38_1489:
	s_mov_b64 s[22:23], -1
	s_mov_b64 s[20:21], 0
	s_mov_b64 s[0:1], 0
                                        ; implicit-def: $vgpr1
	s_branch .LBB38_1504
.LBB38_1490:
	s_mov_b64 s[22:23], -1
	s_mov_b64 s[20:21], 0
	s_mov_b64 s[0:1], 0
                                        ; implicit-def: $vgpr1
	s_branch .LBB38_1499
.LBB38_1491:
	s_trap 2
	s_or_b64 s[18:19], s[18:19], exec
                                        ; implicit-def: $vgpr3
	s_cbranch_execz .LBB38_1420
	s_branch .LBB38_1421
.LBB38_1492:
	s_mov_b64 s[22:23], -1
	s_mov_b64 s[20:21], 0
	s_mov_b64 s[0:1], 0
                                        ; implicit-def: $vgpr1
	s_branch .LBB38_1494
.LBB38_1493:
	s_mov_b64 s[0:1], -1
                                        ; implicit-def: $vgpr1
	s_mov_b64 s[20:21], 0
.LBB38_1494:
	s_and_b64 vcc, exec, s[22:23]
	s_cbranch_vccz .LBB38_1498
; %bb.1495:
	v_cmp_eq_u16_e32 vcc, 44, v8
	s_cbranch_vccz .LBB38_1497
; %bb.1496:
	global_load_ubyte v1, v[4:5], off
	s_movk_i32 s12, 0xff
	v_mov_b32_e32 v3, 0x7f800001
	v_mov_b32_e32 v9, 0x400000
	s_mov_b64 s[0:1], 0
	s_mov_b64 s[20:21], -1
	s_waitcnt vmcnt(0)
	v_lshlrev_b32_e32 v10, 23, v1
	v_cmp_ne_u32_e32 vcc, s12, v1
	v_cndmask_b32_e32 v3, v3, v10, vcc
	v_cmp_ne_u32_e32 vcc, 0, v1
	v_cndmask_b32_e32 v1, v9, v3, vcc
	s_branch .LBB38_1498
.LBB38_1497:
	s_mov_b64 s[0:1], -1
                                        ; implicit-def: $vgpr1
.LBB38_1498:
	s_mov_b64 s[22:23], 0
.LBB38_1499:
	s_and_b64 vcc, exec, s[22:23]
	s_cbranch_vccz .LBB38_1503
; %bb.1500:
	v_cmp_eq_u16_e32 vcc, 29, v8
	s_cbranch_vccz .LBB38_1502
; %bb.1501:
	global_load_dwordx2 v[10:11], v[4:5], off
	s_mov_b64 s[0:1], 0
	s_mov_b64 s[20:21], -1
	s_mov_b64 s[22:23], 0
	s_waitcnt vmcnt(0)
	v_ffbh_u32_e32 v1, v11
	v_min_u32_e32 v1, 32, v1
	v_lshlrev_b64 v[10:11], v1, v[10:11]
	v_min_u32_e32 v3, 1, v10
	v_or_b32_e32 v3, v11, v3
	v_cvt_f32_u32_e32 v3, v3
	v_sub_u32_e32 v1, 32, v1
	v_ldexp_f32 v1, v3, v1
	s_branch .LBB38_1504
.LBB38_1502:
	s_mov_b64 s[0:1], -1
                                        ; implicit-def: $vgpr1
.LBB38_1503:
	s_mov_b64 s[22:23], 0
.LBB38_1504:
	s_and_b64 vcc, exec, s[22:23]
	s_cbranch_vccz .LBB38_1522
; %bb.1505:
	v_cmp_gt_i16_e32 vcc, 27, v8
	s_cbranch_vccnz .LBB38_1508
; %bb.1506:
	v_cmp_lt_i16_e32 vcc, 27, v8
	s_cbranch_vccz .LBB38_1509
; %bb.1507:
	global_load_dword v1, v[4:5], off
	s_mov_b64 s[20:21], 0
	s_waitcnt vmcnt(0)
	v_cvt_f32_u32_e32 v1, v1
	s_branch .LBB38_1510
.LBB38_1508:
	s_mov_b64 s[20:21], -1
                                        ; implicit-def: $vgpr1
	s_branch .LBB38_1513
.LBB38_1509:
	s_mov_b64 s[20:21], -1
                                        ; implicit-def: $vgpr1
.LBB38_1510:
	s_andn2_b64 vcc, exec, s[20:21]
	s_cbranch_vccnz .LBB38_1512
; %bb.1511:
	global_load_ushort v1, v[4:5], off
	s_waitcnt vmcnt(0)
	v_cvt_f32_u32_e32 v1, v1
.LBB38_1512:
	s_mov_b64 s[20:21], 0
.LBB38_1513:
	s_andn2_b64 vcc, exec, s[20:21]
	s_cbranch_vccnz .LBB38_1521
; %bb.1514:
	global_load_ubyte v3, v[4:5], off
	s_movk_i32 s12, 0x7f
	s_mov_b64 s[20:21], 0
	s_waitcnt vmcnt(0)
	v_cmp_lt_i16_e32 vcc, s12, v3
                                        ; implicit-def: $sgpr12
	s_and_saveexec_b64 s[22:23], vcc
	s_xor_b64 s[22:23], exec, s[22:23]
	s_cbranch_execz .LBB38_1535
; %bb.1515:
	s_movk_i32 s12, 0x80
	v_cmp_eq_u16_e32 vcc, s12, v3
	s_mov_b64 s[20:21], -1
                                        ; implicit-def: $sgpr12
	s_and_saveexec_b64 s[24:25], vcc
; %bb.1516:
	s_mov_b32 s12, 0x7f800001
	s_xor_b64 s[20:21], exec, -1
; %bb.1517:
	s_or_b64 exec, exec, s[24:25]
	s_and_b64 s[20:21], s[20:21], exec
	s_or_saveexec_b64 s[22:23], s[22:23]
	v_mov_b32_e32 v1, s12
	s_xor_b64 exec, exec, s[22:23]
	s_cbranch_execnz .LBB38_1536
.LBB38_1518:
	s_or_b64 exec, exec, s[22:23]
	s_and_saveexec_b64 s[22:23], s[20:21]
	s_cbranch_execz .LBB38_1520
.LBB38_1519:
	v_lshlrev_b32_e32 v1, 24, v3
	v_and_b32_e32 v3, 0xffff, v3
	v_and_b32_e32 v9, 7, v3
	v_ffbh_u32_e32 v11, v9
	v_min_u32_e32 v11, 32, v11
	v_subrev_u32_e32 v12, 28, v11
	v_bfe_u32 v10, v3, 3, 4
	v_lshlrev_b32_e32 v3, v12, v3
	v_sub_u32_e32 v11, 29, v11
	v_and_b32_e32 v3, 7, v3
	v_cmp_eq_u32_e32 vcc, 0, v10
	v_cndmask_b32_e32 v10, v10, v11, vcc
	v_cndmask_b32_e32 v3, v9, v3, vcc
	v_mov_b32_e32 v9, 0x3b800000
	v_lshlrev_b32_e32 v3, 20, v3
	v_and_b32_e32 v1, 0x80000000, v1
	v_lshl_add_u32 v9, v10, 23, v9
	v_or3_b32 v1, v1, v9, v3
.LBB38_1520:
	s_or_b64 exec, exec, s[22:23]
.LBB38_1521:
	s_mov_b64 s[20:21], -1
.LBB38_1522:
	s_mov_b64 s[22:23], 0
.LBB38_1523:
	s_and_b64 vcc, exec, s[22:23]
	s_cbranch_vccz .LBB38_1556
; %bb.1524:
	v_cmp_lt_i16_e32 vcc, 22, v8
	s_cbranch_vccz .LBB38_1534
; %bb.1525:
	v_cmp_gt_i16_e32 vcc, 24, v8
	s_cbranch_vccnz .LBB38_1537
; %bb.1526:
	v_cmp_lt_i16_e32 vcc, 24, v8
	s_cbranch_vccz .LBB38_1538
; %bb.1527:
	global_load_ubyte v3, v[4:5], off
	s_movk_i32 s10, 0x7f
                                        ; implicit-def: $sgpr12
	s_waitcnt vmcnt(0)
	v_cmp_lt_i16_e32 vcc, s10, v3
	s_mov_b64 s[10:11], 0
	s_and_saveexec_b64 s[20:21], vcc
	s_xor_b64 s[20:21], exec, s[20:21]
	s_cbranch_execz .LBB38_1550
; %bb.1528:
	s_movk_i32 s10, 0x80
	v_cmp_eq_u16_e32 vcc, s10, v3
	s_mov_b64 s[10:11], -1
                                        ; implicit-def: $sgpr12
	s_and_saveexec_b64 s[22:23], vcc
; %bb.1529:
	s_mov_b32 s12, 0x7f800001
	s_xor_b64 s[10:11], exec, -1
; %bb.1530:
	s_or_b64 exec, exec, s[22:23]
	s_and_b64 s[10:11], s[10:11], exec
	s_or_saveexec_b64 s[20:21], s[20:21]
	v_mov_b32_e32 v1, s12
	s_xor_b64 exec, exec, s[20:21]
	s_cbranch_execnz .LBB38_1551
.LBB38_1531:
	s_or_b64 exec, exec, s[20:21]
	s_and_saveexec_b64 s[20:21], s[10:11]
	s_cbranch_execz .LBB38_1533
.LBB38_1532:
	v_lshlrev_b32_e32 v1, 24, v3
	v_and_b32_e32 v3, 0xffff, v3
	v_and_b32_e32 v9, 3, v3
	v_ffbh_u32_e32 v11, v9
	v_min_u32_e32 v11, 32, v11
	v_subrev_u32_e32 v12, 29, v11
	v_bfe_u32 v10, v3, 2, 5
	v_lshlrev_b32_e32 v3, v12, v3
	v_sub_u32_e32 v11, 30, v11
	v_and_b32_e32 v3, 3, v3
	v_cmp_eq_u32_e32 vcc, 0, v10
	v_cndmask_b32_e32 v10, v10, v11, vcc
	v_cndmask_b32_e32 v3, v9, v3, vcc
	v_mov_b32_e32 v9, 0x37800000
	v_lshlrev_b32_e32 v3, 21, v3
	v_and_b32_e32 v1, 0x80000000, v1
	v_lshl_add_u32 v9, v10, 23, v9
	v_or3_b32 v1, v1, v9, v3
.LBB38_1533:
	s_or_b64 exec, exec, s[20:21]
	s_mov_b64 s[10:11], 0
	s_branch .LBB38_1539
.LBB38_1534:
	s_mov_b64 s[10:11], -1
                                        ; implicit-def: $vgpr1
	s_branch .LBB38_1545
.LBB38_1535:
	s_or_saveexec_b64 s[22:23], s[22:23]
	v_mov_b32_e32 v1, s12
	s_xor_b64 exec, exec, s[22:23]
	s_cbranch_execz .LBB38_1518
.LBB38_1536:
	v_cmp_ne_u16_e32 vcc, 0, v3
	s_andn2_b64 s[20:21], s[20:21], exec
	s_and_b64 s[24:25], vcc, exec
	v_mov_b32_e32 v1, 0
	s_or_b64 s[20:21], s[20:21], s[24:25]
	s_or_b64 exec, exec, s[22:23]
	s_and_saveexec_b64 s[22:23], s[20:21]
	s_cbranch_execnz .LBB38_1519
	s_branch .LBB38_1520
.LBB38_1537:
	s_mov_b64 s[10:11], -1
                                        ; implicit-def: $vgpr1
	s_branch .LBB38_1542
.LBB38_1538:
	s_mov_b64 s[10:11], -1
                                        ; implicit-def: $vgpr1
.LBB38_1539:
	s_and_b64 vcc, exec, s[10:11]
	s_cbranch_vccz .LBB38_1541
; %bb.1540:
	global_load_ubyte v1, v[4:5], off
	s_mov_b32 s10, 0x7f800000
	s_waitcnt vmcnt(0)
	v_lshlrev_b32_e32 v1, 24, v1
	v_and_b32_e32 v3, 0x7f000000, v1
	v_ffbh_u32_e32 v9, v3
	v_min_u32_e32 v9, 32, v9
	v_sub_u32_e64 v9, v9, 4 clamp
	v_lshlrev_b32_e32 v11, v9, v3
	v_lshlrev_b32_e32 v9, 23, v9
	v_lshrrev_b32_e32 v11, 4, v11
	v_add_u32_e32 v10, 0x1000000, v3
	v_sub_u32_e32 v9, v11, v9
	v_ashrrev_i32_e32 v10, 8, v10
	v_add_u32_e32 v9, 0x3c000000, v9
	v_and_or_b32 v9, v10, s10, v9
	v_cmp_ne_u32_e32 vcc, 0, v3
	v_cndmask_b32_e32 v3, 0, v9, vcc
	s_brev_b32 s10, 1
	v_and_or_b32 v1, v1, s10, v3
.LBB38_1541:
	s_mov_b64 s[10:11], 0
.LBB38_1542:
	s_andn2_b64 vcc, exec, s[10:11]
	s_cbranch_vccnz .LBB38_1544
; %bb.1543:
	global_load_ubyte v1, v[4:5], off
	s_movk_i32 s10, 0x7f00
	s_brev_b32 s11, 16
	s_waitcnt vmcnt(0)
	v_lshlrev_b16_e32 v3, 8, v1
	v_lshlrev_b32_e32 v1, 25, v1
	v_lshrrev_b32_e32 v9, 4, v1
	v_and_or_b32 v10, v3, s10, 0.5
	v_or_b32_e32 v9, 0x70000000, v9
	v_add_f32_e32 v10, -0.5, v10
	v_mul_f32_e32 v9, 0x7800000, v9
	v_cmp_gt_u32_e32 vcc, s11, v1
	v_bfe_i32 v3, v3, 0, 16
	v_cndmask_b32_e32 v1, v9, v10, vcc
	s_brev_b32 s10, 1
	v_and_or_b32 v1, v3, s10, v1
.LBB38_1544:
	s_mov_b64 s[10:11], 0
	s_mov_b64 s[20:21], -1
.LBB38_1545:
	s_andn2_b64 vcc, exec, s[10:11]
	s_mov_b64 s[10:11], 0
	s_cbranch_vccnz .LBB38_1556
; %bb.1546:
	v_cmp_lt_i16_e32 vcc, 14, v8
	s_cbranch_vccz .LBB38_1549
; %bb.1547:
	v_cmp_eq_u16_e32 vcc, 15, v8
	s_cbranch_vccz .LBB38_1552
; %bb.1548:
	global_load_ushort v1, v[4:5], off
	s_mov_b64 s[0:1], 0
	s_mov_b64 s[20:21], -1
	s_waitcnt vmcnt(0)
	v_lshlrev_b32_e32 v1, 16, v1
	s_branch .LBB38_1553
.LBB38_1549:
	s_mov_b64 s[22:23], -1
                                        ; implicit-def: $vgpr1
	s_branch .LBB38_1554
.LBB38_1550:
	s_or_saveexec_b64 s[20:21], s[20:21]
	v_mov_b32_e32 v1, s12
	s_xor_b64 exec, exec, s[20:21]
	s_cbranch_execz .LBB38_1531
.LBB38_1551:
	v_cmp_ne_u16_e32 vcc, 0, v3
	s_andn2_b64 s[10:11], s[10:11], exec
	s_and_b64 s[22:23], vcc, exec
	v_mov_b32_e32 v1, 0
	s_or_b64 s[10:11], s[10:11], s[22:23]
	s_or_b64 exec, exec, s[20:21]
	s_and_saveexec_b64 s[20:21], s[10:11]
	s_cbranch_execnz .LBB38_1532
	s_branch .LBB38_1533
.LBB38_1552:
	s_mov_b64 s[0:1], -1
                                        ; implicit-def: $vgpr1
.LBB38_1553:
	s_mov_b64 s[22:23], 0
.LBB38_1554:
	s_and_b64 vcc, exec, s[22:23]
	s_cbranch_vccz .LBB38_1556
; %bb.1555:
	v_cmp_ne_u16_e64 s[0:1], 11, v8
	s_mov_b64 s[10:11], -1
                                        ; implicit-def: $vgpr1
.LBB38_1556:
	s_and_b64 vcc, exec, s[0:1]
	s_cbranch_vccnz .LBB38_1676
; %bb.1557:
	s_andn2_b64 vcc, exec, s[10:11]
	s_cbranch_vccnz .LBB38_1559
.LBB38_1558:
	global_load_ubyte v1, v[4:5], off
	s_mov_b64 s[20:21], -1
	s_waitcnt vmcnt(0)
	v_cmp_ne_u16_e32 vcc, 0, v1
	v_cndmask_b32_e64 v1, 0, 1.0, vcc
.LBB38_1559:
	s_mov_b64 s[0:1], 0
.LBB38_1560:
	s_and_b64 vcc, exec, s[0:1]
	s_cbranch_vccz .LBB38_1609
; %bb.1561:
	v_cmp_gt_i16_e32 vcc, 5, v8
	s_cbranch_vccnz .LBB38_1566
; %bb.1562:
	v_cmp_gt_i16_e32 vcc, 8, v8
	s_cbranch_vccnz .LBB38_1567
	;; [unrolled: 3-line block ×3, first 2 shown]
; %bb.1564:
	v_cmp_lt_i16_e32 vcc, 9, v8
	s_cbranch_vccz .LBB38_1569
; %bb.1565:
	global_load_dwordx2 v[10:11], v[4:5], off
	s_mov_b64 s[0:1], 0
	s_waitcnt vmcnt(0)
	v_cvt_f32_f64_e32 v1, v[10:11]
	s_branch .LBB38_1570
.LBB38_1566:
	s_mov_b64 s[0:1], -1
                                        ; implicit-def: $vgpr1
	s_branch .LBB38_1588
.LBB38_1567:
	s_mov_b64 s[0:1], -1
                                        ; implicit-def: $vgpr1
	s_branch .LBB38_1576
.LBB38_1568:
	s_mov_b64 s[0:1], -1
                                        ; implicit-def: $vgpr1
	s_branch .LBB38_1573
.LBB38_1569:
	s_mov_b64 s[0:1], -1
                                        ; implicit-def: $vgpr1
.LBB38_1570:
	s_andn2_b64 vcc, exec, s[0:1]
	s_cbranch_vccnz .LBB38_1572
; %bb.1571:
	global_load_dword v1, v[4:5], off
.LBB38_1572:
	s_mov_b64 s[0:1], 0
.LBB38_1573:
	s_andn2_b64 vcc, exec, s[0:1]
	s_cbranch_vccnz .LBB38_1575
; %bb.1574:
	global_load_dword v1, v[4:5], off
	s_waitcnt vmcnt(0)
	v_cvt_f32_f16_e32 v1, v1
.LBB38_1575:
	s_mov_b64 s[0:1], 0
.LBB38_1576:
	s_andn2_b64 vcc, exec, s[0:1]
	s_cbranch_vccnz .LBB38_1587
; %bb.1577:
	v_cmp_gt_i16_e32 vcc, 6, v8
	s_cbranch_vccnz .LBB38_1580
; %bb.1578:
	v_cmp_lt_i16_e32 vcc, 6, v8
	s_cbranch_vccz .LBB38_1581
; %bb.1579:
	global_load_dwordx2 v[10:11], v[4:5], off
	s_mov_b64 s[0:1], 0
	s_waitcnt vmcnt(0)
	v_cvt_f32_f64_e32 v1, v[10:11]
	s_branch .LBB38_1582
.LBB38_1580:
	s_mov_b64 s[0:1], -1
                                        ; implicit-def: $vgpr1
	s_branch .LBB38_1585
.LBB38_1581:
	s_mov_b64 s[0:1], -1
                                        ; implicit-def: $vgpr1
.LBB38_1582:
	s_andn2_b64 vcc, exec, s[0:1]
	s_cbranch_vccnz .LBB38_1584
; %bb.1583:
	global_load_dword v1, v[4:5], off
.LBB38_1584:
	s_mov_b64 s[0:1], 0
.LBB38_1585:
	s_andn2_b64 vcc, exec, s[0:1]
	s_cbranch_vccnz .LBB38_1587
; %bb.1586:
	global_load_ushort v1, v[4:5], off
	s_waitcnt vmcnt(0)
	v_cvt_f32_f16_e32 v1, v1
.LBB38_1587:
	s_mov_b64 s[0:1], 0
.LBB38_1588:
	s_andn2_b64 vcc, exec, s[0:1]
	s_cbranch_vccnz .LBB38_1608
; %bb.1589:
	v_cmp_gt_i16_e32 vcc, 2, v8
	s_cbranch_vccnz .LBB38_1593
; %bb.1590:
	v_cmp_gt_i16_e32 vcc, 3, v8
	s_cbranch_vccnz .LBB38_1594
; %bb.1591:
	v_cmp_lt_i16_e32 vcc, 3, v8
	s_cbranch_vccz .LBB38_1595
; %bb.1592:
	global_load_dwordx2 v[10:11], v[4:5], off
	s_mov_b64 s[0:1], 0
	s_waitcnt vmcnt(0)
	v_xor_b32_e32 v3, v10, v11
	v_ffbh_i32_e32 v1, v11
	v_ashrrev_i32_e32 v3, 31, v3
	v_add_u32_e32 v1, -1, v1
	v_add_u32_e32 v3, 32, v3
	v_min_u32_e32 v1, v1, v3
	v_lshlrev_b64 v[10:11], v1, v[10:11]
	v_min_u32_e32 v3, 1, v10
	v_or_b32_e32 v3, v11, v3
	v_cvt_f32_i32_e32 v3, v3
	v_sub_u32_e32 v1, 32, v1
	v_ldexp_f32 v1, v3, v1
	s_branch .LBB38_1596
.LBB38_1593:
	s_mov_b64 s[0:1], -1
                                        ; implicit-def: $vgpr1
	s_branch .LBB38_1602
.LBB38_1594:
	s_mov_b64 s[0:1], -1
                                        ; implicit-def: $vgpr1
	s_branch .LBB38_1599
.LBB38_1595:
	s_mov_b64 s[0:1], -1
                                        ; implicit-def: $vgpr1
.LBB38_1596:
	s_andn2_b64 vcc, exec, s[0:1]
	s_cbranch_vccnz .LBB38_1598
; %bb.1597:
	global_load_dword v1, v[4:5], off
	s_waitcnt vmcnt(0)
	v_cvt_f32_i32_e32 v1, v1
.LBB38_1598:
	s_mov_b64 s[0:1], 0
.LBB38_1599:
	s_andn2_b64 vcc, exec, s[0:1]
	s_cbranch_vccnz .LBB38_1601
; %bb.1600:
	global_load_sshort v1, v[4:5], off
	s_waitcnt vmcnt(0)
	v_cvt_f32_i32_e32 v1, v1
.LBB38_1601:
	s_mov_b64 s[0:1], 0
.LBB38_1602:
	s_andn2_b64 vcc, exec, s[0:1]
	s_cbranch_vccnz .LBB38_1608
; %bb.1603:
	v_cmp_lt_i16_e32 vcc, 0, v8
	s_cbranch_vccz .LBB38_1605
; %bb.1604:
	global_load_sbyte v1, v[4:5], off
	s_mov_b64 s[0:1], 0
	s_waitcnt vmcnt(0)
	v_cvt_f32_i32_e32 v1, v1
	s_branch .LBB38_1606
.LBB38_1605:
	s_mov_b64 s[0:1], -1
                                        ; implicit-def: $vgpr1
.LBB38_1606:
	s_andn2_b64 vcc, exec, s[0:1]
	s_cbranch_vccnz .LBB38_1608
; %bb.1607:
	global_load_ubyte v1, v[4:5], off
	s_waitcnt vmcnt(0)
	v_cvt_f32_ubyte0_e32 v1, v1
.LBB38_1608:
	s_mov_b64 s[20:21], -1
.LBB38_1609:
	s_andn2_b64 vcc, exec, s[20:21]
	s_cbranch_vccnz .LBB38_1617
; %bb.1610:
	s_and_b64 vcc, exec, s[2:3]
	v_mov_b32_e32 v4, 0
	s_cbranch_vccnz .LBB38_1666
; %bb.1611:
	v_cmp_lt_i64_e64 s[0:1], s[4:5], 1
	s_and_b64 vcc, exec, s[0:1]
	v_mov_b32_e32 v4, 1.0
	s_cbranch_vccnz .LBB38_1666
; %bb.1612:
	s_cmp_lg_u64 s[4:5], 1
	s_cbranch_scc0 .LBB38_1663
; %bb.1613:
	v_mov_b32_e32 v4, 0x80
	v_mov_b32_e32 v5, 0
	v_cmp_gt_u64_e32 vcc, s[4:5], v[4:5]
	v_mov_b32_e32 v4, 0x7fc00000
	s_cbranch_vccnz .LBB38_1616
; %bb.1614:
	s_mov_b64 s[0:1], 1
	v_mov_b32_e32 v3, 1.0
	s_waitcnt vmcnt(0)
	v_mov_b32_e32 v4, v1
.LBB38_1615:                            ; =>This Inner Loop Header: Depth=1
	s_flbit_i32_b32 s2, s1
	s_min_u32 s10, s2, 32
	s_lshl_b64 s[2:3], s[0:1], s10
	s_min_u32 s2, s2, 1
	s_or_b32 s2, s3, s2
	v_cvt_f32_u32_e32 v5, s2
	s_sub_i32 s10, 32, s10
	s_add_u32 s0, s0, 1
	s_addc_u32 s1, s1, 0
	v_ldexp_f32 v5, v5, s10
	v_mul_f32_e32 v5, v3, v5
	s_cmp_lg_u64 s[4:5], s[0:1]
	v_mov_b32_e32 v3, v4
	v_fma_f32 v4, v1, v4, -v5
	s_cbranch_scc1 .LBB38_1615
.LBB38_1616:
	s_mov_b64 s[0:1], 0
	s_branch .LBB38_1664
.LBB38_1617:
	s_mov_b64 s[0:1], 0
                                        ; implicit-def: $vgpr2
                                        ; implicit-def: $vgpr0_vgpr1
                                        ; implicit-def: $vgpr4
.LBB38_1618:
	s_mov_b64 s[2:3], 0
.LBB38_1619:
	s_and_b64 s[4:5], s[2:3], exec
	s_andn2_b64 s[2:3], s[16:17], exec
	s_and_b64 s[8:9], s[18:19], exec
	s_and_b64 s[0:1], s[0:1], exec
	s_or_b64 s[16:17], s[2:3], s[8:9]
.LBB38_1620:
	s_or_b64 exec, exec, s[6:7]
	s_and_saveexec_b64 s[2:3], s[16:17]
	s_cbranch_execz .LBB38_1623
; %bb.1621:
	; divergent unreachable
	s_or_b64 exec, exec, s[2:3]
	s_and_saveexec_b64 s[2:3], s[4:5]
	s_xor_b64 s[2:3], exec, s[2:3]
	s_cbranch_execnz .LBB38_1624
.LBB38_1622:
	s_or_b64 exec, exec, s[2:3]
	s_and_saveexec_b64 s[2:3], s[0:1]
	s_cbranch_execnz .LBB38_1625
	s_branch .LBB38_1662
.LBB38_1623:
	s_or_b64 exec, exec, s[2:3]
	s_and_saveexec_b64 s[2:3], s[4:5]
	s_xor_b64 s[2:3], exec, s[2:3]
	s_cbranch_execz .LBB38_1622
.LBB38_1624:
	s_waitcnt vmcnt(0)
	v_cmp_neq_f32_e32 vcc, 0, v4
	v_cndmask_b32_e64 v3, 0, 1, vcc
	global_store_byte v[0:1], v3, off
	s_or_b64 exec, exec, s[2:3]
	s_and_saveexec_b64 s[2:3], s[0:1]
	s_cbranch_execz .LBB38_1662
.LBB38_1625:
	s_waitcnt vmcnt(0)
	v_cmp_gt_i16_e32 vcc, 5, v2
	s_mov_b64 s[0:1], -1
	s_cbranch_vccnz .LBB38_1646
; %bb.1626:
	v_cmp_gt_i16_e32 vcc, 8, v2
	s_cbranch_vccnz .LBB38_1636
; %bb.1627:
	v_cmp_gt_i16_e32 vcc, 9, v2
	s_cbranch_vccnz .LBB38_1633
; %bb.1628:
	v_cmp_lt_i16_e32 vcc, 9, v2
	s_cbranch_vccz .LBB38_1630
; %bb.1629:
	v_mov_b32_e32 v8, 0
	v_cvt_f64_f32_e32 v[6:7], v4
	v_mov_b32_e32 v9, v8
	global_store_dwordx4 v[0:1], v[6:9], off
	s_mov_b64 s[0:1], 0
.LBB38_1630:
	s_andn2_b64 vcc, exec, s[0:1]
	s_cbranch_vccnz .LBB38_1632
; %bb.1631:
	v_mov_b32_e32 v5, 0
	global_store_dwordx2 v[0:1], v[4:5], off
.LBB38_1632:
	s_mov_b64 s[0:1], 0
.LBB38_1633:
	s_andn2_b64 vcc, exec, s[0:1]
	s_cbranch_vccnz .LBB38_1635
; %bb.1634:
	v_cvt_f16_f32_e32 v3, v4
	global_store_dword v[0:1], v3, off
.LBB38_1635:
	s_mov_b64 s[0:1], 0
.LBB38_1636:
	s_andn2_b64 vcc, exec, s[0:1]
	s_cbranch_vccnz .LBB38_1645
; %bb.1637:
	v_cmp_gt_i16_e32 vcc, 6, v2
	s_mov_b64 s[0:1], -1
	s_cbranch_vccnz .LBB38_1643
; %bb.1638:
	v_cmp_lt_i16_e32 vcc, 6, v2
	s_cbranch_vccz .LBB38_1640
; %bb.1639:
	v_cvt_f64_f32_e32 v[6:7], v4
	global_store_dwordx2 v[0:1], v[6:7], off
	s_mov_b64 s[0:1], 0
.LBB38_1640:
	s_andn2_b64 vcc, exec, s[0:1]
	s_cbranch_vccnz .LBB38_1642
; %bb.1641:
	global_store_dword v[0:1], v4, off
.LBB38_1642:
	s_mov_b64 s[0:1], 0
.LBB38_1643:
	s_andn2_b64 vcc, exec, s[0:1]
	s_cbranch_vccnz .LBB38_1645
; %bb.1644:
	v_cvt_f16_f32_e32 v3, v4
	global_store_short v[0:1], v3, off
.LBB38_1645:
	s_mov_b64 s[0:1], 0
.LBB38_1646:
	s_andn2_b64 vcc, exec, s[0:1]
	s_cbranch_vccnz .LBB38_1662
; %bb.1647:
	v_cmp_gt_i16_e32 vcc, 2, v2
	s_mov_b64 s[0:1], -1
	s_cbranch_vccnz .LBB38_1657
; %bb.1648:
	v_cmp_gt_i16_e32 vcc, 3, v2
	s_cbranch_vccnz .LBB38_1654
; %bb.1649:
	v_cmp_lt_i16_e32 vcc, 3, v2
	s_cbranch_vccz .LBB38_1651
; %bb.1650:
	v_trunc_f32_e32 v3, v4
	s_mov_b32 s0, 0x2f800000
	v_mul_f32_e64 v5, |v3|, s0
	v_floor_f32_e32 v5, v5
	s_mov_b32 s0, 0xcf800000
	v_cvt_u32_f32_e32 v6, v5
	v_fma_f32 v5, v5, s0, |v3|
	v_cvt_u32_f32_e32 v5, v5
	v_ashrrev_i32_e32 v3, 31, v3
	v_xor_b32_e32 v7, v6, v3
	s_mov_b64 s[0:1], 0
	v_xor_b32_e32 v5, v5, v3
	v_sub_co_u32_e32 v6, vcc, v5, v3
	v_subb_co_u32_e32 v7, vcc, v7, v3, vcc
	global_store_dwordx2 v[0:1], v[6:7], off
.LBB38_1651:
	s_andn2_b64 vcc, exec, s[0:1]
	s_cbranch_vccnz .LBB38_1653
; %bb.1652:
	v_cvt_i32_f32_e32 v3, v4
	global_store_dword v[0:1], v3, off
.LBB38_1653:
	s_mov_b64 s[0:1], 0
.LBB38_1654:
	s_andn2_b64 vcc, exec, s[0:1]
	s_cbranch_vccnz .LBB38_1656
; %bb.1655:
	v_cvt_i32_f32_e32 v3, v4
	global_store_short v[0:1], v3, off
.LBB38_1656:
	s_mov_b64 s[0:1], 0
.LBB38_1657:
	s_andn2_b64 vcc, exec, s[0:1]
	s_cbranch_vccnz .LBB38_1662
; %bb.1658:
	v_cmp_lt_i16_e32 vcc, 0, v2
	s_mov_b64 s[0:1], -1
	s_cbranch_vccz .LBB38_1660
; %bb.1659:
	v_cvt_i32_f32_e32 v2, v4
	s_mov_b64 s[0:1], 0
	global_store_byte v[0:1], v2, off
.LBB38_1660:
	s_andn2_b64 vcc, exec, s[0:1]
	s_cbranch_vccnz .LBB38_1662
; %bb.1661:
	v_trunc_f32_e32 v2, v4
	s_mov_b32 s0, 0x2f800000
	v_mul_f32_e64 v3, |v2|, s0
	v_floor_f32_e32 v3, v3
	s_mov_b32 s0, 0xcf800000
	v_fma_f32 v3, v3, s0, |v2|
	v_cvt_u32_f32_e32 v3, v3
	v_ashrrev_i32_e32 v2, 31, v2
	v_xor_b32_e32 v3, v3, v2
	v_sub_u32_e32 v2, v3, v2
	global_store_byte v[0:1], v2, off
	s_endpgm
.LBB38_1662:
	s_endpgm
.LBB38_1663:
	s_mov_b64 s[0:1], -1
                                        ; implicit-def: $vgpr4
.LBB38_1664:
	s_andn2_b64 vcc, exec, s[0:1]
	s_cbranch_vccnz .LBB38_1666
; %bb.1665:
	s_waitcnt vmcnt(0)
	v_mov_b32_e32 v4, v1
.LBB38_1666:
	v_mul_lo_u32 v3, s14, v7
	s_waitcnt vmcnt(0)
	v_ashrrev_i32_e32 v1, 31, v3
	v_mov_b32_e32 v5, s9
	v_add_co_u32_e32 v8, vcc, s8, v3
	v_addc_co_u32_e32 v9, vcc, v5, v1, vcc
	v_mov_b32_e32 v1, 11
	v_cmp_lt_i16_sdwa s[0:1], s13, v1 src0_sel:BYTE_0 src1_sel:DWORD
	s_and_b64 vcc, exec, s[0:1]
	s_cbranch_vccnz .LBB38_1673
; %bb.1667:
	v_mov_b32_e32 v1, 25
	v_cmp_gt_i16_sdwa s[0:1], s13, v1 src0_sel:BYTE_0 src1_sel:DWORD
	s_mov_b64 s[10:11], -1
	s_mov_b64 s[2:3], 0
	s_and_b64 vcc, exec, s[0:1]
	s_mov_b64 s[4:5], 0
	s_mov_b64 s[0:1], 0
	s_cbranch_vccz .LBB38_1705
; %bb.1668:
	v_mov_b32_e32 v1, 28
	v_cmp_gt_i16_sdwa s[0:1], s13, v1 src0_sel:BYTE_0 src1_sel:DWORD
	s_and_b64 vcc, exec, s[0:1]
	s_cbranch_vccz .LBB38_1674
; %bb.1669:
	v_mov_b32_e32 v1, 43
	v_cmp_gt_i16_sdwa s[0:1], s13, v1 src0_sel:BYTE_0 src1_sel:DWORD
	s_and_b64 vcc, exec, s[0:1]
	;; [unrolled: 5-line block ×3, first 2 shown]
	s_cbranch_vccz .LBB38_1677
; %bb.1671:
	v_mov_b32_e32 v1, 46
	v_cmp_eq_u16_sdwa s[4:5], s13, v1 src0_sel:BYTE_0 src1_sel:DWORD
	s_mov_b64 s[0:1], -1
	s_mov_b64 s[10:11], 0
	s_and_b64 vcc, exec, s[4:5]
	s_mov_b64 s[4:5], 0
	s_cbranch_vccz .LBB38_1678
; %bb.1672:
	v_bfe_u32 v1, v0, 16, 1
	s_movk_i32 s0, 0x7fff
	v_add3_u32 v1, v0, v1, s0
	v_lshrrev_b32_e32 v1, 16, v1
	v_mov_b32_e32 v5, 0x7fc0
	v_cmp_o_f32_e32 vcc, v0, v0
	v_cndmask_b32_e32 v1, v5, v1, vcc
	global_store_dword v[8:9], v1, off
	s_mov_b64 s[0:1], 0
	s_mov_b64 s[4:5], -1
	s_branch .LBB38_1678
.LBB38_1673:
	s_mov_b64 s[0:1], -1
	s_mov_b64 s[4:5], 0
	s_branch .LBB38_1749
.LBB38_1674:
	s_mov_b64 s[0:1], 0
	s_branch .LBB38_1688
.LBB38_1675:
	s_mov_b64 s[0:1], 0
	s_branch .LBB38_1684
.LBB38_1676:
	s_trap 2
	s_or_b64 s[18:19], s[18:19], exec
                                        ; implicit-def: $vgpr1
	s_cbranch_execz .LBB38_1558
	s_branch .LBB38_1559
.LBB38_1677:
	s_mov_b64 s[0:1], 0
.LBB38_1678:
	s_and_b64 vcc, exec, s[10:11]
	s_cbranch_vccz .LBB38_1683
; %bb.1679:
	v_mov_b32_e32 v1, 44
	v_cmp_eq_u16_sdwa s[10:11], s13, v1 src0_sel:BYTE_0 src1_sel:DWORD
	s_mov_b64 s[0:1], -1
	s_and_b64 vcc, exec, s[10:11]
	s_cbranch_vccz .LBB38_1683
; %bb.1680:
	v_bfe_u32 v1, v0, 23, 8
	s_movk_i32 s0, 0xff
	v_cmp_ne_u32_e32 vcc, s0, v1
	v_mov_b32_e32 v5, 0xff
	s_and_saveexec_b64 s[4:5], vcc
; %bb.1681:
	s_mov_b32 s0, 0x3fffff
	v_and_b32_e32 v7, 0x400000, v0
	v_and_or_b32 v1, v0, s0, v1
	v_cmp_ne_u32_e32 vcc, 0, v7
	v_cmp_ne_u32_e64 s[0:1], 0, v1
	s_and_b64 s[0:1], vcc, s[0:1]
	v_lshrrev_b32_e32 v5, 23, v0
	v_cndmask_b32_e64 v1, 0, 1, s[0:1]
	v_add_u32_e32 v5, v5, v1
; %bb.1682:
	s_or_b64 exec, exec, s[4:5]
	s_mov_b64 s[0:1], 0
	s_mov_b64 s[4:5], -1
	global_store_byte v[8:9], v5, off
.LBB38_1683:
	s_mov_b64 s[10:11], 0
.LBB38_1684:
	s_and_b64 vcc, exec, s[10:11]
	s_cbranch_vccz .LBB38_1687
; %bb.1685:
	v_mov_b32_e32 v1, 29
	v_cmp_eq_u16_sdwa s[10:11], s13, v1 src0_sel:BYTE_0 src1_sel:DWORD
	s_mov_b64 s[0:1], -1
	s_and_b64 vcc, exec, s[10:11]
	s_cbranch_vccz .LBB38_1687
; %bb.1686:
	v_trunc_f32_e32 v1, v0
	v_mul_f32_e32 v5, 0x2f800000, v1
	v_floor_f32_e32 v5, v5
	v_fmac_f32_e32 v1, 0xcf800000, v5
	v_cvt_u32_f32_e32 v11, v5
	v_cvt_u32_f32_e32 v10, v1
	s_mov_b64 s[0:1], 0
	s_mov_b64 s[4:5], -1
	s_mov_b64 s[10:11], 0
	global_store_dwordx2 v[8:9], v[10:11], off
	s_branch .LBB38_1688
.LBB38_1687:
	s_mov_b64 s[10:11], 0
.LBB38_1688:
	s_and_b64 vcc, exec, s[10:11]
	s_cbranch_vccz .LBB38_1704
; %bb.1689:
	v_mov_b32_e32 v1, 27
	v_cmp_lt_i16_sdwa s[10:11], s13, v1 src0_sel:BYTE_0 src1_sel:DWORD
	s_mov_b64 s[4:5], -1
	s_and_b64 vcc, exec, s[10:11]
	s_cbranch_vccnz .LBB38_1695
; %bb.1690:
	v_cmp_gt_i16_sdwa s[10:11], s13, v1 src0_sel:BYTE_0 src1_sel:DWORD
	v_cvt_u32_f32_e32 v1, v0
	s_and_b64 vcc, exec, s[10:11]
	s_cbranch_vccz .LBB38_1692
; %bb.1691:
	s_mov_b64 s[4:5], 0
	global_store_dword v[8:9], v1, off
.LBB38_1692:
	s_andn2_b64 vcc, exec, s[4:5]
	s_cbranch_vccnz .LBB38_1694
; %bb.1693:
	global_store_short v[8:9], v1, off
.LBB38_1694:
	s_mov_b64 s[4:5], 0
.LBB38_1695:
	s_andn2_b64 vcc, exec, s[4:5]
	s_cbranch_vccnz .LBB38_1703
; %bb.1696:
	v_and_b32_e32 v1, 0x7fffffff, v0
	s_mov_b32 s4, 0x43800000
	v_cmp_gt_u32_e32 vcc, s4, v1
	v_mov_b32_e32 v5, 0x80
	s_and_saveexec_b64 s[4:5], vcc
	s_cbranch_execz .LBB38_1702
; %bb.1697:
	s_mov_b32 s10, 0x3bffffff
	v_cmp_lt_u32_e32 vcc, s10, v1
	s_mov_b64 s[10:11], 0
                                        ; implicit-def: $vgpr1
	s_and_saveexec_b64 s[20:21], vcc
	s_xor_b64 s[20:21], exec, s[20:21]
	s_cbranch_execz .LBB38_1798
; %bb.1698:
	v_bfe_u32 v1, v0, 20, 1
	s_mov_b32 s12, 0x487ffff
	v_add3_u32 v1, v0, v1, s12
	s_mov_b64 s[10:11], exec
	v_lshrrev_b32_e32 v1, 20, v1
	s_or_saveexec_b64 s[20:21], s[20:21]
                                        ; implicit-def: $sgpr12
	s_xor_b64 exec, exec, s[20:21]
	s_cbranch_execnz .LBB38_1799
.LBB38_1699:
	s_or_b64 exec, exec, s[20:21]
	v_mov_b32_e32 v5, s12
	s_and_saveexec_b64 s[20:21], s[10:11]
.LBB38_1700:
	v_lshrrev_b32_e32 v5, 24, v0
	s_movk_i32 s10, 0x80
	v_and_or_b32 v5, v5, s10, v1
.LBB38_1701:
	s_or_b64 exec, exec, s[20:21]
.LBB38_1702:
	s_or_b64 exec, exec, s[4:5]
	global_store_byte v[8:9], v5, off
.LBB38_1703:
	s_mov_b64 s[4:5], -1
.LBB38_1704:
	s_mov_b64 s[10:11], 0
.LBB38_1705:
	s_and_b64 vcc, exec, s[10:11]
	s_cbranch_vccz .LBB38_1745
; %bb.1706:
	v_mov_b32_e32 v1, 22
	v_cmp_gt_i16_sdwa s[10:11], s13, v1 src0_sel:BYTE_0 src1_sel:DWORD
	s_mov_b64 s[2:3], -1
	s_and_b64 vcc, exec, s[10:11]
	s_cbranch_vccz .LBB38_1738
; %bb.1707:
	v_mov_b32_e32 v1, 24
	v_cmp_lt_i16_sdwa s[4:5], s13, v1 src0_sel:BYTE_0 src1_sel:DWORD
	s_and_b64 vcc, exec, s[4:5]
	s_cbranch_vccnz .LBB38_1727
; %bb.1708:
	v_cmp_gt_i16_sdwa s[4:5], s13, v1 src0_sel:BYTE_0 src1_sel:DWORD
	s_and_b64 vcc, exec, s[4:5]
	s_cbranch_vccz .LBB38_1716
; %bb.1709:
	v_and_b32_e32 v1, 0x7fffffff, v0
	s_mov_b32 s2, 0x47800000
	v_cmp_gt_u32_e32 vcc, s2, v1
	v_mov_b32_e32 v5, 0x80
	s_and_saveexec_b64 s[2:3], vcc
	s_cbranch_execz .LBB38_1715
; %bb.1710:
	s_mov_b32 s4, 0x37ffffff
	v_cmp_lt_u32_e32 vcc, s4, v1
	s_mov_b64 s[4:5], 0
                                        ; implicit-def: $vgpr1
	s_and_saveexec_b64 s[10:11], vcc
	s_xor_b64 s[10:11], exec, s[10:11]
	s_cbranch_execz .LBB38_1802
; %bb.1711:
	v_bfe_u32 v1, v0, 21, 1
	s_mov_b32 s12, 0x88fffff
	v_add3_u32 v1, v0, v1, s12
	s_mov_b64 s[4:5], exec
	v_lshrrev_b32_e32 v1, 21, v1
	s_or_saveexec_b64 s[10:11], s[10:11]
                                        ; implicit-def: $sgpr12
	s_xor_b64 exec, exec, s[10:11]
	s_cbranch_execnz .LBB38_1803
.LBB38_1712:
	s_or_b64 exec, exec, s[10:11]
	v_mov_b32_e32 v5, s12
	s_and_saveexec_b64 s[10:11], s[4:5]
.LBB38_1713:
	v_lshrrev_b32_e32 v5, 24, v0
	s_movk_i32 s4, 0x80
	v_and_or_b32 v5, v5, s4, v1
.LBB38_1714:
	s_or_b64 exec, exec, s[10:11]
.LBB38_1715:
	s_or_b64 exec, exec, s[2:3]
	s_mov_b64 s[2:3], 0
	global_store_byte v[8:9], v5, off
.LBB38_1716:
	s_and_b64 vcc, exec, s[2:3]
	s_cbranch_vccz .LBB38_1726
; %bb.1717:
	v_and_b32_e32 v5, 0x7fffffff, v0
	s_mov_b32 s2, 0x43f00000
	v_cmp_gt_u32_e32 vcc, s2, v5
                                        ; implicit-def: $vgpr1
	s_and_saveexec_b64 s[2:3], vcc
	s_xor_b64 s[2:3], exec, s[2:3]
	s_cbranch_execz .LBB38_1723
; %bb.1718:
	s_mov_b32 s4, 0x3c7fffff
	v_cmp_lt_u32_e32 vcc, s4, v5
                                        ; implicit-def: $vgpr1
	s_and_saveexec_b64 s[4:5], vcc
	s_xor_b64 s[4:5], exec, s[4:5]
; %bb.1719:
	v_bfe_u32 v1, v0, 20, 1
	s_mov_b32 s10, 0x407ffff
	v_add3_u32 v1, v0, v1, s10
	v_lshrrev_b32_e32 v5, 20, v1
	v_and_b32_e32 v1, 0xff00000, v1
	s_mov_b32 s10, 0x7f00000
	v_mov_b32_e32 v7, 0x7e
	v_cmp_ne_u32_e32 vcc, s10, v1
	v_cndmask_b32_e32 v1, v7, v5, vcc
; %bb.1720:
	s_andn2_saveexec_b64 s[4:5], s[4:5]
; %bb.1721:
	s_mov_b32 s10, 0x46800000
	v_add_f32_e64 v1, |v0|, s10
; %bb.1722:
	s_or_b64 exec, exec, s[4:5]
                                        ; implicit-def: $vgpr5
.LBB38_1723:
	s_andn2_saveexec_b64 s[2:3], s[2:3]
; %bb.1724:
	s_mov_b32 s4, 0x7f800000
	v_mov_b32_e32 v1, 0x7e
	v_mov_b32_e32 v7, 0x7f
	v_cmp_lt_u32_e32 vcc, s4, v5
	v_cndmask_b32_e32 v1, v1, v7, vcc
; %bb.1725:
	s_or_b64 exec, exec, s[2:3]
	v_lshrrev_b32_e32 v5, 24, v0
	s_movk_i32 s2, 0x80
	v_and_or_b32 v1, v5, s2, v1
	global_store_byte v[8:9], v1, off
.LBB38_1726:
	s_mov_b64 s[2:3], 0
.LBB38_1727:
	s_andn2_b64 vcc, exec, s[2:3]
	s_cbranch_vccnz .LBB38_1737
; %bb.1728:
	v_and_b32_e32 v5, 0x7fffffff, v0
	s_mov_b32 s2, 0x47800000
	v_cmp_gt_u32_e32 vcc, s2, v5
                                        ; implicit-def: $vgpr1
	s_and_saveexec_b64 s[2:3], vcc
	s_xor_b64 s[2:3], exec, s[2:3]
	s_cbranch_execz .LBB38_1734
; %bb.1729:
	s_mov_b32 s4, 0x387fffff
	v_cmp_lt_u32_e32 vcc, s4, v5
                                        ; implicit-def: $vgpr1
	s_and_saveexec_b64 s[4:5], vcc
	s_xor_b64 s[4:5], exec, s[4:5]
; %bb.1730:
	v_bfe_u32 v1, v0, 21, 1
	s_mov_b32 s10, 0x80fffff
	v_add3_u32 v1, v0, v1, s10
	v_lshrrev_b32_e32 v1, 21, v1
; %bb.1731:
	s_andn2_saveexec_b64 s[4:5], s[4:5]
; %bb.1732:
	s_mov_b32 s10, 0x43000000
	v_add_f32_e64 v1, |v0|, s10
; %bb.1733:
	s_or_b64 exec, exec, s[4:5]
                                        ; implicit-def: $vgpr5
.LBB38_1734:
	s_andn2_saveexec_b64 s[2:3], s[2:3]
; %bb.1735:
	s_mov_b32 s4, 0x7f800000
	v_mov_b32_e32 v1, 0x7c
	v_mov_b32_e32 v7, 0x7f
	v_cmp_lt_u32_e32 vcc, s4, v5
	v_cndmask_b32_e32 v1, v1, v7, vcc
; %bb.1736:
	s_or_b64 exec, exec, s[2:3]
	v_lshrrev_b32_e32 v5, 24, v0
	s_movk_i32 s2, 0x80
	v_and_or_b32 v1, v5, s2, v1
	global_store_byte v[8:9], v1, off
.LBB38_1737:
	s_mov_b64 s[2:3], 0
	s_mov_b64 s[4:5], -1
.LBB38_1738:
	s_andn2_b64 vcc, exec, s[2:3]
	s_mov_b64 s[2:3], 0
	s_cbranch_vccnz .LBB38_1745
; %bb.1739:
	v_mov_b32_e32 v1, 14
	v_cmp_gt_i16_sdwa s[2:3], s13, v1 src0_sel:BYTE_0 src1_sel:DWORD
	s_mov_b64 s[10:11], -1
	s_and_b64 vcc, exec, s[2:3]
	s_cbranch_vccz .LBB38_1743
; %bb.1740:
	v_mov_b32_e32 v1, 15
	v_cmp_eq_u16_sdwa s[2:3], s13, v1 src0_sel:BYTE_0 src1_sel:DWORD
	s_mov_b64 s[0:1], -1
	s_and_b64 vcc, exec, s[2:3]
	s_cbranch_vccz .LBB38_1742
; %bb.1741:
	v_bfe_u32 v1, v0, 16, 1
	s_movk_i32 s0, 0x7fff
	v_add3_u32 v1, v0, v1, s0
	v_lshrrev_b32_e32 v1, 16, v1
	v_mov_b32_e32 v5, 0x7fc0
	v_cmp_o_f32_e32 vcc, v0, v0
	v_cndmask_b32_e32 v1, v5, v1, vcc
	global_store_short v[8:9], v1, off
	s_mov_b64 s[0:1], 0
	s_mov_b64 s[4:5], -1
.LBB38_1742:
	s_mov_b64 s[10:11], 0
.LBB38_1743:
	s_mov_b64 s[2:3], 0
	s_and_b64 vcc, exec, s[10:11]
	s_cbranch_vccz .LBB38_1745
; %bb.1744:
	v_mov_b32_e32 v1, 11
	v_cmp_ne_u16_sdwa s[0:1], s13, v1 src0_sel:BYTE_0 src1_sel:DWORD
	s_mov_b64 s[2:3], -1
.LBB38_1745:
	s_and_b64 vcc, exec, s[0:1]
	s_cbranch_vccnz .LBB38_1801
; %bb.1746:
	s_andn2_b64 vcc, exec, s[2:3]
	s_cbranch_vccnz .LBB38_1748
.LBB38_1747:
	v_cmp_neq_f32_e32 vcc, 0, v0
	v_cndmask_b32_e64 v1, 0, 1, vcc
	s_mov_b64 s[4:5], -1
	global_store_byte v[8:9], v1, off
.LBB38_1748:
	s_mov_b64 s[0:1], 0
.LBB38_1749:
	s_and_b64 vcc, exec, s[0:1]
	s_cbranch_vccz .LBB38_1788
; %bb.1750:
	v_mov_b32_e32 v1, 5
	v_cmp_lt_i16_sdwa s[2:3], s13, v1 src0_sel:BYTE_0 src1_sel:DWORD
	s_mov_b64 s[0:1], -1
	s_and_b64 vcc, exec, s[2:3]
	s_cbranch_vccnz .LBB38_1771
; %bb.1751:
	v_mov_b32_e32 v1, 8
	v_cmp_lt_i16_sdwa s[2:3], s13, v1 src0_sel:BYTE_0 src1_sel:DWORD
	s_and_b64 vcc, exec, s[2:3]
	s_cbranch_vccnz .LBB38_1761
; %bb.1752:
	v_mov_b32_e32 v1, 9
	v_cmp_lt_i16_sdwa s[2:3], s13, v1 src0_sel:BYTE_0 src1_sel:DWORD
	s_and_b64 vcc, exec, s[2:3]
	s_cbranch_vccnz .LBB38_1758
; %bb.1753:
	v_cmp_gt_i16_sdwa s[2:3], s13, v1 src0_sel:BYTE_0 src1_sel:DWORD
	s_and_b64 vcc, exec, s[2:3]
	s_cbranch_vccz .LBB38_1755
; %bb.1754:
	v_mov_b32_e32 v12, 0
	v_cvt_f64_f32_e32 v[10:11], v0
	v_mov_b32_e32 v13, v12
	global_store_dwordx4 v[8:9], v[10:13], off
	s_mov_b64 s[0:1], 0
.LBB38_1755:
	s_andn2_b64 vcc, exec, s[0:1]
	s_cbranch_vccnz .LBB38_1757
; %bb.1756:
	v_mov_b32_e32 v1, 0
	global_store_dwordx2 v[8:9], v[0:1], off
.LBB38_1757:
	s_mov_b64 s[0:1], 0
.LBB38_1758:
	s_andn2_b64 vcc, exec, s[0:1]
	s_cbranch_vccnz .LBB38_1760
; %bb.1759:
	v_cvt_f16_f32_e32 v1, v0
	global_store_dword v[8:9], v1, off
.LBB38_1760:
	s_mov_b64 s[0:1], 0
.LBB38_1761:
	s_andn2_b64 vcc, exec, s[0:1]
	s_cbranch_vccnz .LBB38_1770
; %bb.1762:
	v_mov_b32_e32 v1, 6
	v_cmp_lt_i16_sdwa s[2:3], s13, v1 src0_sel:BYTE_0 src1_sel:DWORD
	s_mov_b64 s[0:1], -1
	s_and_b64 vcc, exec, s[2:3]
	s_cbranch_vccnz .LBB38_1768
; %bb.1763:
	v_cmp_gt_i16_sdwa s[2:3], s13, v1 src0_sel:BYTE_0 src1_sel:DWORD
	s_and_b64 vcc, exec, s[2:3]
	s_cbranch_vccz .LBB38_1765
; %bb.1764:
	v_cvt_f64_f32_e32 v[10:11], v0
	global_store_dwordx2 v[8:9], v[10:11], off
	s_mov_b64 s[0:1], 0
.LBB38_1765:
	s_andn2_b64 vcc, exec, s[0:1]
	s_cbranch_vccnz .LBB38_1767
; %bb.1766:
	global_store_dword v[8:9], v0, off
.LBB38_1767:
	s_mov_b64 s[0:1], 0
.LBB38_1768:
	s_andn2_b64 vcc, exec, s[0:1]
	s_cbranch_vccnz .LBB38_1770
; %bb.1769:
	v_cvt_f16_f32_e32 v1, v0
	global_store_short v[8:9], v1, off
.LBB38_1770:
	s_mov_b64 s[0:1], 0
.LBB38_1771:
	s_andn2_b64 vcc, exec, s[0:1]
	s_cbranch_vccnz .LBB38_1787
; %bb.1772:
	v_mov_b32_e32 v1, 2
	v_cmp_lt_i16_sdwa s[2:3], s13, v1 src0_sel:BYTE_0 src1_sel:DWORD
	s_mov_b64 s[0:1], -1
	s_and_b64 vcc, exec, s[2:3]
	s_cbranch_vccnz .LBB38_1782
; %bb.1773:
	v_mov_b32_e32 v1, 3
	v_cmp_lt_i16_sdwa s[2:3], s13, v1 src0_sel:BYTE_0 src1_sel:DWORD
	s_and_b64 vcc, exec, s[2:3]
	s_cbranch_vccnz .LBB38_1779
; %bb.1774:
	v_cmp_gt_i16_sdwa s[2:3], s13, v1 src0_sel:BYTE_0 src1_sel:DWORD
	s_and_b64 vcc, exec, s[2:3]
	s_cbranch_vccz .LBB38_1776
; %bb.1775:
	v_trunc_f32_e32 v1, v0
	s_mov_b32 s0, 0x2f800000
	v_mul_f32_e64 v5, |v1|, s0
	v_floor_f32_e32 v5, v5
	s_mov_b32 s0, 0xcf800000
	v_cvt_u32_f32_e32 v7, v5
	v_fma_f32 v5, v5, s0, |v1|
	v_cvt_u32_f32_e32 v5, v5
	v_ashrrev_i32_e32 v1, 31, v1
	v_xor_b32_e32 v7, v7, v1
	s_mov_b64 s[0:1], 0
	v_xor_b32_e32 v5, v5, v1
	v_sub_co_u32_e32 v10, vcc, v5, v1
	v_subb_co_u32_e32 v11, vcc, v7, v1, vcc
	global_store_dwordx2 v[8:9], v[10:11], off
.LBB38_1776:
	s_andn2_b64 vcc, exec, s[0:1]
	s_cbranch_vccnz .LBB38_1778
; %bb.1777:
	v_cvt_i32_f32_e32 v1, v0
	global_store_dword v[8:9], v1, off
.LBB38_1778:
	s_mov_b64 s[0:1], 0
.LBB38_1779:
	s_andn2_b64 vcc, exec, s[0:1]
	s_cbranch_vccnz .LBB38_1781
; %bb.1780:
	v_cvt_i32_f32_e32 v1, v0
	global_store_short v[8:9], v1, off
.LBB38_1781:
	s_mov_b64 s[0:1], 0
.LBB38_1782:
	s_andn2_b64 vcc, exec, s[0:1]
	s_cbranch_vccnz .LBB38_1787
; %bb.1783:
	v_mov_b32_e32 v1, 0
	v_cmp_gt_i16_sdwa s[2:3], s13, v1 src0_sel:BYTE_0 src1_sel:DWORD
	s_mov_b64 s[0:1], -1
	s_and_b64 vcc, exec, s[2:3]
	s_cbranch_vccz .LBB38_1785
; %bb.1784:
	v_cvt_i32_f32_e32 v1, v0
	s_mov_b64 s[0:1], 0
	global_store_byte v[8:9], v1, off
.LBB38_1785:
	s_andn2_b64 vcc, exec, s[0:1]
	s_cbranch_vccnz .LBB38_1787
; %bb.1786:
	v_trunc_f32_e32 v0, v0
	s_mov_b32 s0, 0x2f800000
	v_mul_f32_e64 v1, |v0|, s0
	v_floor_f32_e32 v1, v1
	s_mov_b32 s0, 0xcf800000
	v_fma_f32 v1, v1, s0, |v0|
	v_cvt_u32_f32_e32 v1, v1
	v_ashrrev_i32_e32 v0, 31, v0
	v_xor_b32_e32 v1, v1, v0
	v_sub_u32_e32 v0, v1, v0
	global_store_byte v[8:9], v0, off
.LBB38_1787:
	s_mov_b64 s[4:5], -1
.LBB38_1788:
	s_andn2_b64 vcc, exec, s[4:5]
	s_cbranch_vccnz .LBB38_2119
; %bb.1789:
	s_lshl_b32 s12, s14, 7
	v_add_u32_e32 v5, s12, v3
	v_ashrrev_i32_e32 v1, 31, v5
	v_mov_b32_e32 v3, s9
	v_add_co_u32_e32 v0, vcc, s8, v5
	v_addc_co_u32_e32 v1, vcc, v3, v1, vcc
	v_mov_b32_e32 v3, 11
	v_cmp_lt_i16_sdwa s[0:1], s13, v3 src0_sel:BYTE_0 src1_sel:DWORD
	s_and_b64 vcc, exec, s[0:1]
	s_cbranch_vccnz .LBB38_1796
; %bb.1790:
	v_mov_b32_e32 v3, 25
	v_cmp_gt_i16_sdwa s[0:1], s13, v3 src0_sel:BYTE_0 src1_sel:DWORD
	s_mov_b64 s[10:11], -1
	s_mov_b64 s[2:3], 0
	s_and_b64 vcc, exec, s[0:1]
	s_mov_b64 s[4:5], 0
	s_mov_b64 s[0:1], 0
	s_cbranch_vccz .LBB38_1832
; %bb.1791:
	v_mov_b32_e32 v3, 28
	v_cmp_gt_i16_sdwa s[0:1], s13, v3 src0_sel:BYTE_0 src1_sel:DWORD
	s_and_b64 vcc, exec, s[0:1]
	s_cbranch_vccz .LBB38_1797
; %bb.1792:
	v_mov_b32_e32 v3, 43
	v_cmp_gt_i16_sdwa s[0:1], s13, v3 src0_sel:BYTE_0 src1_sel:DWORD
	s_and_b64 vcc, exec, s[0:1]
	;; [unrolled: 5-line block ×3, first 2 shown]
	s_cbranch_vccz .LBB38_1804
; %bb.1794:
	v_mov_b32_e32 v3, 46
	v_cmp_eq_u16_sdwa s[4:5], s13, v3 src0_sel:BYTE_0 src1_sel:DWORD
	s_mov_b64 s[0:1], -1
	s_mov_b64 s[10:11], 0
	s_and_b64 vcc, exec, s[4:5]
	s_mov_b64 s[4:5], 0
	s_cbranch_vccz .LBB38_1805
; %bb.1795:
	v_bfe_u32 v3, v2, 16, 1
	s_movk_i32 s0, 0x7fff
	v_add3_u32 v3, v2, v3, s0
	v_lshrrev_b32_e32 v3, 16, v3
	v_mov_b32_e32 v7, 0x7fc0
	v_cmp_o_f32_e32 vcc, v2, v2
	v_cndmask_b32_e32 v3, v7, v3, vcc
	global_store_dword v[0:1], v3, off
	s_mov_b64 s[0:1], 0
	s_mov_b64 s[4:5], -1
	s_branch .LBB38_1805
.LBB38_1796:
	s_mov_b64 s[0:1], -1
	s_mov_b64 s[4:5], 0
	s_branch .LBB38_1876
.LBB38_1797:
	s_mov_b64 s[0:1], 0
	s_branch .LBB38_1815
.LBB38_1798:
	s_or_saveexec_b64 s[20:21], s[20:21]
                                        ; implicit-def: $sgpr12
	s_xor_b64 exec, exec, s[20:21]
	s_cbranch_execz .LBB38_1699
.LBB38_1799:
	s_mov_b32 s12, 0x46000000
	v_add_f32_e64 v1, |v0|, s12
	v_and_b32_e32 v1, 0xff, v1
	v_cmp_ne_u32_e32 vcc, 0, v1
	s_andn2_b64 s[10:11], s[10:11], exec
	s_and_b64 s[22:23], vcc, exec
	s_mov_b32 s12, 0
	s_or_b64 s[10:11], s[10:11], s[22:23]
	s_or_b64 exec, exec, s[20:21]
	v_mov_b32_e32 v5, s12
	s_and_saveexec_b64 s[20:21], s[10:11]
	s_cbranch_execnz .LBB38_1700
	s_branch .LBB38_1701
.LBB38_1800:
	s_mov_b64 s[0:1], 0
	s_branch .LBB38_1811
.LBB38_1801:
	s_trap 2
	s_or_b64 s[18:19], s[18:19], exec
	s_cbranch_execz .LBB38_1747
	s_branch .LBB38_1748
.LBB38_1802:
	s_or_saveexec_b64 s[10:11], s[10:11]
                                        ; implicit-def: $sgpr12
	s_xor_b64 exec, exec, s[10:11]
	s_cbranch_execz .LBB38_1712
.LBB38_1803:
	s_mov_b32 s12, 0x42800000
	v_add_f32_e64 v1, |v0|, s12
	v_and_b32_e32 v1, 0xff, v1
	v_cmp_ne_u32_e32 vcc, 0, v1
	s_andn2_b64 s[4:5], s[4:5], exec
	s_and_b64 s[20:21], vcc, exec
	s_mov_b32 s12, 0
	s_or_b64 s[4:5], s[4:5], s[20:21]
	s_or_b64 exec, exec, s[10:11]
	v_mov_b32_e32 v5, s12
	s_and_saveexec_b64 s[10:11], s[4:5]
	s_cbranch_execnz .LBB38_1713
	s_branch .LBB38_1714
.LBB38_1804:
	s_mov_b64 s[0:1], 0
.LBB38_1805:
	s_and_b64 vcc, exec, s[10:11]
	s_cbranch_vccz .LBB38_1810
; %bb.1806:
	v_mov_b32_e32 v3, 44
	v_cmp_eq_u16_sdwa s[10:11], s13, v3 src0_sel:BYTE_0 src1_sel:DWORD
	s_mov_b64 s[0:1], -1
	s_and_b64 vcc, exec, s[10:11]
	s_cbranch_vccz .LBB38_1810
; %bb.1807:
	v_bfe_u32 v3, v2, 23, 8
	s_movk_i32 s0, 0xff
	v_cmp_ne_u32_e32 vcc, s0, v3
	v_mov_b32_e32 v7, 0xff
	s_and_saveexec_b64 s[4:5], vcc
; %bb.1808:
	s_mov_b32 s0, 0x3fffff
	v_and_b32_e32 v8, 0x400000, v2
	v_and_or_b32 v3, v2, s0, v3
	v_cmp_ne_u32_e32 vcc, 0, v8
	v_cmp_ne_u32_e64 s[0:1], 0, v3
	s_and_b64 s[0:1], vcc, s[0:1]
	v_lshrrev_b32_e32 v7, 23, v2
	v_cndmask_b32_e64 v3, 0, 1, s[0:1]
	v_add_u32_e32 v7, v7, v3
; %bb.1809:
	s_or_b64 exec, exec, s[4:5]
	s_mov_b64 s[0:1], 0
	s_mov_b64 s[4:5], -1
	global_store_byte v[0:1], v7, off
.LBB38_1810:
	s_mov_b64 s[10:11], 0
.LBB38_1811:
	s_and_b64 vcc, exec, s[10:11]
	s_cbranch_vccz .LBB38_1814
; %bb.1812:
	v_mov_b32_e32 v3, 29
	v_cmp_eq_u16_sdwa s[10:11], s13, v3 src0_sel:BYTE_0 src1_sel:DWORD
	s_mov_b64 s[0:1], -1
	s_and_b64 vcc, exec, s[10:11]
	s_cbranch_vccz .LBB38_1814
; %bb.1813:
	v_trunc_f32_e32 v3, v2
	v_mul_f32_e32 v7, 0x2f800000, v3
	v_floor_f32_e32 v7, v7
	v_fmac_f32_e32 v3, 0xcf800000, v7
	v_cvt_u32_f32_e32 v9, v7
	v_cvt_u32_f32_e32 v8, v3
	s_mov_b64 s[0:1], 0
	s_mov_b64 s[4:5], -1
	s_mov_b64 s[10:11], 0
	global_store_dwordx2 v[0:1], v[8:9], off
	s_branch .LBB38_1815
.LBB38_1814:
	s_mov_b64 s[10:11], 0
.LBB38_1815:
	s_and_b64 vcc, exec, s[10:11]
	s_cbranch_vccz .LBB38_1831
; %bb.1816:
	v_mov_b32_e32 v3, 27
	v_cmp_lt_i16_sdwa s[10:11], s13, v3 src0_sel:BYTE_0 src1_sel:DWORD
	s_mov_b64 s[4:5], -1
	s_and_b64 vcc, exec, s[10:11]
	s_cbranch_vccnz .LBB38_1822
; %bb.1817:
	v_cmp_gt_i16_sdwa s[10:11], s13, v3 src0_sel:BYTE_0 src1_sel:DWORD
	v_cvt_u32_f32_e32 v3, v2
	s_and_b64 vcc, exec, s[10:11]
	s_cbranch_vccz .LBB38_1819
; %bb.1818:
	s_mov_b64 s[4:5], 0
	global_store_dword v[0:1], v3, off
.LBB38_1819:
	s_andn2_b64 vcc, exec, s[4:5]
	s_cbranch_vccnz .LBB38_1821
; %bb.1820:
	global_store_short v[0:1], v3, off
.LBB38_1821:
	s_mov_b64 s[4:5], 0
.LBB38_1822:
	s_andn2_b64 vcc, exec, s[4:5]
	s_cbranch_vccnz .LBB38_1830
; %bb.1823:
	v_and_b32_e32 v3, 0x7fffffff, v2
	s_mov_b32 s4, 0x43800000
	v_cmp_gt_u32_e32 vcc, s4, v3
	v_mov_b32_e32 v7, 0x80
	s_and_saveexec_b64 s[4:5], vcc
	s_cbranch_execz .LBB38_1829
; %bb.1824:
	s_mov_b32 s10, 0x3bffffff
	v_cmp_lt_u32_e32 vcc, s10, v3
	s_mov_b64 s[10:11], 0
                                        ; implicit-def: $vgpr3
	s_and_saveexec_b64 s[14:15], vcc
	s_xor_b64 s[14:15], exec, s[14:15]
	s_cbranch_execz .LBB38_1925
; %bb.1825:
	v_bfe_u32 v3, v2, 20, 1
	s_mov_b32 s20, 0x487ffff
	v_add3_u32 v3, v2, v3, s20
	s_mov_b64 s[10:11], exec
	v_lshrrev_b32_e32 v3, 20, v3
	s_or_saveexec_b64 s[14:15], s[14:15]
                                        ; implicit-def: $sgpr20
	s_xor_b64 exec, exec, s[14:15]
	s_cbranch_execnz .LBB38_1926
.LBB38_1826:
	s_or_b64 exec, exec, s[14:15]
	v_mov_b32_e32 v7, s20
	s_and_saveexec_b64 s[14:15], s[10:11]
.LBB38_1827:
	v_lshrrev_b32_e32 v7, 24, v2
	s_movk_i32 s10, 0x80
	v_and_or_b32 v7, v7, s10, v3
.LBB38_1828:
	s_or_b64 exec, exec, s[14:15]
.LBB38_1829:
	s_or_b64 exec, exec, s[4:5]
	global_store_byte v[0:1], v7, off
.LBB38_1830:
	s_mov_b64 s[4:5], -1
.LBB38_1831:
	s_mov_b64 s[10:11], 0
.LBB38_1832:
	s_and_b64 vcc, exec, s[10:11]
	s_cbranch_vccz .LBB38_1872
; %bb.1833:
	v_mov_b32_e32 v3, 22
	v_cmp_gt_i16_sdwa s[10:11], s13, v3 src0_sel:BYTE_0 src1_sel:DWORD
	s_mov_b64 s[2:3], -1
	s_and_b64 vcc, exec, s[10:11]
	s_cbranch_vccz .LBB38_1865
; %bb.1834:
	v_mov_b32_e32 v3, 24
	v_cmp_lt_i16_sdwa s[4:5], s13, v3 src0_sel:BYTE_0 src1_sel:DWORD
	s_and_b64 vcc, exec, s[4:5]
	s_cbranch_vccnz .LBB38_1854
; %bb.1835:
	v_cmp_gt_i16_sdwa s[4:5], s13, v3 src0_sel:BYTE_0 src1_sel:DWORD
	s_and_b64 vcc, exec, s[4:5]
	s_cbranch_vccz .LBB38_1843
; %bb.1836:
	v_and_b32_e32 v3, 0x7fffffff, v2
	s_mov_b32 s2, 0x47800000
	v_cmp_gt_u32_e32 vcc, s2, v3
	v_mov_b32_e32 v7, 0x80
	s_and_saveexec_b64 s[2:3], vcc
	s_cbranch_execz .LBB38_1842
; %bb.1837:
	s_mov_b32 s4, 0x37ffffff
	v_cmp_lt_u32_e32 vcc, s4, v3
	s_mov_b64 s[4:5], 0
                                        ; implicit-def: $vgpr3
	s_and_saveexec_b64 s[10:11], vcc
	s_xor_b64 s[10:11], exec, s[10:11]
	s_cbranch_execz .LBB38_1929
; %bb.1838:
	v_bfe_u32 v3, v2, 21, 1
	s_mov_b32 s14, 0x88fffff
	v_add3_u32 v3, v2, v3, s14
	s_mov_b64 s[4:5], exec
	v_lshrrev_b32_e32 v3, 21, v3
	s_or_saveexec_b64 s[10:11], s[10:11]
                                        ; implicit-def: $sgpr14
	s_xor_b64 exec, exec, s[10:11]
	s_cbranch_execnz .LBB38_1930
.LBB38_1839:
	s_or_b64 exec, exec, s[10:11]
	v_mov_b32_e32 v7, s14
	s_and_saveexec_b64 s[10:11], s[4:5]
.LBB38_1840:
	v_lshrrev_b32_e32 v7, 24, v2
	s_movk_i32 s4, 0x80
	v_and_or_b32 v7, v7, s4, v3
.LBB38_1841:
	s_or_b64 exec, exec, s[10:11]
.LBB38_1842:
	s_or_b64 exec, exec, s[2:3]
	s_mov_b64 s[2:3], 0
	global_store_byte v[0:1], v7, off
.LBB38_1843:
	s_and_b64 vcc, exec, s[2:3]
	s_cbranch_vccz .LBB38_1853
; %bb.1844:
	v_and_b32_e32 v7, 0x7fffffff, v2
	s_mov_b32 s2, 0x43f00000
	v_cmp_gt_u32_e32 vcc, s2, v7
                                        ; implicit-def: $vgpr3
	s_and_saveexec_b64 s[2:3], vcc
	s_xor_b64 s[2:3], exec, s[2:3]
	s_cbranch_execz .LBB38_1850
; %bb.1845:
	s_mov_b32 s4, 0x3c7fffff
	v_cmp_lt_u32_e32 vcc, s4, v7
                                        ; implicit-def: $vgpr3
	s_and_saveexec_b64 s[4:5], vcc
	s_xor_b64 s[4:5], exec, s[4:5]
; %bb.1846:
	v_bfe_u32 v3, v2, 20, 1
	s_mov_b32 s10, 0x407ffff
	v_add3_u32 v3, v2, v3, s10
	v_lshrrev_b32_e32 v7, 20, v3
	v_and_b32_e32 v3, 0xff00000, v3
	s_mov_b32 s10, 0x7f00000
	v_mov_b32_e32 v8, 0x7e
	v_cmp_ne_u32_e32 vcc, s10, v3
	v_cndmask_b32_e32 v3, v8, v7, vcc
; %bb.1847:
	s_andn2_saveexec_b64 s[4:5], s[4:5]
; %bb.1848:
	s_mov_b32 s10, 0x46800000
	v_add_f32_e64 v3, |v2|, s10
; %bb.1849:
	s_or_b64 exec, exec, s[4:5]
                                        ; implicit-def: $vgpr7
.LBB38_1850:
	s_andn2_saveexec_b64 s[2:3], s[2:3]
; %bb.1851:
	s_mov_b32 s4, 0x7f800000
	v_mov_b32_e32 v3, 0x7e
	v_mov_b32_e32 v8, 0x7f
	v_cmp_lt_u32_e32 vcc, s4, v7
	v_cndmask_b32_e32 v3, v3, v8, vcc
; %bb.1852:
	s_or_b64 exec, exec, s[2:3]
	v_lshrrev_b32_e32 v7, 24, v2
	s_movk_i32 s2, 0x80
	v_and_or_b32 v3, v7, s2, v3
	global_store_byte v[0:1], v3, off
.LBB38_1853:
	s_mov_b64 s[2:3], 0
.LBB38_1854:
	s_andn2_b64 vcc, exec, s[2:3]
	s_cbranch_vccnz .LBB38_1864
; %bb.1855:
	v_and_b32_e32 v7, 0x7fffffff, v2
	s_mov_b32 s2, 0x47800000
	v_cmp_gt_u32_e32 vcc, s2, v7
                                        ; implicit-def: $vgpr3
	s_and_saveexec_b64 s[2:3], vcc
	s_xor_b64 s[2:3], exec, s[2:3]
	s_cbranch_execz .LBB38_1861
; %bb.1856:
	s_mov_b32 s4, 0x387fffff
	v_cmp_lt_u32_e32 vcc, s4, v7
                                        ; implicit-def: $vgpr3
	s_and_saveexec_b64 s[4:5], vcc
	s_xor_b64 s[4:5], exec, s[4:5]
; %bb.1857:
	v_bfe_u32 v3, v2, 21, 1
	s_mov_b32 s10, 0x80fffff
	v_add3_u32 v3, v2, v3, s10
	v_lshrrev_b32_e32 v3, 21, v3
; %bb.1858:
	s_andn2_saveexec_b64 s[4:5], s[4:5]
; %bb.1859:
	s_mov_b32 s10, 0x43000000
	v_add_f32_e64 v3, |v2|, s10
; %bb.1860:
	s_or_b64 exec, exec, s[4:5]
                                        ; implicit-def: $vgpr7
.LBB38_1861:
	s_andn2_saveexec_b64 s[2:3], s[2:3]
; %bb.1862:
	s_mov_b32 s4, 0x7f800000
	v_mov_b32_e32 v3, 0x7c
	v_mov_b32_e32 v8, 0x7f
	v_cmp_lt_u32_e32 vcc, s4, v7
	v_cndmask_b32_e32 v3, v3, v8, vcc
; %bb.1863:
	s_or_b64 exec, exec, s[2:3]
	v_lshrrev_b32_e32 v7, 24, v2
	s_movk_i32 s2, 0x80
	v_and_or_b32 v3, v7, s2, v3
	global_store_byte v[0:1], v3, off
.LBB38_1864:
	s_mov_b64 s[2:3], 0
	s_mov_b64 s[4:5], -1
.LBB38_1865:
	s_andn2_b64 vcc, exec, s[2:3]
	s_mov_b64 s[2:3], 0
	s_cbranch_vccnz .LBB38_1872
; %bb.1866:
	v_mov_b32_e32 v3, 14
	v_cmp_gt_i16_sdwa s[2:3], s13, v3 src0_sel:BYTE_0 src1_sel:DWORD
	s_mov_b64 s[10:11], -1
	s_and_b64 vcc, exec, s[2:3]
	s_cbranch_vccz .LBB38_1870
; %bb.1867:
	v_mov_b32_e32 v3, 15
	v_cmp_eq_u16_sdwa s[2:3], s13, v3 src0_sel:BYTE_0 src1_sel:DWORD
	s_mov_b64 s[0:1], -1
	s_and_b64 vcc, exec, s[2:3]
	s_cbranch_vccz .LBB38_1869
; %bb.1868:
	v_bfe_u32 v3, v2, 16, 1
	s_movk_i32 s0, 0x7fff
	v_add3_u32 v3, v2, v3, s0
	v_lshrrev_b32_e32 v3, 16, v3
	v_mov_b32_e32 v7, 0x7fc0
	v_cmp_o_f32_e32 vcc, v2, v2
	v_cndmask_b32_e32 v3, v7, v3, vcc
	global_store_short v[0:1], v3, off
	s_mov_b64 s[0:1], 0
	s_mov_b64 s[4:5], -1
.LBB38_1869:
	s_mov_b64 s[10:11], 0
.LBB38_1870:
	s_mov_b64 s[2:3], 0
	s_and_b64 vcc, exec, s[10:11]
	s_cbranch_vccz .LBB38_1872
; %bb.1871:
	v_mov_b32_e32 v3, 11
	v_cmp_ne_u16_sdwa s[0:1], s13, v3 src0_sel:BYTE_0 src1_sel:DWORD
	s_mov_b64 s[2:3], -1
.LBB38_1872:
	s_and_b64 vcc, exec, s[0:1]
	s_cbranch_vccnz .LBB38_1928
; %bb.1873:
	s_andn2_b64 vcc, exec, s[2:3]
	s_cbranch_vccnz .LBB38_1875
.LBB38_1874:
	v_cmp_neq_f32_e32 vcc, 0, v2
	v_cndmask_b32_e64 v3, 0, 1, vcc
	s_mov_b64 s[4:5], -1
	global_store_byte v[0:1], v3, off
.LBB38_1875:
	s_mov_b64 s[0:1], 0
.LBB38_1876:
	s_and_b64 vcc, exec, s[0:1]
	s_cbranch_vccz .LBB38_1915
; %bb.1877:
	v_mov_b32_e32 v3, 5
	v_cmp_lt_i16_sdwa s[2:3], s13, v3 src0_sel:BYTE_0 src1_sel:DWORD
	s_mov_b64 s[0:1], -1
	s_and_b64 vcc, exec, s[2:3]
	s_cbranch_vccnz .LBB38_1898
; %bb.1878:
	v_mov_b32_e32 v3, 8
	v_cmp_lt_i16_sdwa s[2:3], s13, v3 src0_sel:BYTE_0 src1_sel:DWORD
	s_and_b64 vcc, exec, s[2:3]
	s_cbranch_vccnz .LBB38_1888
; %bb.1879:
	v_mov_b32_e32 v3, 9
	v_cmp_lt_i16_sdwa s[2:3], s13, v3 src0_sel:BYTE_0 src1_sel:DWORD
	s_and_b64 vcc, exec, s[2:3]
	s_cbranch_vccnz .LBB38_1885
; %bb.1880:
	v_cmp_gt_i16_sdwa s[2:3], s13, v3 src0_sel:BYTE_0 src1_sel:DWORD
	s_and_b64 vcc, exec, s[2:3]
	s_cbranch_vccz .LBB38_1882
; %bb.1881:
	v_mov_b32_e32 v10, 0
	v_cvt_f64_f32_e32 v[8:9], v2
	v_mov_b32_e32 v11, v10
	global_store_dwordx4 v[0:1], v[8:11], off
	s_mov_b64 s[0:1], 0
.LBB38_1882:
	s_andn2_b64 vcc, exec, s[0:1]
	s_cbranch_vccnz .LBB38_1884
; %bb.1883:
	v_mov_b32_e32 v3, 0
	global_store_dwordx2 v[0:1], v[2:3], off
.LBB38_1884:
	s_mov_b64 s[0:1], 0
.LBB38_1885:
	s_andn2_b64 vcc, exec, s[0:1]
	s_cbranch_vccnz .LBB38_1887
; %bb.1886:
	v_cvt_f16_f32_e32 v3, v2
	global_store_dword v[0:1], v3, off
.LBB38_1887:
	s_mov_b64 s[0:1], 0
.LBB38_1888:
	s_andn2_b64 vcc, exec, s[0:1]
	s_cbranch_vccnz .LBB38_1897
; %bb.1889:
	v_mov_b32_e32 v3, 6
	v_cmp_lt_i16_sdwa s[2:3], s13, v3 src0_sel:BYTE_0 src1_sel:DWORD
	s_mov_b64 s[0:1], -1
	s_and_b64 vcc, exec, s[2:3]
	s_cbranch_vccnz .LBB38_1895
; %bb.1890:
	v_cmp_gt_i16_sdwa s[2:3], s13, v3 src0_sel:BYTE_0 src1_sel:DWORD
	s_and_b64 vcc, exec, s[2:3]
	s_cbranch_vccz .LBB38_1892
; %bb.1891:
	v_cvt_f64_f32_e32 v[8:9], v2
	global_store_dwordx2 v[0:1], v[8:9], off
	s_mov_b64 s[0:1], 0
.LBB38_1892:
	s_andn2_b64 vcc, exec, s[0:1]
	s_cbranch_vccnz .LBB38_1894
; %bb.1893:
	global_store_dword v[0:1], v2, off
.LBB38_1894:
	s_mov_b64 s[0:1], 0
.LBB38_1895:
	s_andn2_b64 vcc, exec, s[0:1]
	s_cbranch_vccnz .LBB38_1897
; %bb.1896:
	v_cvt_f16_f32_e32 v3, v2
	global_store_short v[0:1], v3, off
.LBB38_1897:
	s_mov_b64 s[0:1], 0
.LBB38_1898:
	s_andn2_b64 vcc, exec, s[0:1]
	s_cbranch_vccnz .LBB38_1914
; %bb.1899:
	v_mov_b32_e32 v3, 2
	v_cmp_lt_i16_sdwa s[2:3], s13, v3 src0_sel:BYTE_0 src1_sel:DWORD
	s_mov_b64 s[0:1], -1
	s_and_b64 vcc, exec, s[2:3]
	s_cbranch_vccnz .LBB38_1909
; %bb.1900:
	v_mov_b32_e32 v3, 3
	v_cmp_lt_i16_sdwa s[2:3], s13, v3 src0_sel:BYTE_0 src1_sel:DWORD
	s_and_b64 vcc, exec, s[2:3]
	s_cbranch_vccnz .LBB38_1906
; %bb.1901:
	v_cmp_gt_i16_sdwa s[2:3], s13, v3 src0_sel:BYTE_0 src1_sel:DWORD
	s_and_b64 vcc, exec, s[2:3]
	s_cbranch_vccz .LBB38_1903
; %bb.1902:
	v_trunc_f32_e32 v3, v2
	s_mov_b32 s0, 0x2f800000
	v_mul_f32_e64 v7, |v3|, s0
	v_floor_f32_e32 v7, v7
	s_mov_b32 s0, 0xcf800000
	v_cvt_u32_f32_e32 v8, v7
	v_fma_f32 v7, v7, s0, |v3|
	v_cvt_u32_f32_e32 v7, v7
	v_ashrrev_i32_e32 v3, 31, v3
	v_xor_b32_e32 v9, v8, v3
	s_mov_b64 s[0:1], 0
	v_xor_b32_e32 v7, v7, v3
	v_sub_co_u32_e32 v8, vcc, v7, v3
	v_subb_co_u32_e32 v9, vcc, v9, v3, vcc
	global_store_dwordx2 v[0:1], v[8:9], off
.LBB38_1903:
	s_andn2_b64 vcc, exec, s[0:1]
	s_cbranch_vccnz .LBB38_1905
; %bb.1904:
	v_cvt_i32_f32_e32 v3, v2
	global_store_dword v[0:1], v3, off
.LBB38_1905:
	s_mov_b64 s[0:1], 0
.LBB38_1906:
	s_andn2_b64 vcc, exec, s[0:1]
	s_cbranch_vccnz .LBB38_1908
; %bb.1907:
	v_cvt_i32_f32_e32 v3, v2
	global_store_short v[0:1], v3, off
.LBB38_1908:
	s_mov_b64 s[0:1], 0
.LBB38_1909:
	s_andn2_b64 vcc, exec, s[0:1]
	s_cbranch_vccnz .LBB38_1914
; %bb.1910:
	v_mov_b32_e32 v3, 0
	v_cmp_gt_i16_sdwa s[2:3], s13, v3 src0_sel:BYTE_0 src1_sel:DWORD
	s_mov_b64 s[0:1], -1
	s_and_b64 vcc, exec, s[2:3]
	s_cbranch_vccz .LBB38_1912
; %bb.1911:
	v_cvt_i32_f32_e32 v3, v2
	s_mov_b64 s[0:1], 0
	global_store_byte v[0:1], v3, off
.LBB38_1912:
	s_andn2_b64 vcc, exec, s[0:1]
	s_cbranch_vccnz .LBB38_1914
; %bb.1913:
	v_trunc_f32_e32 v2, v2
	s_mov_b32 s0, 0x2f800000
	v_mul_f32_e64 v3, |v2|, s0
	v_floor_f32_e32 v3, v3
	s_mov_b32 s0, 0xcf800000
	v_fma_f32 v3, v3, s0, |v2|
	v_cvt_u32_f32_e32 v3, v3
	v_ashrrev_i32_e32 v2, 31, v2
	v_xor_b32_e32 v3, v3, v2
	v_sub_u32_e32 v2, v3, v2
	global_store_byte v[0:1], v2, off
.LBB38_1914:
	s_mov_b64 s[4:5], -1
.LBB38_1915:
	s_andn2_b64 vcc, exec, s[4:5]
	s_cbranch_vccnz .LBB38_2119
; %bb.1916:
	v_add_u32_e32 v2, s12, v5
	v_ashrrev_i32_e32 v1, 31, v2
	v_mov_b32_e32 v3, s9
	v_add_co_u32_e32 v0, vcc, s8, v2
	v_addc_co_u32_e32 v1, vcc, v3, v1, vcc
	v_mov_b32_e32 v3, 11
	v_cmp_lt_i16_sdwa s[0:1], s13, v3 src0_sel:BYTE_0 src1_sel:DWORD
	s_and_b64 vcc, exec, s[0:1]
	s_cbranch_vccnz .LBB38_1923
; %bb.1917:
	v_mov_b32_e32 v3, 25
	v_cmp_gt_i16_sdwa s[0:1], s13, v3 src0_sel:BYTE_0 src1_sel:DWORD
	s_mov_b64 s[10:11], -1
	s_mov_b64 s[2:3], 0
	s_and_b64 vcc, exec, s[0:1]
	s_mov_b64 s[4:5], 0
	s_mov_b64 s[0:1], 0
	s_cbranch_vccz .LBB38_1959
; %bb.1918:
	v_mov_b32_e32 v3, 28
	v_cmp_gt_i16_sdwa s[0:1], s13, v3 src0_sel:BYTE_0 src1_sel:DWORD
	s_and_b64 vcc, exec, s[0:1]
	s_cbranch_vccz .LBB38_1924
; %bb.1919:
	v_mov_b32_e32 v3, 43
	v_cmp_gt_i16_sdwa s[0:1], s13, v3 src0_sel:BYTE_0 src1_sel:DWORD
	s_and_b64 vcc, exec, s[0:1]
	;; [unrolled: 5-line block ×3, first 2 shown]
	s_cbranch_vccz .LBB38_1931
; %bb.1921:
	v_mov_b32_e32 v3, 46
	v_cmp_eq_u16_sdwa s[4:5], s13, v3 src0_sel:BYTE_0 src1_sel:DWORD
	s_mov_b64 s[0:1], -1
	s_mov_b64 s[10:11], 0
	s_and_b64 vcc, exec, s[4:5]
	s_mov_b64 s[4:5], 0
	s_cbranch_vccz .LBB38_1932
; %bb.1922:
	v_bfe_u32 v3, v6, 16, 1
	s_movk_i32 s0, 0x7fff
	v_add3_u32 v3, v6, v3, s0
	v_lshrrev_b32_e32 v3, 16, v3
	v_mov_b32_e32 v5, 0x7fc0
	v_cmp_o_f32_e32 vcc, v6, v6
	v_cndmask_b32_e32 v3, v5, v3, vcc
	global_store_dword v[0:1], v3, off
	s_mov_b64 s[0:1], 0
	s_mov_b64 s[4:5], -1
	s_branch .LBB38_1932
.LBB38_1923:
	s_mov_b64 s[0:1], -1
	s_mov_b64 s[4:5], 0
	s_branch .LBB38_2003
.LBB38_1924:
	s_mov_b64 s[0:1], 0
	s_branch .LBB38_1942
.LBB38_1925:
	s_or_saveexec_b64 s[14:15], s[14:15]
                                        ; implicit-def: $sgpr20
	s_xor_b64 exec, exec, s[14:15]
	s_cbranch_execz .LBB38_1826
.LBB38_1926:
	s_mov_b32 s20, 0x46000000
	v_add_f32_e64 v3, |v2|, s20
	v_and_b32_e32 v3, 0xff, v3
	v_cmp_ne_u32_e32 vcc, 0, v3
	s_andn2_b64 s[10:11], s[10:11], exec
	s_and_b64 s[22:23], vcc, exec
	s_mov_b32 s20, 0
	s_or_b64 s[10:11], s[10:11], s[22:23]
	s_or_b64 exec, exec, s[14:15]
	v_mov_b32_e32 v7, s20
	s_and_saveexec_b64 s[14:15], s[10:11]
	s_cbranch_execnz .LBB38_1827
	s_branch .LBB38_1828
.LBB38_1927:
	s_mov_b64 s[0:1], 0
	s_branch .LBB38_1938
.LBB38_1928:
	s_trap 2
	s_or_b64 s[18:19], s[18:19], exec
	s_cbranch_execz .LBB38_1874
	s_branch .LBB38_1875
.LBB38_1929:
	s_or_saveexec_b64 s[10:11], s[10:11]
                                        ; implicit-def: $sgpr14
	s_xor_b64 exec, exec, s[10:11]
	s_cbranch_execz .LBB38_1839
.LBB38_1930:
	s_mov_b32 s14, 0x42800000
	v_add_f32_e64 v3, |v2|, s14
	v_and_b32_e32 v3, 0xff, v3
	v_cmp_ne_u32_e32 vcc, 0, v3
	s_andn2_b64 s[4:5], s[4:5], exec
	s_and_b64 s[20:21], vcc, exec
	s_mov_b32 s14, 0
	s_or_b64 s[4:5], s[4:5], s[20:21]
	s_or_b64 exec, exec, s[10:11]
	v_mov_b32_e32 v7, s14
	s_and_saveexec_b64 s[10:11], s[4:5]
	s_cbranch_execnz .LBB38_1840
	s_branch .LBB38_1841
.LBB38_1931:
	s_mov_b64 s[0:1], 0
.LBB38_1932:
	s_and_b64 vcc, exec, s[10:11]
	s_cbranch_vccz .LBB38_1937
; %bb.1933:
	v_mov_b32_e32 v3, 44
	v_cmp_eq_u16_sdwa s[10:11], s13, v3 src0_sel:BYTE_0 src1_sel:DWORD
	s_mov_b64 s[0:1], -1
	s_and_b64 vcc, exec, s[10:11]
	s_cbranch_vccz .LBB38_1937
; %bb.1934:
	v_bfe_u32 v3, v6, 23, 8
	s_movk_i32 s0, 0xff
	v_cmp_ne_u32_e32 vcc, s0, v3
	v_mov_b32_e32 v5, 0xff
	s_and_saveexec_b64 s[4:5], vcc
; %bb.1935:
	s_mov_b32 s0, 0x3fffff
	v_and_b32_e32 v7, 0x400000, v6
	v_and_or_b32 v3, v6, s0, v3
	v_cmp_ne_u32_e32 vcc, 0, v7
	v_cmp_ne_u32_e64 s[0:1], 0, v3
	s_and_b64 s[0:1], vcc, s[0:1]
	v_lshrrev_b32_e32 v5, 23, v6
	v_cndmask_b32_e64 v3, 0, 1, s[0:1]
	v_add_u32_e32 v5, v5, v3
; %bb.1936:
	s_or_b64 exec, exec, s[4:5]
	s_mov_b64 s[0:1], 0
	s_mov_b64 s[4:5], -1
	global_store_byte v[0:1], v5, off
.LBB38_1937:
	s_mov_b64 s[10:11], 0
.LBB38_1938:
	s_and_b64 vcc, exec, s[10:11]
	s_cbranch_vccz .LBB38_1941
; %bb.1939:
	v_mov_b32_e32 v3, 29
	v_cmp_eq_u16_sdwa s[10:11], s13, v3 src0_sel:BYTE_0 src1_sel:DWORD
	s_mov_b64 s[0:1], -1
	s_and_b64 vcc, exec, s[10:11]
	s_cbranch_vccz .LBB38_1941
; %bb.1940:
	v_trunc_f32_e32 v3, v6
	v_mul_f32_e32 v5, 0x2f800000, v3
	v_floor_f32_e32 v5, v5
	v_fmac_f32_e32 v3, 0xcf800000, v5
	v_cvt_u32_f32_e32 v9, v5
	v_cvt_u32_f32_e32 v8, v3
	s_mov_b64 s[0:1], 0
	s_mov_b64 s[4:5], -1
	s_mov_b64 s[10:11], 0
	global_store_dwordx2 v[0:1], v[8:9], off
	s_branch .LBB38_1942
.LBB38_1941:
	s_mov_b64 s[10:11], 0
.LBB38_1942:
	s_and_b64 vcc, exec, s[10:11]
	s_cbranch_vccz .LBB38_1958
; %bb.1943:
	v_mov_b32_e32 v3, 27
	v_cmp_lt_i16_sdwa s[10:11], s13, v3 src0_sel:BYTE_0 src1_sel:DWORD
	s_mov_b64 s[4:5], -1
	s_and_b64 vcc, exec, s[10:11]
	s_cbranch_vccnz .LBB38_1949
; %bb.1944:
	v_cmp_gt_i16_sdwa s[10:11], s13, v3 src0_sel:BYTE_0 src1_sel:DWORD
	v_cvt_u32_f32_e32 v3, v6
	s_and_b64 vcc, exec, s[10:11]
	s_cbranch_vccz .LBB38_1946
; %bb.1945:
	s_mov_b64 s[4:5], 0
	global_store_dword v[0:1], v3, off
.LBB38_1946:
	s_andn2_b64 vcc, exec, s[4:5]
	s_cbranch_vccnz .LBB38_1948
; %bb.1947:
	global_store_short v[0:1], v3, off
.LBB38_1948:
	s_mov_b64 s[4:5], 0
.LBB38_1949:
	s_andn2_b64 vcc, exec, s[4:5]
	s_cbranch_vccnz .LBB38_1957
; %bb.1950:
	v_and_b32_e32 v3, 0x7fffffff, v6
	s_mov_b32 s4, 0x43800000
	v_cmp_gt_u32_e32 vcc, s4, v3
	v_mov_b32_e32 v5, 0x80
	s_and_saveexec_b64 s[4:5], vcc
	s_cbranch_execz .LBB38_1956
; %bb.1951:
	s_mov_b32 s10, 0x3bffffff
	v_cmp_lt_u32_e32 vcc, s10, v3
	s_mov_b64 s[10:11], 0
                                        ; implicit-def: $vgpr3
	s_and_saveexec_b64 s[14:15], vcc
	s_xor_b64 s[14:15], exec, s[14:15]
	s_cbranch_execz .LBB38_2121
; %bb.1952:
	v_bfe_u32 v3, v6, 20, 1
	s_mov_b32 s20, 0x487ffff
	v_add3_u32 v3, v6, v3, s20
	s_mov_b64 s[10:11], exec
	v_lshrrev_b32_e32 v3, 20, v3
	s_or_saveexec_b64 s[14:15], s[14:15]
                                        ; implicit-def: $sgpr20
	s_xor_b64 exec, exec, s[14:15]
	s_cbranch_execnz .LBB38_2122
.LBB38_1953:
	s_or_b64 exec, exec, s[14:15]
	v_mov_b32_e32 v5, s20
	s_and_saveexec_b64 s[14:15], s[10:11]
.LBB38_1954:
	v_lshrrev_b32_e32 v5, 24, v6
	s_movk_i32 s10, 0x80
	v_and_or_b32 v5, v5, s10, v3
.LBB38_1955:
	s_or_b64 exec, exec, s[14:15]
.LBB38_1956:
	s_or_b64 exec, exec, s[4:5]
	global_store_byte v[0:1], v5, off
.LBB38_1957:
	s_mov_b64 s[4:5], -1
.LBB38_1958:
	s_mov_b64 s[10:11], 0
.LBB38_1959:
	s_and_b64 vcc, exec, s[10:11]
	s_cbranch_vccz .LBB38_1999
; %bb.1960:
	v_mov_b32_e32 v3, 22
	v_cmp_gt_i16_sdwa s[10:11], s13, v3 src0_sel:BYTE_0 src1_sel:DWORD
	s_mov_b64 s[2:3], -1
	s_and_b64 vcc, exec, s[10:11]
	s_cbranch_vccz .LBB38_1992
; %bb.1961:
	v_mov_b32_e32 v3, 24
	v_cmp_lt_i16_sdwa s[4:5], s13, v3 src0_sel:BYTE_0 src1_sel:DWORD
	s_and_b64 vcc, exec, s[4:5]
	s_cbranch_vccnz .LBB38_1981
; %bb.1962:
	v_cmp_gt_i16_sdwa s[4:5], s13, v3 src0_sel:BYTE_0 src1_sel:DWORD
	s_and_b64 vcc, exec, s[4:5]
	s_cbranch_vccz .LBB38_1970
; %bb.1963:
	v_and_b32_e32 v3, 0x7fffffff, v6
	s_mov_b32 s2, 0x47800000
	v_cmp_gt_u32_e32 vcc, s2, v3
	v_mov_b32_e32 v5, 0x80
	s_and_saveexec_b64 s[2:3], vcc
	s_cbranch_execz .LBB38_1969
; %bb.1964:
	s_mov_b32 s4, 0x37ffffff
	v_cmp_lt_u32_e32 vcc, s4, v3
	s_mov_b64 s[4:5], 0
                                        ; implicit-def: $vgpr3
	s_and_saveexec_b64 s[10:11], vcc
	s_xor_b64 s[10:11], exec, s[10:11]
	s_cbranch_execz .LBB38_2124
; %bb.1965:
	v_bfe_u32 v3, v6, 21, 1
	s_mov_b32 s14, 0x88fffff
	v_add3_u32 v3, v6, v3, s14
	s_mov_b64 s[4:5], exec
	v_lshrrev_b32_e32 v3, 21, v3
	s_or_saveexec_b64 s[10:11], s[10:11]
                                        ; implicit-def: $sgpr14
	s_xor_b64 exec, exec, s[10:11]
	s_cbranch_execnz .LBB38_2125
.LBB38_1966:
	s_or_b64 exec, exec, s[10:11]
	v_mov_b32_e32 v5, s14
	s_and_saveexec_b64 s[10:11], s[4:5]
.LBB38_1967:
	v_lshrrev_b32_e32 v5, 24, v6
	s_movk_i32 s4, 0x80
	v_and_or_b32 v5, v5, s4, v3
.LBB38_1968:
	s_or_b64 exec, exec, s[10:11]
.LBB38_1969:
	s_or_b64 exec, exec, s[2:3]
	s_mov_b64 s[2:3], 0
	global_store_byte v[0:1], v5, off
.LBB38_1970:
	s_and_b64 vcc, exec, s[2:3]
	s_cbranch_vccz .LBB38_1980
; %bb.1971:
	v_and_b32_e32 v5, 0x7fffffff, v6
	s_mov_b32 s2, 0x43f00000
	v_cmp_gt_u32_e32 vcc, s2, v5
                                        ; implicit-def: $vgpr3
	s_and_saveexec_b64 s[2:3], vcc
	s_xor_b64 s[2:3], exec, s[2:3]
	s_cbranch_execz .LBB38_1977
; %bb.1972:
	s_mov_b32 s4, 0x3c7fffff
	v_cmp_lt_u32_e32 vcc, s4, v5
                                        ; implicit-def: $vgpr3
	s_and_saveexec_b64 s[4:5], vcc
	s_xor_b64 s[4:5], exec, s[4:5]
; %bb.1973:
	v_bfe_u32 v3, v6, 20, 1
	s_mov_b32 s10, 0x407ffff
	v_add3_u32 v3, v6, v3, s10
	v_lshrrev_b32_e32 v5, 20, v3
	v_and_b32_e32 v3, 0xff00000, v3
	s_mov_b32 s10, 0x7f00000
	v_mov_b32_e32 v7, 0x7e
	v_cmp_ne_u32_e32 vcc, s10, v3
	v_cndmask_b32_e32 v3, v7, v5, vcc
; %bb.1974:
	s_andn2_saveexec_b64 s[4:5], s[4:5]
; %bb.1975:
	s_mov_b32 s10, 0x46800000
	v_add_f32_e64 v3, |v6|, s10
; %bb.1976:
	s_or_b64 exec, exec, s[4:5]
                                        ; implicit-def: $vgpr5
.LBB38_1977:
	s_andn2_saveexec_b64 s[2:3], s[2:3]
; %bb.1978:
	s_mov_b32 s4, 0x7f800000
	v_mov_b32_e32 v3, 0x7e
	v_mov_b32_e32 v7, 0x7f
	v_cmp_lt_u32_e32 vcc, s4, v5
	v_cndmask_b32_e32 v3, v3, v7, vcc
; %bb.1979:
	s_or_b64 exec, exec, s[2:3]
	v_lshrrev_b32_e32 v5, 24, v6
	s_movk_i32 s2, 0x80
	v_and_or_b32 v3, v5, s2, v3
	global_store_byte v[0:1], v3, off
.LBB38_1980:
	s_mov_b64 s[2:3], 0
.LBB38_1981:
	s_andn2_b64 vcc, exec, s[2:3]
	s_cbranch_vccnz .LBB38_1991
; %bb.1982:
	v_and_b32_e32 v5, 0x7fffffff, v6
	s_mov_b32 s2, 0x47800000
	v_cmp_gt_u32_e32 vcc, s2, v5
                                        ; implicit-def: $vgpr3
	s_and_saveexec_b64 s[2:3], vcc
	s_xor_b64 s[2:3], exec, s[2:3]
	s_cbranch_execz .LBB38_1988
; %bb.1983:
	s_mov_b32 s4, 0x387fffff
	v_cmp_lt_u32_e32 vcc, s4, v5
                                        ; implicit-def: $vgpr3
	s_and_saveexec_b64 s[4:5], vcc
	s_xor_b64 s[4:5], exec, s[4:5]
; %bb.1984:
	v_bfe_u32 v3, v6, 21, 1
	s_mov_b32 s10, 0x80fffff
	v_add3_u32 v3, v6, v3, s10
	v_lshrrev_b32_e32 v3, 21, v3
; %bb.1985:
	s_andn2_saveexec_b64 s[4:5], s[4:5]
; %bb.1986:
	s_mov_b32 s10, 0x43000000
	v_add_f32_e64 v3, |v6|, s10
; %bb.1987:
	s_or_b64 exec, exec, s[4:5]
                                        ; implicit-def: $vgpr5
.LBB38_1988:
	s_andn2_saveexec_b64 s[2:3], s[2:3]
; %bb.1989:
	s_mov_b32 s4, 0x7f800000
	v_mov_b32_e32 v3, 0x7c
	v_mov_b32_e32 v7, 0x7f
	v_cmp_lt_u32_e32 vcc, s4, v5
	v_cndmask_b32_e32 v3, v3, v7, vcc
; %bb.1990:
	s_or_b64 exec, exec, s[2:3]
	v_lshrrev_b32_e32 v5, 24, v6
	s_movk_i32 s2, 0x80
	v_and_or_b32 v3, v5, s2, v3
	global_store_byte v[0:1], v3, off
.LBB38_1991:
	s_mov_b64 s[2:3], 0
	s_mov_b64 s[4:5], -1
.LBB38_1992:
	s_andn2_b64 vcc, exec, s[2:3]
	s_mov_b64 s[2:3], 0
	s_cbranch_vccnz .LBB38_1999
; %bb.1993:
	v_mov_b32_e32 v3, 14
	v_cmp_gt_i16_sdwa s[2:3], s13, v3 src0_sel:BYTE_0 src1_sel:DWORD
	s_mov_b64 s[10:11], -1
	s_and_b64 vcc, exec, s[2:3]
	s_cbranch_vccz .LBB38_1997
; %bb.1994:
	v_mov_b32_e32 v3, 15
	v_cmp_eq_u16_sdwa s[2:3], s13, v3 src0_sel:BYTE_0 src1_sel:DWORD
	s_mov_b64 s[0:1], -1
	s_and_b64 vcc, exec, s[2:3]
	s_cbranch_vccz .LBB38_1996
; %bb.1995:
	v_bfe_u32 v3, v6, 16, 1
	s_movk_i32 s0, 0x7fff
	v_add3_u32 v3, v6, v3, s0
	v_lshrrev_b32_e32 v3, 16, v3
	v_mov_b32_e32 v5, 0x7fc0
	v_cmp_o_f32_e32 vcc, v6, v6
	v_cndmask_b32_e32 v3, v5, v3, vcc
	global_store_short v[0:1], v3, off
	s_mov_b64 s[0:1], 0
	s_mov_b64 s[4:5], -1
.LBB38_1996:
	s_mov_b64 s[10:11], 0
.LBB38_1997:
	s_mov_b64 s[2:3], 0
	s_and_b64 vcc, exec, s[10:11]
	s_cbranch_vccz .LBB38_1999
; %bb.1998:
	v_mov_b32_e32 v3, 11
	v_cmp_ne_u16_sdwa s[0:1], s13, v3 src0_sel:BYTE_0 src1_sel:DWORD
	s_mov_b64 s[2:3], -1
.LBB38_1999:
	s_and_b64 vcc, exec, s[0:1]
	s_cbranch_vccnz .LBB38_2123
; %bb.2000:
	s_andn2_b64 vcc, exec, s[2:3]
	s_cbranch_vccnz .LBB38_2002
.LBB38_2001:
	v_cmp_neq_f32_e32 vcc, 0, v6
	v_cndmask_b32_e64 v3, 0, 1, vcc
	s_mov_b64 s[4:5], -1
	global_store_byte v[0:1], v3, off
.LBB38_2002:
	s_mov_b64 s[0:1], 0
.LBB38_2003:
	s_and_b64 vcc, exec, s[0:1]
	s_cbranch_vccz .LBB38_2042
; %bb.2004:
	v_mov_b32_e32 v3, 5
	v_cmp_lt_i16_sdwa s[2:3], s13, v3 src0_sel:BYTE_0 src1_sel:DWORD
	s_mov_b64 s[0:1], -1
	s_and_b64 vcc, exec, s[2:3]
	s_cbranch_vccnz .LBB38_2025
; %bb.2005:
	v_mov_b32_e32 v3, 8
	v_cmp_lt_i16_sdwa s[2:3], s13, v3 src0_sel:BYTE_0 src1_sel:DWORD
	s_and_b64 vcc, exec, s[2:3]
	s_cbranch_vccnz .LBB38_2015
; %bb.2006:
	v_mov_b32_e32 v3, 9
	v_cmp_lt_i16_sdwa s[2:3], s13, v3 src0_sel:BYTE_0 src1_sel:DWORD
	s_and_b64 vcc, exec, s[2:3]
	s_cbranch_vccnz .LBB38_2012
; %bb.2007:
	v_cmp_gt_i16_sdwa s[2:3], s13, v3 src0_sel:BYTE_0 src1_sel:DWORD
	s_and_b64 vcc, exec, s[2:3]
	s_cbranch_vccz .LBB38_2009
; %bb.2008:
	v_mov_b32_e32 v10, 0
	v_cvt_f64_f32_e32 v[8:9], v6
	v_mov_b32_e32 v11, v10
	global_store_dwordx4 v[0:1], v[8:11], off
	s_mov_b64 s[0:1], 0
.LBB38_2009:
	s_andn2_b64 vcc, exec, s[0:1]
	s_cbranch_vccnz .LBB38_2011
; %bb.2010:
	v_mov_b32_e32 v7, 0
	global_store_dwordx2 v[0:1], v[6:7], off
.LBB38_2011:
	s_mov_b64 s[0:1], 0
.LBB38_2012:
	s_andn2_b64 vcc, exec, s[0:1]
	s_cbranch_vccnz .LBB38_2014
; %bb.2013:
	v_cvt_f16_f32_e32 v3, v6
	global_store_dword v[0:1], v3, off
.LBB38_2014:
	s_mov_b64 s[0:1], 0
.LBB38_2015:
	s_andn2_b64 vcc, exec, s[0:1]
	s_cbranch_vccnz .LBB38_2024
; %bb.2016:
	v_mov_b32_e32 v3, 6
	v_cmp_lt_i16_sdwa s[2:3], s13, v3 src0_sel:BYTE_0 src1_sel:DWORD
	s_mov_b64 s[0:1], -1
	s_and_b64 vcc, exec, s[2:3]
	s_cbranch_vccnz .LBB38_2022
; %bb.2017:
	v_cmp_gt_i16_sdwa s[2:3], s13, v3 src0_sel:BYTE_0 src1_sel:DWORD
	s_and_b64 vcc, exec, s[2:3]
	s_cbranch_vccz .LBB38_2019
; %bb.2018:
	v_cvt_f64_f32_e32 v[8:9], v6
	global_store_dwordx2 v[0:1], v[8:9], off
	s_mov_b64 s[0:1], 0
.LBB38_2019:
	s_andn2_b64 vcc, exec, s[0:1]
	s_cbranch_vccnz .LBB38_2021
; %bb.2020:
	global_store_dword v[0:1], v6, off
.LBB38_2021:
	s_mov_b64 s[0:1], 0
.LBB38_2022:
	s_andn2_b64 vcc, exec, s[0:1]
	s_cbranch_vccnz .LBB38_2024
; %bb.2023:
	v_cvt_f16_f32_e32 v3, v6
	global_store_short v[0:1], v3, off
.LBB38_2024:
	s_mov_b64 s[0:1], 0
.LBB38_2025:
	s_andn2_b64 vcc, exec, s[0:1]
	s_cbranch_vccnz .LBB38_2041
; %bb.2026:
	v_mov_b32_e32 v3, 2
	v_cmp_lt_i16_sdwa s[2:3], s13, v3 src0_sel:BYTE_0 src1_sel:DWORD
	s_mov_b64 s[0:1], -1
	s_and_b64 vcc, exec, s[2:3]
	s_cbranch_vccnz .LBB38_2036
; %bb.2027:
	v_mov_b32_e32 v3, 3
	v_cmp_lt_i16_sdwa s[2:3], s13, v3 src0_sel:BYTE_0 src1_sel:DWORD
	s_and_b64 vcc, exec, s[2:3]
	s_cbranch_vccnz .LBB38_2033
; %bb.2028:
	v_cmp_gt_i16_sdwa s[2:3], s13, v3 src0_sel:BYTE_0 src1_sel:DWORD
	s_and_b64 vcc, exec, s[2:3]
	s_cbranch_vccz .LBB38_2030
; %bb.2029:
	v_trunc_f32_e32 v3, v6
	s_mov_b32 s0, 0x2f800000
	v_mul_f32_e64 v5, |v3|, s0
	v_floor_f32_e32 v5, v5
	s_mov_b32 s0, 0xcf800000
	v_cvt_u32_f32_e32 v7, v5
	v_fma_f32 v5, v5, s0, |v3|
	v_cvt_u32_f32_e32 v5, v5
	v_ashrrev_i32_e32 v3, 31, v3
	v_xor_b32_e32 v7, v7, v3
	s_mov_b64 s[0:1], 0
	v_xor_b32_e32 v5, v5, v3
	v_sub_co_u32_e32 v8, vcc, v5, v3
	v_subb_co_u32_e32 v9, vcc, v7, v3, vcc
	global_store_dwordx2 v[0:1], v[8:9], off
.LBB38_2030:
	s_andn2_b64 vcc, exec, s[0:1]
	s_cbranch_vccnz .LBB38_2032
; %bb.2031:
	v_cvt_i32_f32_e32 v3, v6
	global_store_dword v[0:1], v3, off
.LBB38_2032:
	s_mov_b64 s[0:1], 0
.LBB38_2033:
	s_andn2_b64 vcc, exec, s[0:1]
	s_cbranch_vccnz .LBB38_2035
; %bb.2034:
	v_cvt_i32_f32_e32 v3, v6
	global_store_short v[0:1], v3, off
.LBB38_2035:
	s_mov_b64 s[0:1], 0
.LBB38_2036:
	s_andn2_b64 vcc, exec, s[0:1]
	s_cbranch_vccnz .LBB38_2041
; %bb.2037:
	v_mov_b32_e32 v3, 0
	v_cmp_gt_i16_sdwa s[2:3], s13, v3 src0_sel:BYTE_0 src1_sel:DWORD
	s_mov_b64 s[0:1], -1
	s_and_b64 vcc, exec, s[2:3]
	s_cbranch_vccz .LBB38_2039
; %bb.2038:
	v_cvt_i32_f32_e32 v3, v6
	s_mov_b64 s[0:1], 0
	global_store_byte v[0:1], v3, off
.LBB38_2039:
	s_andn2_b64 vcc, exec, s[0:1]
	s_cbranch_vccnz .LBB38_2041
; %bb.2040:
	v_trunc_f32_e32 v3, v6
	s_mov_b32 s0, 0x2f800000
	v_mul_f32_e64 v5, |v3|, s0
	v_floor_f32_e32 v5, v5
	s_mov_b32 s0, 0xcf800000
	v_fma_f32 v5, v5, s0, |v3|
	v_cvt_u32_f32_e32 v5, v5
	v_ashrrev_i32_e32 v3, 31, v3
	v_xor_b32_e32 v5, v5, v3
	v_sub_u32_e32 v3, v5, v3
	global_store_byte v[0:1], v3, off
.LBB38_2041:
	s_mov_b64 s[4:5], -1
.LBB38_2042:
	s_andn2_b64 vcc, exec, s[4:5]
	s_cbranch_vccnz .LBB38_2119
; %bb.2043:
	v_add_u32_e32 v0, s12, v2
	v_ashrrev_i32_e32 v1, 31, v0
	v_mov_b32_e32 v2, s9
	v_add_co_u32_e32 v0, vcc, s8, v0
	v_addc_co_u32_e32 v1, vcc, v2, v1, vcc
	v_mov_b32_e32 v2, 0xff
	v_and_b32_e32 v2, s13, v2
	v_cmp_gt_i16_e32 vcc, 11, v2
	s_cbranch_vccnz .LBB38_2120
; %bb.2044:
	v_cmp_lt_i16_e32 vcc, 25, v2
	s_mov_b64 s[4:5], -1
	s_mov_b64 s[2:3], 0
	s_mov_b64 s[0:1], 0
	s_cbranch_vccz .LBB38_2077
; %bb.2045:
	v_cmp_lt_i16_e32 vcc, 28, v2
	s_cbranch_vccz .LBB38_2061
; %bb.2046:
	v_cmp_lt_i16_e32 vcc, 43, v2
	;; [unrolled: 3-line block ×3, first 2 shown]
	s_cbranch_vccz .LBB38_2051
; %bb.2048:
	v_cmp_eq_u16_e32 vcc, 46, v2
	s_mov_b64 s[0:1], -1
	s_cbranch_vccz .LBB38_2050
; %bb.2049:
	v_bfe_u32 v3, v4, 16, 1
	s_movk_i32 s0, 0x7fff
	v_add3_u32 v3, v4, v3, s0
	v_lshrrev_b32_e32 v3, 16, v3
	v_mov_b32_e32 v5, 0x7fc0
	v_cmp_o_f32_e32 vcc, v4, v4
	v_cndmask_b32_e32 v3, v5, v3, vcc
	global_store_dword v[0:1], v3, off
	s_mov_b64 s[0:1], 0
.LBB38_2050:
	s_mov_b64 s[4:5], 0
.LBB38_2051:
	s_and_b64 vcc, exec, s[4:5]
	s_cbranch_vccz .LBB38_2056
; %bb.2052:
	v_cmp_eq_u16_e32 vcc, 44, v2
	s_mov_b64 s[0:1], -1
	s_cbranch_vccz .LBB38_2056
; %bb.2053:
	v_bfe_u32 v3, v4, 23, 8
	s_movk_i32 s0, 0xff
	v_cmp_ne_u32_e32 vcc, s0, v3
	v_mov_b32_e32 v5, 0xff
	s_and_saveexec_b64 s[4:5], vcc
; %bb.2054:
	s_mov_b32 s0, 0x3fffff
	v_and_b32_e32 v6, 0x400000, v4
	v_and_or_b32 v3, v4, s0, v3
	v_cmp_ne_u32_e32 vcc, 0, v6
	v_cmp_ne_u32_e64 s[0:1], 0, v3
	s_and_b64 s[0:1], vcc, s[0:1]
	v_lshrrev_b32_e32 v5, 23, v4
	v_cndmask_b32_e64 v3, 0, 1, s[0:1]
	v_add_u32_e32 v5, v5, v3
; %bb.2055:
	s_or_b64 exec, exec, s[4:5]
	s_mov_b64 s[0:1], 0
	global_store_byte v[0:1], v5, off
.LBB38_2056:
	s_mov_b64 s[4:5], 0
.LBB38_2057:
	s_and_b64 vcc, exec, s[4:5]
	s_cbranch_vccz .LBB38_2060
; %bb.2058:
	v_cmp_eq_u16_e32 vcc, 29, v2
	s_mov_b64 s[0:1], -1
	s_cbranch_vccz .LBB38_2060
; %bb.2059:
	v_trunc_f32_e32 v3, v4
	v_mul_f32_e32 v5, 0x2f800000, v3
	v_floor_f32_e32 v5, v5
	v_fmac_f32_e32 v3, 0xcf800000, v5
	v_cvt_u32_f32_e32 v7, v5
	v_cvt_u32_f32_e32 v6, v3
	s_mov_b64 s[0:1], 0
	global_store_dwordx2 v[0:1], v[6:7], off
.LBB38_2060:
	s_mov_b64 s[4:5], 0
.LBB38_2061:
	s_and_b64 vcc, exec, s[4:5]
	s_cbranch_vccz .LBB38_2076
; %bb.2062:
	v_cmp_gt_i16_e32 vcc, 27, v2
	s_mov_b64 s[4:5], -1
	s_cbranch_vccnz .LBB38_2068
; %bb.2063:
	v_cvt_u32_f32_e32 v3, v4
	v_cmp_lt_i16_e32 vcc, 27, v2
	s_cbranch_vccz .LBB38_2065
; %bb.2064:
	global_store_dword v[0:1], v3, off
	s_mov_b64 s[4:5], 0
.LBB38_2065:
	s_andn2_b64 vcc, exec, s[4:5]
	s_cbranch_vccnz .LBB38_2067
; %bb.2066:
	global_store_short v[0:1], v3, off
.LBB38_2067:
	s_mov_b64 s[4:5], 0
.LBB38_2068:
	s_andn2_b64 vcc, exec, s[4:5]
	s_cbranch_vccnz .LBB38_2076
; %bb.2069:
	v_and_b32_e32 v3, 0x7fffffff, v4
	s_mov_b32 s4, 0x43800000
	v_cmp_gt_u32_e32 vcc, s4, v3
	v_mov_b32_e32 v5, 0x80
	s_and_saveexec_b64 s[4:5], vcc
	s_cbranch_execz .LBB38_2075
; %bb.2070:
	s_mov_b32 s8, 0x3bffffff
	v_cmp_lt_u32_e32 vcc, s8, v3
	s_mov_b64 s[8:9], 0
                                        ; implicit-def: $vgpr3
	s_and_saveexec_b64 s[10:11], vcc
	s_xor_b64 s[10:11], exec, s[10:11]
	s_cbranch_execz .LBB38_2126
; %bb.2071:
	v_bfe_u32 v3, v4, 20, 1
	s_mov_b32 s12, 0x487ffff
	v_add3_u32 v3, v4, v3, s12
	s_mov_b64 s[8:9], exec
	v_lshrrev_b32_e32 v3, 20, v3
	s_or_saveexec_b64 s[10:11], s[10:11]
                                        ; implicit-def: $sgpr12
	s_xor_b64 exec, exec, s[10:11]
	s_cbranch_execnz .LBB38_2127
.LBB38_2072:
	s_or_b64 exec, exec, s[10:11]
	v_mov_b32_e32 v5, s12
	s_and_saveexec_b64 s[10:11], s[8:9]
.LBB38_2073:
	v_lshrrev_b32_e32 v5, 24, v4
	s_movk_i32 s8, 0x80
	v_and_or_b32 v5, v5, s8, v3
.LBB38_2074:
	s_or_b64 exec, exec, s[10:11]
.LBB38_2075:
	s_or_b64 exec, exec, s[4:5]
	global_store_byte v[0:1], v5, off
.LBB38_2076:
	s_mov_b64 s[4:5], 0
.LBB38_2077:
	s_and_b64 vcc, exec, s[4:5]
	s_cbranch_vccz .LBB38_2117
; %bb.2078:
	v_cmp_lt_i16_e32 vcc, 22, v2
	s_mov_b64 s[2:3], -1
	s_cbranch_vccz .LBB38_2110
; %bb.2079:
	v_cmp_gt_i16_e32 vcc, 24, v2
	s_cbranch_vccnz .LBB38_2099
; %bb.2080:
	v_cmp_lt_i16_e32 vcc, 24, v2
	s_cbranch_vccz .LBB38_2088
; %bb.2081:
	v_and_b32_e32 v3, 0x7fffffff, v4
	s_mov_b32 s2, 0x47800000
	v_cmp_gt_u32_e32 vcc, s2, v3
	v_mov_b32_e32 v5, 0x80
	s_and_saveexec_b64 s[2:3], vcc
	s_cbranch_execz .LBB38_2087
; %bb.2082:
	s_mov_b32 s4, 0x37ffffff
	v_cmp_lt_u32_e32 vcc, s4, v3
	s_mov_b64 s[4:5], 0
                                        ; implicit-def: $vgpr3
	s_and_saveexec_b64 s[8:9], vcc
	s_xor_b64 s[8:9], exec, s[8:9]
	s_cbranch_execz .LBB38_2129
; %bb.2083:
	v_bfe_u32 v3, v4, 21, 1
	s_mov_b32 s10, 0x88fffff
	v_add3_u32 v3, v4, v3, s10
	s_mov_b64 s[4:5], exec
	v_lshrrev_b32_e32 v3, 21, v3
	s_or_saveexec_b64 s[8:9], s[8:9]
                                        ; implicit-def: $sgpr10
	s_xor_b64 exec, exec, s[8:9]
	s_cbranch_execnz .LBB38_2130
.LBB38_2084:
	s_or_b64 exec, exec, s[8:9]
	v_mov_b32_e32 v5, s10
	s_and_saveexec_b64 s[8:9], s[4:5]
.LBB38_2085:
	v_lshrrev_b32_e32 v5, 24, v4
	s_movk_i32 s4, 0x80
	v_and_or_b32 v5, v5, s4, v3
.LBB38_2086:
	s_or_b64 exec, exec, s[8:9]
.LBB38_2087:
	s_or_b64 exec, exec, s[2:3]
	s_mov_b64 s[2:3], 0
	global_store_byte v[0:1], v5, off
.LBB38_2088:
	s_and_b64 vcc, exec, s[2:3]
	s_cbranch_vccz .LBB38_2098
; %bb.2089:
	v_and_b32_e32 v5, 0x7fffffff, v4
	s_mov_b32 s2, 0x43f00000
	v_cmp_gt_u32_e32 vcc, s2, v5
                                        ; implicit-def: $vgpr3
	s_and_saveexec_b64 s[2:3], vcc
	s_xor_b64 s[2:3], exec, s[2:3]
	s_cbranch_execz .LBB38_2095
; %bb.2090:
	s_mov_b32 s4, 0x3c7fffff
	v_cmp_lt_u32_e32 vcc, s4, v5
                                        ; implicit-def: $vgpr3
	s_and_saveexec_b64 s[4:5], vcc
	s_xor_b64 s[4:5], exec, s[4:5]
; %bb.2091:
	v_bfe_u32 v3, v4, 20, 1
	s_mov_b32 s8, 0x407ffff
	v_add3_u32 v3, v4, v3, s8
	v_lshrrev_b32_e32 v5, 20, v3
	v_and_b32_e32 v3, 0xff00000, v3
	s_mov_b32 s8, 0x7f00000
	v_mov_b32_e32 v6, 0x7e
	v_cmp_ne_u32_e32 vcc, s8, v3
	v_cndmask_b32_e32 v3, v6, v5, vcc
; %bb.2092:
	s_andn2_saveexec_b64 s[4:5], s[4:5]
; %bb.2093:
	s_mov_b32 s8, 0x46800000
	v_add_f32_e64 v3, |v4|, s8
; %bb.2094:
	s_or_b64 exec, exec, s[4:5]
                                        ; implicit-def: $vgpr5
.LBB38_2095:
	s_andn2_saveexec_b64 s[2:3], s[2:3]
; %bb.2096:
	s_mov_b32 s4, 0x7f800000
	v_mov_b32_e32 v3, 0x7e
	v_mov_b32_e32 v6, 0x7f
	v_cmp_lt_u32_e32 vcc, s4, v5
	v_cndmask_b32_e32 v3, v3, v6, vcc
; %bb.2097:
	s_or_b64 exec, exec, s[2:3]
	v_lshrrev_b32_e32 v5, 24, v4
	s_movk_i32 s2, 0x80
	v_and_or_b32 v3, v5, s2, v3
	global_store_byte v[0:1], v3, off
.LBB38_2098:
	s_mov_b64 s[2:3], 0
.LBB38_2099:
	s_andn2_b64 vcc, exec, s[2:3]
	s_cbranch_vccnz .LBB38_2109
; %bb.2100:
	v_and_b32_e32 v5, 0x7fffffff, v4
	s_mov_b32 s2, 0x47800000
	v_cmp_gt_u32_e32 vcc, s2, v5
                                        ; implicit-def: $vgpr3
	s_and_saveexec_b64 s[2:3], vcc
	s_xor_b64 s[2:3], exec, s[2:3]
	s_cbranch_execz .LBB38_2106
; %bb.2101:
	s_mov_b32 s4, 0x387fffff
	v_cmp_lt_u32_e32 vcc, s4, v5
                                        ; implicit-def: $vgpr3
	s_and_saveexec_b64 s[4:5], vcc
	s_xor_b64 s[4:5], exec, s[4:5]
; %bb.2102:
	v_bfe_u32 v3, v4, 21, 1
	s_mov_b32 s8, 0x80fffff
	v_add3_u32 v3, v4, v3, s8
	v_lshrrev_b32_e32 v3, 21, v3
; %bb.2103:
	s_andn2_saveexec_b64 s[4:5], s[4:5]
; %bb.2104:
	s_mov_b32 s8, 0x43000000
	v_add_f32_e64 v3, |v4|, s8
; %bb.2105:
	s_or_b64 exec, exec, s[4:5]
                                        ; implicit-def: $vgpr5
.LBB38_2106:
	s_andn2_saveexec_b64 s[2:3], s[2:3]
; %bb.2107:
	s_mov_b32 s4, 0x7f800000
	v_mov_b32_e32 v3, 0x7c
	v_mov_b32_e32 v6, 0x7f
	v_cmp_lt_u32_e32 vcc, s4, v5
	v_cndmask_b32_e32 v3, v3, v6, vcc
; %bb.2108:
	s_or_b64 exec, exec, s[2:3]
	v_lshrrev_b32_e32 v5, 24, v4
	s_movk_i32 s2, 0x80
	v_and_or_b32 v3, v5, s2, v3
	global_store_byte v[0:1], v3, off
.LBB38_2109:
	s_mov_b64 s[2:3], 0
.LBB38_2110:
	s_andn2_b64 vcc, exec, s[2:3]
	s_mov_b64 s[2:3], 0
	s_cbranch_vccnz .LBB38_2117
; %bb.2111:
	v_cmp_lt_i16_e32 vcc, 14, v2
	s_mov_b64 s[4:5], -1
	s_cbranch_vccz .LBB38_2115
; %bb.2112:
	v_cmp_eq_u16_e32 vcc, 15, v2
	s_mov_b64 s[0:1], -1
	s_cbranch_vccz .LBB38_2114
; %bb.2113:
	v_bfe_u32 v3, v4, 16, 1
	s_movk_i32 s0, 0x7fff
	v_add3_u32 v3, v4, v3, s0
	v_lshrrev_b32_e32 v3, 16, v3
	v_mov_b32_e32 v5, 0x7fc0
	v_cmp_o_f32_e32 vcc, v4, v4
	v_cndmask_b32_e32 v3, v5, v3, vcc
	global_store_short v[0:1], v3, off
	s_mov_b64 s[0:1], 0
.LBB38_2114:
	s_mov_b64 s[4:5], 0
.LBB38_2115:
	s_and_b64 vcc, exec, s[4:5]
	s_cbranch_vccz .LBB38_2117
; %bb.2116:
	v_cmp_ne_u16_e64 s[0:1], 11, v2
	s_mov_b64 s[2:3], -1
.LBB38_2117:
	s_and_b64 vcc, exec, s[0:1]
	s_cbranch_vccnz .LBB38_2128
.LBB38_2118:
	s_mov_b64 s[0:1], 0
	s_branch .LBB38_1619
.LBB38_2119:
	s_mov_b64 s[0:1], 0
                                        ; implicit-def: $vgpr2
                                        ; implicit-def: $vgpr0_vgpr1
	s_branch .LBB38_1618
.LBB38_2120:
	s_mov_b64 s[2:3], 0
	s_mov_b64 s[0:1], -1
	s_branch .LBB38_1619
.LBB38_2121:
	s_or_saveexec_b64 s[14:15], s[14:15]
                                        ; implicit-def: $sgpr20
	s_xor_b64 exec, exec, s[14:15]
	s_cbranch_execz .LBB38_1953
.LBB38_2122:
	s_mov_b32 s20, 0x46000000
	v_add_f32_e64 v3, |v6|, s20
	v_and_b32_e32 v3, 0xff, v3
	v_cmp_ne_u32_e32 vcc, 0, v3
	s_andn2_b64 s[10:11], s[10:11], exec
	s_and_b64 s[22:23], vcc, exec
	s_mov_b32 s20, 0
	s_or_b64 s[10:11], s[10:11], s[22:23]
	s_or_b64 exec, exec, s[14:15]
	v_mov_b32_e32 v5, s20
	s_and_saveexec_b64 s[14:15], s[10:11]
	s_cbranch_execnz .LBB38_1954
	s_branch .LBB38_1955
.LBB38_2123:
	s_trap 2
	s_or_b64 s[18:19], s[18:19], exec
	s_cbranch_execz .LBB38_2001
	s_branch .LBB38_2002
.LBB38_2124:
	s_or_saveexec_b64 s[10:11], s[10:11]
                                        ; implicit-def: $sgpr14
	s_xor_b64 exec, exec, s[10:11]
	s_cbranch_execz .LBB38_1966
.LBB38_2125:
	s_mov_b32 s14, 0x42800000
	v_add_f32_e64 v3, |v6|, s14
	v_and_b32_e32 v3, 0xff, v3
	v_cmp_ne_u32_e32 vcc, 0, v3
	s_andn2_b64 s[4:5], s[4:5], exec
	s_and_b64 s[20:21], vcc, exec
	s_mov_b32 s14, 0
	s_or_b64 s[4:5], s[4:5], s[20:21]
	s_or_b64 exec, exec, s[10:11]
	v_mov_b32_e32 v5, s14
	s_and_saveexec_b64 s[10:11], s[4:5]
	s_cbranch_execnz .LBB38_1967
	s_branch .LBB38_1968
.LBB38_2126:
	s_or_saveexec_b64 s[10:11], s[10:11]
                                        ; implicit-def: $sgpr12
	s_xor_b64 exec, exec, s[10:11]
	s_cbranch_execz .LBB38_2072
.LBB38_2127:
	s_mov_b32 s12, 0x46000000
	v_add_f32_e64 v3, |v4|, s12
	v_and_b32_e32 v3, 0xff, v3
	v_cmp_ne_u32_e32 vcc, 0, v3
	s_andn2_b64 s[8:9], s[8:9], exec
	s_and_b64 s[14:15], vcc, exec
	s_mov_b32 s12, 0
	s_or_b64 s[8:9], s[8:9], s[14:15]
	s_or_b64 exec, exec, s[10:11]
	v_mov_b32_e32 v5, s12
	s_and_saveexec_b64 s[10:11], s[8:9]
	s_cbranch_execnz .LBB38_2073
	s_branch .LBB38_2074
.LBB38_2128:
	s_mov_b64 s[2:3], 0
	s_or_b64 s[18:19], s[18:19], exec
	s_trap 2
	s_branch .LBB38_2118
.LBB38_2129:
	s_or_saveexec_b64 s[8:9], s[8:9]
                                        ; implicit-def: $sgpr10
	s_xor_b64 exec, exec, s[8:9]
	s_cbranch_execz .LBB38_2084
.LBB38_2130:
	s_mov_b32 s10, 0x42800000
	v_add_f32_e64 v3, |v4|, s10
	v_and_b32_e32 v3, 0xff, v3
	v_cmp_ne_u32_e32 vcc, 0, v3
	s_andn2_b64 s[4:5], s[4:5], exec
	s_and_b64 s[12:13], vcc, exec
	s_mov_b32 s10, 0
	s_or_b64 s[4:5], s[4:5], s[12:13]
	s_or_b64 exec, exec, s[8:9]
	v_mov_b32_e32 v5, s10
	s_and_saveexec_b64 s[8:9], s[4:5]
	s_cbranch_execnz .LBB38_2085
	s_branch .LBB38_2086
	.section	.rodata,"a",@progbits
	.p2align	6, 0x0
	.amdhsa_kernel _ZN2at6native32elementwise_kernel_manual_unrollILi128ELi4EZNS0_15gpu_kernel_implINS0_13BUnaryFunctorIfffZZZNS0_12_GLOBAL__N_133hermite_polynomial_he_kernel_cudaERNS_18TensorIteratorBaseEENKUlvE_clEvENKUlvE0_clEvEUlffE_EEEEvS6_RKT_EUlibE_EEviT1_
		.amdhsa_group_segment_fixed_size 0
		.amdhsa_private_segment_fixed_size 0
		.amdhsa_kernarg_size 48
		.amdhsa_user_sgpr_count 6
		.amdhsa_user_sgpr_private_segment_buffer 1
		.amdhsa_user_sgpr_dispatch_ptr 0
		.amdhsa_user_sgpr_queue_ptr 0
		.amdhsa_user_sgpr_kernarg_segment_ptr 1
		.amdhsa_user_sgpr_dispatch_id 0
		.amdhsa_user_sgpr_flat_scratch_init 0
		.amdhsa_user_sgpr_kernarg_preload_length 0
		.amdhsa_user_sgpr_kernarg_preload_offset 0
		.amdhsa_user_sgpr_private_segment_size 0
		.amdhsa_uses_dynamic_stack 0
		.amdhsa_system_sgpr_private_segment_wavefront_offset 0
		.amdhsa_system_sgpr_workgroup_id_x 1
		.amdhsa_system_sgpr_workgroup_id_y 0
		.amdhsa_system_sgpr_workgroup_id_z 0
		.amdhsa_system_sgpr_workgroup_info 0
		.amdhsa_system_vgpr_workitem_id 0
		.amdhsa_next_free_vgpr 14
		.amdhsa_next_free_sgpr 50
		.amdhsa_accum_offset 16
		.amdhsa_reserve_vcc 1
		.amdhsa_reserve_flat_scratch 0
		.amdhsa_float_round_mode_32 0
		.amdhsa_float_round_mode_16_64 0
		.amdhsa_float_denorm_mode_32 3
		.amdhsa_float_denorm_mode_16_64 3
		.amdhsa_dx10_clamp 1
		.amdhsa_ieee_mode 1
		.amdhsa_fp16_overflow 0
		.amdhsa_tg_split 0
		.amdhsa_exception_fp_ieee_invalid_op 0
		.amdhsa_exception_fp_denorm_src 0
		.amdhsa_exception_fp_ieee_div_zero 0
		.amdhsa_exception_fp_ieee_overflow 0
		.amdhsa_exception_fp_ieee_underflow 0
		.amdhsa_exception_fp_ieee_inexact 0
		.amdhsa_exception_int_div_zero 0
	.end_amdhsa_kernel
	.section	.text._ZN2at6native32elementwise_kernel_manual_unrollILi128ELi4EZNS0_15gpu_kernel_implINS0_13BUnaryFunctorIfffZZZNS0_12_GLOBAL__N_133hermite_polynomial_he_kernel_cudaERNS_18TensorIteratorBaseEENKUlvE_clEvENKUlvE0_clEvEUlffE_EEEEvS6_RKT_EUlibE_EEviT1_,"axG",@progbits,_ZN2at6native32elementwise_kernel_manual_unrollILi128ELi4EZNS0_15gpu_kernel_implINS0_13BUnaryFunctorIfffZZZNS0_12_GLOBAL__N_133hermite_polynomial_he_kernel_cudaERNS_18TensorIteratorBaseEENKUlvE_clEvENKUlvE0_clEvEUlffE_EEEEvS6_RKT_EUlibE_EEviT1_,comdat
.Lfunc_end38:
	.size	_ZN2at6native32elementwise_kernel_manual_unrollILi128ELi4EZNS0_15gpu_kernel_implINS0_13BUnaryFunctorIfffZZZNS0_12_GLOBAL__N_133hermite_polynomial_he_kernel_cudaERNS_18TensorIteratorBaseEENKUlvE_clEvENKUlvE0_clEvEUlffE_EEEEvS6_RKT_EUlibE_EEviT1_, .Lfunc_end38-_ZN2at6native32elementwise_kernel_manual_unrollILi128ELi4EZNS0_15gpu_kernel_implINS0_13BUnaryFunctorIfffZZZNS0_12_GLOBAL__N_133hermite_polynomial_he_kernel_cudaERNS_18TensorIteratorBaseEENKUlvE_clEvENKUlvE0_clEvEUlffE_EEEEvS6_RKT_EUlibE_EEviT1_
                                        ; -- End function
	.section	.AMDGPU.csdata,"",@progbits
; Kernel info:
; codeLenInByte = 35608
; NumSgprs: 54
; NumVgprs: 14
; NumAgprs: 0
; TotalNumVgprs: 14
; ScratchSize: 0
; MemoryBound: 1
; FloatMode: 240
; IeeeMode: 1
; LDSByteSize: 0 bytes/workgroup (compile time only)
; SGPRBlocks: 6
; VGPRBlocks: 1
; NumSGPRsForWavesPerEU: 54
; NumVGPRsForWavesPerEU: 14
; AccumOffset: 16
; Occupancy: 8
; WaveLimiterHint : 0
; COMPUTE_PGM_RSRC2:SCRATCH_EN: 0
; COMPUTE_PGM_RSRC2:USER_SGPR: 6
; COMPUTE_PGM_RSRC2:TRAP_HANDLER: 0
; COMPUTE_PGM_RSRC2:TGID_X_EN: 1
; COMPUTE_PGM_RSRC2:TGID_Y_EN: 0
; COMPUTE_PGM_RSRC2:TGID_Z_EN: 0
; COMPUTE_PGM_RSRC2:TIDIG_COMP_CNT: 0
; COMPUTE_PGM_RSRC3_GFX90A:ACCUM_OFFSET: 3
; COMPUTE_PGM_RSRC3_GFX90A:TG_SPLIT: 0
	.section	.text._ZN2at6native32elementwise_kernel_manual_unrollILi128ELi4EZNS0_15gpu_kernel_implINS0_13BUnaryFunctorIfffZZZNS0_12_GLOBAL__N_133hermite_polynomial_he_kernel_cudaERNS_18TensorIteratorBaseEENKUlvE_clEvENKUlvE0_clEvEUlffE_EEEEvS6_RKT_EUlibE0_EEviT1_,"axG",@progbits,_ZN2at6native32elementwise_kernel_manual_unrollILi128ELi4EZNS0_15gpu_kernel_implINS0_13BUnaryFunctorIfffZZZNS0_12_GLOBAL__N_133hermite_polynomial_he_kernel_cudaERNS_18TensorIteratorBaseEENKUlvE_clEvENKUlvE0_clEvEUlffE_EEEEvS6_RKT_EUlibE0_EEviT1_,comdat
	.globl	_ZN2at6native32elementwise_kernel_manual_unrollILi128ELi4EZNS0_15gpu_kernel_implINS0_13BUnaryFunctorIfffZZZNS0_12_GLOBAL__N_133hermite_polynomial_he_kernel_cudaERNS_18TensorIteratorBaseEENKUlvE_clEvENKUlvE0_clEvEUlffE_EEEEvS6_RKT_EUlibE0_EEviT1_ ; -- Begin function _ZN2at6native32elementwise_kernel_manual_unrollILi128ELi4EZNS0_15gpu_kernel_implINS0_13BUnaryFunctorIfffZZZNS0_12_GLOBAL__N_133hermite_polynomial_he_kernel_cudaERNS_18TensorIteratorBaseEENKUlvE_clEvENKUlvE0_clEvEUlffE_EEEEvS6_RKT_EUlibE0_EEviT1_
	.p2align	8
	.type	_ZN2at6native32elementwise_kernel_manual_unrollILi128ELi4EZNS0_15gpu_kernel_implINS0_13BUnaryFunctorIfffZZZNS0_12_GLOBAL__N_133hermite_polynomial_he_kernel_cudaERNS_18TensorIteratorBaseEENKUlvE_clEvENKUlvE0_clEvEUlffE_EEEEvS6_RKT_EUlibE0_EEviT1_,@function
_ZN2at6native32elementwise_kernel_manual_unrollILi128ELi4EZNS0_15gpu_kernel_implINS0_13BUnaryFunctorIfffZZZNS0_12_GLOBAL__N_133hermite_polynomial_he_kernel_cudaERNS_18TensorIteratorBaseEENKUlvE_clEvENKUlvE0_clEvEUlffE_EEEEvS6_RKT_EUlibE0_EEviT1_: ; @_ZN2at6native32elementwise_kernel_manual_unrollILi128ELi4EZNS0_15gpu_kernel_implINS0_13BUnaryFunctorIfffZZZNS0_12_GLOBAL__N_133hermite_polynomial_he_kernel_cudaERNS_18TensorIteratorBaseEENKUlvE_clEvENKUlvE0_clEvEUlffE_EEEEvS6_RKT_EUlibE0_EEviT1_
; %bb.0:
	s_load_dword s80, s[4:5], 0x0
	s_load_dword s33, s[4:5], 0x8
	s_or_b32 s34, s4, 8
	v_lshl_or_b32 v13, s6, 9, v0
	v_or_b32_e32 v16, 0x180, v13
	s_mov_b32 s35, s5
	s_waitcnt lgkmcnt(0)
	s_add_i32 s82, s33, -1
	s_cmp_gt_u32 s82, 1
	v_cmp_le_i32_e32 vcc, s80, v16
	s_cselect_b64 s[44:45], -1, 0
	s_mov_b64 s[6:7], 0
	s_mov_b64 s[28:29], 0
	s_and_saveexec_b64 s[0:1], vcc
	s_xor_b64 s[46:47], exec, s[0:1]
	s_cbranch_execz .LBB39_1130
; %bb.1:
	s_load_dwordx2 s[48:49], s[34:35], 0x15c
	s_load_dwordx4 s[28:31], s[34:35], 0x4
	s_load_dwordx2 s[54:55], s[34:35], 0x14
	s_mov_b32 s0, 0x2f800000
	s_cmp_lg_u32 s33, 0
	s_waitcnt lgkmcnt(0)
	v_trunc_f32_e32 v0, s48
	v_mul_f32_e64 v1, |v0|, s0
	v_floor_f32_e32 v1, v1
	s_mov_b32 s0, 0xcf800000
	v_cvt_u32_f32_e32 v2, v1
	v_fma_f32 v1, v1, s0, |v0|
	s_cselect_b64 s[60:61], -1, 0
	s_add_u32 s58, s34, 0xc4
	v_cvt_u32_f32_e32 v1, v1
	s_addc_u32 s59, s35, 0
	s_min_u32 s81, s82, 15
	s_cmp_gt_u32 s33, 1
	v_readfirstlane_b32 s2, v0
	s_cselect_b64 s[56:57], -1, 0
	s_ashr_i32 s2, s2, 31
	s_load_dwordx4 s[36:39], s[34:35], 0xc4
	s_load_dwordx4 s[24:27], s[34:35], 0x148
	v_readfirstlane_b32 s0, v1
	v_readfirstlane_b32 s1, v2
	s_mov_b32 s3, s2
	s_xor_b64 s[0:1], s[0:1], s[2:3]
	s_sub_u32 s50, s0, s2
	v_mov_b32_e32 v0, 0x81
	s_subb_u32 s51, s1, s2
	v_mov_b32_e32 v1, 0
	v_lshrrev_b16_e64 v4, 8, s49
	s_mov_b64 s[2:3], -1
	v_cmp_gt_i64_e64 s[52:53], s[50:51], -1
	v_cmp_lt_u64_e64 s[0:1], s[50:51], v[0:1]
	v_cmp_gt_i32_e32 vcc, s80, v13
	s_mov_b64 s[70:71], 0
	s_mov_b64 s[64:65], 0
	;; [unrolled: 1-line block ×3, first 2 shown]
	s_and_saveexec_b64 s[66:67], vcc
	s_cbranch_execz .LBB39_277
; %bb.2:
	s_andn2_b64 vcc, exec, s[44:45]
	s_cbranch_vccnz .LBB39_8
; %bb.3:
	s_mov_b32 s2, 0
	s_andn2_b64 vcc, exec, s[60:61]
	v_mov_b32_e32 v2, 0
	v_mov_b32_e32 v0, 0
	s_cbranch_vccnz .LBB39_14
; %bb.4:
	s_add_i32 s48, s81, 1
	s_cmp_eq_u32 s82, 2
	s_cbranch_scc1 .LBB39_9
; %bb.5:
	s_and_b32 s2, s48, 28
	s_mov_b32 s3, 0
	v_mov_b32_e32 v0, 0
	s_mov_b64 s[62:63], s[34:35]
	s_mov_b64 s[64:65], s[58:59]
	v_mov_b32_e32 v3, v13
	v_mov_b32_e32 v2, 0
.LBB39_6:                               ; =>This Inner Loop Header: Depth=1
	s_load_dwordx8 s[16:23], s[62:63], 0x4
	s_load_dwordx4 s[40:43], s[62:63], 0x24
	s_load_dwordx8 s[8:15], s[64:65], 0x0
	s_add_u32 s62, s62, 48
	s_addc_u32 s63, s63, 0
	s_waitcnt lgkmcnt(0)
	v_mul_hi_u32 v1, s17, v3
	v_add_u32_e32 v1, v3, v1
	v_lshrrev_b32_e32 v1, s18, v1
	v_mul_lo_u32 v5, v1, s16
	v_mul_hi_u32 v6, s20, v1
	v_sub_u32_e32 v3, v3, v5
	v_add_u32_e32 v5, v1, v6
	v_lshrrev_b32_e32 v5, s21, v5
	v_mul_lo_u32 v7, v5, s19
	v_mul_hi_u32 v8, s23, v5
	v_sub_u32_e32 v1, v1, v7
	v_add_u32_e32 v7, v5, v8
	v_mul_lo_u32 v6, v3, s9
	v_mul_lo_u32 v3, v3, s8
	;; [unrolled: 1-line block ×4, first 2 shown]
	v_lshrrev_b32_e32 v7, s40, v7
	v_add3_u32 v0, v3, v0, v1
	v_mul_hi_u32 v3, s42, v7
	v_add_u32_e32 v3, v7, v3
	v_lshrrev_b32_e32 v3, s43, v3
	s_add_i32 s3, s3, 4
	v_add3_u32 v1, v6, v2, v8
	v_mul_lo_u32 v2, v7, s22
	v_mul_lo_u32 v6, v3, s41
	s_add_u32 s64, s64, 32
	v_sub_u32_e32 v2, v5, v2
	v_sub_u32_e32 v6, v7, v6
	s_addc_u32 s65, s65, 0
	v_mul_lo_u32 v5, v2, s12
	v_mul_lo_u32 v2, v2, s13
	;; [unrolled: 1-line block ×4, first 2 shown]
	s_cmp_lg_u32 s2, s3
	v_add3_u32 v2, v2, v1, v6
	v_add3_u32 v0, v5, v0, v7
	s_cbranch_scc1 .LBB39_6
; %bb.7:
	v_mov_b32_e32 v1, v2
	s_branch .LBB39_10
.LBB39_8:
                                        ; implicit-def: $vgpr2
                                        ; implicit-def: $vgpr0
	s_andn2_b64 vcc, exec, s[2:3]
	s_cbranch_vccz .LBB39_15
	s_branch .LBB39_17
.LBB39_9:
	s_mov_b32 s3, s2
	v_pk_mov_b32 v[0:1], s[2:3], s[2:3] op_sel:[0,1]
                                        ; implicit-def: $vgpr2
	v_mov_b32_e32 v3, v13
.LBB39_10:
	s_and_b32 s10, s48, 3
	s_cmp_eq_u32 s10, 0
	s_cbranch_scc1 .LBB39_14
; %bb.11:
	s_lshl_b32 s3, s2, 3
	s_add_u32 s3, s3, s34
	s_addc_u32 s9, s35, 0
	s_add_u32 s8, s3, 0xc4
	s_addc_u32 s9, s9, 0
	s_mul_i32 s2, s2, 12
	s_add_u32 s2, s34, s2
	s_addc_u32 s3, s35, 0
.LBB39_12:                              ; =>This Inner Loop Header: Depth=1
	s_load_dwordx2 s[12:13], s[2:3], 0x4
	s_load_dword s11, s[2:3], 0xc
	s_load_dwordx2 s[14:15], s[8:9], 0x0
	v_mov_b32_e32 v2, v1
	s_add_u32 s2, s2, 12
	s_waitcnt lgkmcnt(0)
	v_mul_hi_u32 v1, s13, v3
	v_add_u32_e32 v1, v3, v1
	v_lshrrev_b32_e32 v1, s11, v1
	s_addc_u32 s3, s3, 0
	v_mul_lo_u32 v5, v1, s12
	s_add_u32 s8, s8, 8
	v_sub_u32_e32 v5, v3, v5
	v_mov_b32_e32 v3, v1
	s_addc_u32 s9, s9, 0
	s_add_i32 s10, s10, -1
	v_mad_u64_u32 v[6:7], s[12:13], v5, s15, v[2:3]
	v_mad_u64_u32 v[0:1], s[12:13], v5, s14, v[0:1]
	s_cmp_lg_u32 s10, 0
	v_mov_b32_e32 v1, v6
	s_cbranch_scc1 .LBB39_12
; %bb.13:
	v_mov_b32_e32 v2, v1
.LBB39_14:
	s_cbranch_execnz .LBB39_17
.LBB39_15:
	v_mul_hi_u32 v0, s29, v13
	v_add_u32_e32 v0, v13, v0
	v_lshrrev_b32_e32 v1, s30, v0
	v_mul_lo_u32 v0, v1, s28
	v_sub_u32_e32 v0, v13, v0
	s_waitcnt lgkmcnt(0)
	v_mul_lo_u32 v2, v0, s37
	s_andn2_b64 vcc, exec, s[56:57]
	v_mul_lo_u32 v0, v0, s36
	s_cbranch_vccnz .LBB39_17
; %bb.16:
	v_mul_hi_u32 v3, s54, v1
	v_add_u32_e32 v3, v1, v3
	v_lshrrev_b32_e32 v3, s55, v3
	v_mul_lo_u32 v3, v3, s31
	v_sub_u32_e32 v3, v1, v3
	v_mad_u64_u32 v[0:1], s[2:3], v3, s38, v[0:1]
	v_mad_u64_u32 v[2:3], s[2:3], v3, s39, v[2:3]
.LBB39_17:
	s_waitcnt lgkmcnt(0)
	v_mov_b32_e32 v1, s27
	v_add_co_u32_e32 v2, vcc, s26, v2
	v_addc_co_u32_e32 v3, vcc, 0, v1, vcc
	v_cmp_gt_i16_e32 vcc, 11, v4
	s_cbranch_vccnz .LBB39_24
; %bb.18:
	v_cmp_lt_i16_e32 vcc, 25, v4
	s_cbranch_vccz .LBB39_33
; %bb.19:
	v_cmp_lt_i16_e32 vcc, 28, v4
	s_cbranch_vccz .LBB39_34
	;; [unrolled: 3-line block ×4, first 2 shown]
; %bb.22:
	v_cmp_eq_u16_e32 vcc, 46, v4
	s_mov_b64 s[10:11], 0
	s_cbranch_vccz .LBB39_52
; %bb.23:
	global_load_dword v1, v[2:3], off
	s_mov_b64 s[2:3], -1
	s_mov_b64 s[8:9], 0
	s_waitcnt vmcnt(0)
	v_lshlrev_b32_e32 v1, 16, v1
	s_branch .LBB39_54
.LBB39_24:
	s_mov_b64 s[8:9], 0
                                        ; implicit-def: $vgpr1
	s_mov_b64 s[2:3], 0
	s_cbranch_execnz .LBB39_227
.LBB39_25:
	s_andn2_b64 vcc, exec, s[2:3]
	s_cbranch_vccnz .LBB39_274
.LBB39_26:
	s_andn2_b64 vcc, exec, s[52:53]
	v_mov_b32_e32 v2, 0
	s_cbranch_vccnz .LBB39_39
; %bb.27:
	v_cmp_lt_i64_e64 s[2:3], s[50:51], 1
	s_and_b64 vcc, exec, s[2:3]
	v_mov_b32_e32 v2, 1.0
	s_cbranch_vccnz .LBB39_39
; %bb.28:
	s_cmp_lg_u64 s[50:51], 1
	s_cbranch_scc0 .LBB39_36
; %bb.29:
	s_andn2_b64 vcc, exec, s[0:1]
	v_mov_b32_e32 v2, 0x7fc00000
	s_cbranch_vccnz .LBB39_32
; %bb.30:
	s_mov_b64 s[2:3], 1
	v_mov_b32_e32 v3, 1.0
	s_waitcnt vmcnt(0)
	v_mov_b32_e32 v2, v1
.LBB39_31:                              ; =>This Inner Loop Header: Depth=1
	s_flbit_i32_b32 s10, s3
	s_min_u32 s12, s10, 32
	s_lshl_b64 s[10:11], s[2:3], s12
	s_min_u32 s10, s10, 1
	s_or_b32 s10, s11, s10
	v_cvt_f32_u32_e32 v5, s10
	s_sub_i32 s12, 32, s12
	s_add_u32 s2, s2, 1
	s_addc_u32 s3, s3, 0
	v_ldexp_f32 v5, v5, s12
	v_mul_f32_e32 v5, v3, v5
	s_cmp_lg_u64 s[50:51], s[2:3]
	v_mov_b32_e32 v3, v2
	v_fma_f32 v2, v1, v2, -v5
	s_cbranch_scc1 .LBB39_31
.LBB39_32:
	s_mov_b64 s[2:3], 0
	s_branch .LBB39_37
.LBB39_33:
	s_mov_b64 s[8:9], 0
	s_mov_b64 s[2:3], 0
                                        ; implicit-def: $vgpr1
	s_cbranch_execnz .LBB39_192
	s_branch .LBB39_226
.LBB39_34:
	s_mov_b64 s[10:11], -1
	s_mov_b64 s[8:9], 0
	s_mov_b64 s[2:3], 0
                                        ; implicit-def: $vgpr1
	s_branch .LBB39_173
.LBB39_35:
	s_mov_b64 s[10:11], -1
	s_mov_b64 s[8:9], 0
	s_mov_b64 s[2:3], 0
                                        ; implicit-def: $vgpr1
	s_branch .LBB39_168
.LBB39_36:
	s_mov_b64 s[2:3], -1
                                        ; implicit-def: $vgpr2
.LBB39_37:
	s_andn2_b64 vcc, exec, s[2:3]
	s_cbranch_vccnz .LBB39_39
; %bb.38:
	s_waitcnt vmcnt(0)
	v_mov_b32_e32 v2, v1
.LBB39_39:
	s_waitcnt vmcnt(0)
	v_mov_b32_e32 v1, s25
	v_add_co_u32_e32 v0, vcc, s24, v0
	v_mov_b32_e32 v3, 11
	v_addc_co_u32_e32 v1, vcc, 0, v1, vcc
	v_cmp_lt_i16_sdwa s[2:3], s49, v3 src0_sel:BYTE_0 src1_sel:DWORD
	s_and_b64 vcc, exec, s[2:3]
	s_cbranch_vccnz .LBB39_46
; %bb.40:
	v_mov_b32_e32 v3, 25
	v_cmp_gt_i16_sdwa s[2:3], s49, v3 src0_sel:BYTE_0 src1_sel:DWORD
	s_and_b64 vcc, exec, s[2:3]
	s_cbranch_vccz .LBB39_48
; %bb.41:
	v_mov_b32_e32 v3, 28
	v_cmp_gt_i16_sdwa s[2:3], s49, v3 src0_sel:BYTE_0 src1_sel:DWORD
	s_and_b64 vcc, exec, s[2:3]
	s_cbranch_vccz .LBB39_49
	;; [unrolled: 5-line block ×4, first 2 shown]
; %bb.44:
	v_mov_b32_e32 v3, 46
	v_cmp_eq_u16_sdwa s[10:11], s49, v3 src0_sel:BYTE_0 src1_sel:DWORD
	s_mov_b64 s[12:13], 0
	s_mov_b64 s[2:3], -1
	s_and_b64 vcc, exec, s[10:11]
	s_mov_b64 s[10:11], 0
	s_cbranch_vccz .LBB39_58
; %bb.45:
	v_bfe_u32 v3, v2, 16, 1
	s_movk_i32 s2, 0x7fff
	v_add3_u32 v3, v2, v3, s2
	v_lshrrev_b32_e32 v3, 16, v3
	v_mov_b32_e32 v5, 0x7fc0
	v_cmp_o_f32_e32 vcc, v2, v2
	v_cndmask_b32_e32 v3, v5, v3, vcc
	global_store_dword v[0:1], v3, off
	s_mov_b64 s[10:11], -1
	s_mov_b64 s[2:3], 0
	s_branch .LBB39_58
.LBB39_46:
	s_mov_b64 s[2:3], 0
	s_mov_b64 s[10:11], 0
	s_cbranch_execnz .LBB39_127
.LBB39_47:
	s_andn2_b64 vcc, exec, s[10:11]
	s_cbranch_vccnz .LBB39_275
	s_branch .LBB39_165
.LBB39_48:
	s_mov_b64 s[12:13], -1
	s_mov_b64 s[2:3], 0
	s_mov_b64 s[10:11], 0
	s_branch .LBB39_85
.LBB39_49:
	s_mov_b64 s[12:13], -1
	s_mov_b64 s[2:3], 0
	s_mov_b64 s[10:11], 0
	s_branch .LBB39_68
.LBB39_50:
	s_mov_b64 s[10:11], -1
	s_mov_b64 s[8:9], 0
	s_branch .LBB39_53
.LBB39_51:
	s_mov_b64 s[12:13], -1
	s_mov_b64 s[2:3], 0
	s_mov_b64 s[10:11], 0
	s_branch .LBB39_64
.LBB39_52:
	s_mov_b64 s[8:9], -1
.LBB39_53:
	s_mov_b64 s[2:3], 0
                                        ; implicit-def: $vgpr1
.LBB39_54:
	s_and_b64 vcc, exec, s[10:11]
	s_cbranch_vccz .LBB39_167
; %bb.55:
	v_cmp_eq_u16_e32 vcc, 44, v4
	s_cbranch_vccz .LBB39_166
; %bb.56:
	global_load_ubyte v1, v[2:3], off
	s_movk_i32 s8, 0xff
	v_mov_b32_e32 v5, 0x7f800001
	v_mov_b32_e32 v6, 0x400000
	s_mov_b64 s[2:3], -1
	s_waitcnt vmcnt(0)
	v_lshlrev_b32_e32 v7, 23, v1
	v_cmp_ne_u32_e32 vcc, s8, v1
	v_cndmask_b32_e32 v5, v5, v7, vcc
	v_cmp_ne_u32_e32 vcc, 0, v1
	v_cndmask_b32_e32 v1, v6, v5, vcc
	s_mov_b64 s[8:9], 0
	s_branch .LBB39_167
.LBB39_57:
	s_mov_b64 s[12:13], -1
	s_mov_b64 s[2:3], 0
	s_mov_b64 s[10:11], 0
.LBB39_58:
	s_and_b64 vcc, exec, s[12:13]
	s_cbranch_vccz .LBB39_63
; %bb.59:
	v_mov_b32_e32 v3, 44
	v_cmp_eq_u16_sdwa s[12:13], s49, v3 src0_sel:BYTE_0 src1_sel:DWORD
	s_mov_b64 s[2:3], -1
	s_and_b64 vcc, exec, s[12:13]
	s_cbranch_vccz .LBB39_63
; %bb.60:
	v_bfe_u32 v3, v2, 23, 8
	s_movk_i32 s2, 0xff
	v_cmp_ne_u32_e32 vcc, s2, v3
	v_mov_b32_e32 v5, 0xff
	s_and_saveexec_b64 s[10:11], vcc
; %bb.61:
	s_mov_b32 s2, 0x3fffff
	v_and_b32_e32 v6, 0x400000, v2
	v_and_or_b32 v3, v2, s2, v3
	v_cmp_ne_u32_e32 vcc, 0, v6
	v_cmp_ne_u32_e64 s[2:3], 0, v3
	s_and_b64 s[2:3], vcc, s[2:3]
	v_lshrrev_b32_e32 v5, 23, v2
	v_cndmask_b32_e64 v3, 0, 1, s[2:3]
	v_add_u32_e32 v5, v5, v3
; %bb.62:
	s_or_b64 exec, exec, s[10:11]
	s_mov_b64 s[10:11], -1
	s_mov_b64 s[2:3], 0
	global_store_byte v[0:1], v5, off
.LBB39_63:
	s_mov_b64 s[12:13], 0
.LBB39_64:
	s_and_b64 vcc, exec, s[12:13]
	s_cbranch_vccz .LBB39_67
; %bb.65:
	v_mov_b32_e32 v3, 29
	v_cmp_eq_u16_sdwa s[12:13], s49, v3 src0_sel:BYTE_0 src1_sel:DWORD
	s_mov_b64 s[2:3], -1
	s_and_b64 vcc, exec, s[12:13]
	s_cbranch_vccz .LBB39_67
; %bb.66:
	v_trunc_f32_e32 v3, v2
	v_mul_f32_e32 v5, 0x2f800000, v3
	v_floor_f32_e32 v5, v5
	v_fmac_f32_e32 v3, 0xcf800000, v5
	v_cvt_u32_f32_e32 v7, v5
	v_cvt_u32_f32_e32 v6, v3
	s_mov_b64 s[10:11], -1
	s_mov_b64 s[2:3], 0
	s_mov_b64 s[12:13], 0
	global_store_dwordx2 v[0:1], v[6:7], off
	s_branch .LBB39_68
.LBB39_67:
	s_mov_b64 s[12:13], 0
.LBB39_68:
	s_and_b64 vcc, exec, s[12:13]
	s_cbranch_vccz .LBB39_84
; %bb.69:
	v_mov_b32_e32 v3, 27
	v_cmp_lt_i16_sdwa s[12:13], s49, v3 src0_sel:BYTE_0 src1_sel:DWORD
	s_mov_b64 s[10:11], -1
	s_and_b64 vcc, exec, s[12:13]
	s_cbranch_vccnz .LBB39_75
; %bb.70:
	v_cmp_gt_i16_sdwa s[12:13], s49, v3 src0_sel:BYTE_0 src1_sel:DWORD
	v_cvt_u32_f32_e32 v3, v2
	s_and_b64 vcc, exec, s[12:13]
	s_cbranch_vccz .LBB39_72
; %bb.71:
	s_mov_b64 s[10:11], 0
	global_store_dword v[0:1], v3, off
.LBB39_72:
	s_andn2_b64 vcc, exec, s[10:11]
	s_cbranch_vccnz .LBB39_74
; %bb.73:
	global_store_short v[0:1], v3, off
.LBB39_74:
	s_mov_b64 s[10:11], 0
.LBB39_75:
	s_andn2_b64 vcc, exec, s[10:11]
	s_cbranch_vccnz .LBB39_83
; %bb.76:
	v_and_b32_e32 v3, 0x7fffffff, v2
	s_mov_b32 s10, 0x43800000
	v_cmp_gt_u32_e32 vcc, s10, v3
	v_mov_b32_e32 v5, 0x80
	s_and_saveexec_b64 s[10:11], vcc
	s_cbranch_execz .LBB39_82
; %bb.77:
	s_mov_b32 s12, 0x3bffffff
	v_cmp_lt_u32_e32 vcc, s12, v3
	s_mov_b64 s[12:13], 0
                                        ; implicit-def: $vgpr3
	s_and_saveexec_b64 s[14:15], vcc
	s_xor_b64 s[14:15], exec, s[14:15]
	s_cbranch_execz .LBB39_329
; %bb.78:
	v_bfe_u32 v3, v2, 20, 1
	s_mov_b32 s16, 0x487ffff
	v_add3_u32 v3, v2, v3, s16
	s_mov_b64 s[12:13], exec
	v_lshrrev_b32_e32 v3, 20, v3
	s_or_saveexec_b64 s[14:15], s[14:15]
                                        ; implicit-def: $sgpr16
	s_xor_b64 exec, exec, s[14:15]
	s_cbranch_execnz .LBB39_330
.LBB39_79:
	s_or_b64 exec, exec, s[14:15]
	v_mov_b32_e32 v5, s16
	s_and_saveexec_b64 s[14:15], s[12:13]
.LBB39_80:
	v_lshrrev_b32_e32 v5, 24, v2
	s_movk_i32 s12, 0x80
	v_and_or_b32 v5, v5, s12, v3
.LBB39_81:
	s_or_b64 exec, exec, s[14:15]
.LBB39_82:
	s_or_b64 exec, exec, s[10:11]
	global_store_byte v[0:1], v5, off
.LBB39_83:
	s_mov_b64 s[10:11], -1
.LBB39_84:
	s_mov_b64 s[12:13], 0
.LBB39_85:
	s_and_b64 vcc, exec, s[12:13]
	s_cbranch_vccz .LBB39_126
; %bb.86:
	v_mov_b32_e32 v3, 22
	v_cmp_gt_i16_sdwa s[14:15], s49, v3 src0_sel:BYTE_0 src1_sel:DWORD
	s_mov_b64 s[12:13], -1
	s_and_b64 vcc, exec, s[14:15]
	s_cbranch_vccz .LBB39_118
; %bb.87:
	v_mov_b32_e32 v3, 24
	v_cmp_lt_i16_sdwa s[12:13], s49, v3 src0_sel:BYTE_0 src1_sel:DWORD
	s_mov_b64 s[10:11], -1
	s_and_b64 vcc, exec, s[12:13]
	s_cbranch_vccnz .LBB39_107
; %bb.88:
	v_cmp_gt_i16_sdwa s[12:13], s49, v3 src0_sel:BYTE_0 src1_sel:DWORD
	s_and_b64 vcc, exec, s[12:13]
	s_cbranch_vccz .LBB39_96
; %bb.89:
	v_and_b32_e32 v3, 0x7fffffff, v2
	s_mov_b32 s10, 0x47800000
	v_cmp_gt_u32_e32 vcc, s10, v3
	v_mov_b32_e32 v5, 0x80
	s_and_saveexec_b64 s[10:11], vcc
	s_cbranch_execz .LBB39_95
; %bb.90:
	s_mov_b32 s12, 0x37ffffff
	v_cmp_lt_u32_e32 vcc, s12, v3
	s_mov_b64 s[12:13], 0
                                        ; implicit-def: $vgpr3
	s_and_saveexec_b64 s[14:15], vcc
	s_xor_b64 s[14:15], exec, s[14:15]
	s_cbranch_execz .LBB39_333
; %bb.91:
	v_bfe_u32 v3, v2, 21, 1
	s_mov_b32 s16, 0x88fffff
	v_add3_u32 v3, v2, v3, s16
	s_mov_b64 s[12:13], exec
	v_lshrrev_b32_e32 v3, 21, v3
	s_or_saveexec_b64 s[14:15], s[14:15]
                                        ; implicit-def: $sgpr16
	s_xor_b64 exec, exec, s[14:15]
	s_cbranch_execnz .LBB39_334
.LBB39_92:
	s_or_b64 exec, exec, s[14:15]
	v_mov_b32_e32 v5, s16
	s_and_saveexec_b64 s[14:15], s[12:13]
.LBB39_93:
	v_lshrrev_b32_e32 v5, 24, v2
	s_movk_i32 s12, 0x80
	v_and_or_b32 v5, v5, s12, v3
.LBB39_94:
	s_or_b64 exec, exec, s[14:15]
.LBB39_95:
	s_or_b64 exec, exec, s[10:11]
	s_mov_b64 s[10:11], 0
	global_store_byte v[0:1], v5, off
.LBB39_96:
	s_and_b64 vcc, exec, s[10:11]
	s_cbranch_vccz .LBB39_106
; %bb.97:
	v_and_b32_e32 v5, 0x7fffffff, v2
	s_mov_b32 s10, 0x43f00000
	v_cmp_gt_u32_e32 vcc, s10, v5
                                        ; implicit-def: $vgpr3
	s_and_saveexec_b64 s[10:11], vcc
	s_xor_b64 s[10:11], exec, s[10:11]
	s_cbranch_execz .LBB39_103
; %bb.98:
	s_mov_b32 s12, 0x3c7fffff
	v_cmp_lt_u32_e32 vcc, s12, v5
                                        ; implicit-def: $vgpr3
	s_and_saveexec_b64 s[12:13], vcc
	s_xor_b64 s[12:13], exec, s[12:13]
; %bb.99:
	v_bfe_u32 v3, v2, 20, 1
	s_mov_b32 s14, 0x407ffff
	v_add3_u32 v3, v2, v3, s14
	v_lshrrev_b32_e32 v5, 20, v3
	v_and_b32_e32 v3, 0xff00000, v3
	s_mov_b32 s14, 0x7f00000
	v_mov_b32_e32 v6, 0x7e
	v_cmp_ne_u32_e32 vcc, s14, v3
	v_cndmask_b32_e32 v3, v6, v5, vcc
; %bb.100:
	s_andn2_saveexec_b64 s[12:13], s[12:13]
; %bb.101:
	s_mov_b32 s14, 0x46800000
	v_add_f32_e64 v3, |v2|, s14
; %bb.102:
	s_or_b64 exec, exec, s[12:13]
                                        ; implicit-def: $vgpr5
.LBB39_103:
	s_andn2_saveexec_b64 s[10:11], s[10:11]
; %bb.104:
	s_mov_b32 s12, 0x7f800000
	v_mov_b32_e32 v3, 0x7e
	v_mov_b32_e32 v6, 0x7f
	v_cmp_lt_u32_e32 vcc, s12, v5
	v_cndmask_b32_e32 v3, v3, v6, vcc
; %bb.105:
	s_or_b64 exec, exec, s[10:11]
	v_lshrrev_b32_e32 v5, 24, v2
	s_movk_i32 s10, 0x80
	v_and_or_b32 v3, v5, s10, v3
	global_store_byte v[0:1], v3, off
.LBB39_106:
	s_mov_b64 s[10:11], 0
.LBB39_107:
	s_andn2_b64 vcc, exec, s[10:11]
	s_cbranch_vccnz .LBB39_117
; %bb.108:
	v_and_b32_e32 v5, 0x7fffffff, v2
	s_mov_b32 s10, 0x47800000
	v_cmp_gt_u32_e32 vcc, s10, v5
                                        ; implicit-def: $vgpr3
	s_and_saveexec_b64 s[10:11], vcc
	s_xor_b64 s[10:11], exec, s[10:11]
	s_cbranch_execz .LBB39_114
; %bb.109:
	s_mov_b32 s12, 0x387fffff
	v_cmp_lt_u32_e32 vcc, s12, v5
                                        ; implicit-def: $vgpr3
	s_and_saveexec_b64 s[12:13], vcc
	s_xor_b64 s[12:13], exec, s[12:13]
; %bb.110:
	v_bfe_u32 v3, v2, 21, 1
	s_mov_b32 s14, 0x80fffff
	v_add3_u32 v3, v2, v3, s14
	v_lshrrev_b32_e32 v3, 21, v3
; %bb.111:
	s_andn2_saveexec_b64 s[12:13], s[12:13]
; %bb.112:
	s_mov_b32 s14, 0x43000000
	v_add_f32_e64 v3, |v2|, s14
; %bb.113:
	s_or_b64 exec, exec, s[12:13]
                                        ; implicit-def: $vgpr5
.LBB39_114:
	s_andn2_saveexec_b64 s[10:11], s[10:11]
; %bb.115:
	s_mov_b32 s12, 0x7f800000
	v_mov_b32_e32 v3, 0x7c
	v_mov_b32_e32 v6, 0x7f
	v_cmp_lt_u32_e32 vcc, s12, v5
	v_cndmask_b32_e32 v3, v3, v6, vcc
; %bb.116:
	s_or_b64 exec, exec, s[10:11]
	v_lshrrev_b32_e32 v5, 24, v2
	s_movk_i32 s10, 0x80
	v_and_or_b32 v3, v5, s10, v3
	global_store_byte v[0:1], v3, off
.LBB39_117:
	s_mov_b64 s[12:13], 0
	s_mov_b64 s[10:11], -1
.LBB39_118:
	s_andn2_b64 vcc, exec, s[12:13]
	s_cbranch_vccnz .LBB39_126
; %bb.119:
	v_mov_b32_e32 v3, 14
	v_cmp_gt_i16_sdwa s[14:15], s49, v3 src0_sel:BYTE_0 src1_sel:DWORD
	s_mov_b64 s[12:13], -1
	s_and_b64 vcc, exec, s[14:15]
	s_cbranch_vccz .LBB39_123
; %bb.120:
	v_mov_b32_e32 v3, 15
	v_cmp_eq_u16_sdwa s[12:13], s49, v3 src0_sel:BYTE_0 src1_sel:DWORD
	s_mov_b64 s[2:3], -1
	s_and_b64 vcc, exec, s[12:13]
	s_cbranch_vccz .LBB39_122
; %bb.121:
	v_bfe_u32 v3, v2, 16, 1
	s_movk_i32 s2, 0x7fff
	v_add3_u32 v3, v2, v3, s2
	v_lshrrev_b32_e32 v3, 16, v3
	v_mov_b32_e32 v5, 0x7fc0
	v_cmp_o_f32_e32 vcc, v2, v2
	v_cndmask_b32_e32 v3, v5, v3, vcc
	global_store_short v[0:1], v3, off
	s_mov_b64 s[10:11], -1
	s_mov_b64 s[2:3], 0
.LBB39_122:
	s_mov_b64 s[12:13], 0
.LBB39_123:
	s_and_b64 vcc, exec, s[12:13]
	s_cbranch_vccz .LBB39_126
; %bb.124:
	v_mov_b32_e32 v3, 11
	v_cmp_eq_u16_sdwa s[12:13], s49, v3 src0_sel:BYTE_0 src1_sel:DWORD
	s_mov_b64 s[2:3], -1
	s_and_b64 vcc, exec, s[12:13]
	s_cbranch_vccz .LBB39_126
; %bb.125:
	v_cmp_neq_f32_e32 vcc, 0, v2
	v_cndmask_b32_e64 v3, 0, 1, vcc
	s_mov_b64 s[10:11], -1
	s_mov_b64 s[2:3], 0
	global_store_byte v[0:1], v3, off
.LBB39_126:
	s_branch .LBB39_47
.LBB39_127:
	v_mov_b32_e32 v3, 5
	v_cmp_lt_i16_sdwa s[12:13], s49, v3 src0_sel:BYTE_0 src1_sel:DWORD
	s_mov_b64 s[10:11], -1
	s_and_b64 vcc, exec, s[12:13]
	s_cbranch_vccnz .LBB39_148
; %bb.128:
	v_mov_b32_e32 v3, 8
	v_cmp_lt_i16_sdwa s[12:13], s49, v3 src0_sel:BYTE_0 src1_sel:DWORD
	s_and_b64 vcc, exec, s[12:13]
	s_cbranch_vccnz .LBB39_138
; %bb.129:
	v_mov_b32_e32 v3, 9
	v_cmp_lt_i16_sdwa s[12:13], s49, v3 src0_sel:BYTE_0 src1_sel:DWORD
	s_and_b64 vcc, exec, s[12:13]
	s_cbranch_vccnz .LBB39_135
; %bb.130:
	v_cmp_gt_i16_sdwa s[12:13], s49, v3 src0_sel:BYTE_0 src1_sel:DWORD
	s_and_b64 vcc, exec, s[12:13]
	s_cbranch_vccz .LBB39_132
; %bb.131:
	v_mov_b32_e32 v8, 0
	v_cvt_f64_f32_e32 v[6:7], v2
	v_mov_b32_e32 v9, v8
	global_store_dwordx4 v[0:1], v[6:9], off
	s_mov_b64 s[10:11], 0
.LBB39_132:
	s_andn2_b64 vcc, exec, s[10:11]
	s_cbranch_vccnz .LBB39_134
; %bb.133:
	v_mov_b32_e32 v3, 0
	global_store_dwordx2 v[0:1], v[2:3], off
.LBB39_134:
	s_mov_b64 s[10:11], 0
.LBB39_135:
	s_andn2_b64 vcc, exec, s[10:11]
	s_cbranch_vccnz .LBB39_137
; %bb.136:
	v_cvt_f16_f32_e32 v3, v2
	global_store_dword v[0:1], v3, off
.LBB39_137:
	s_mov_b64 s[10:11], 0
.LBB39_138:
	s_andn2_b64 vcc, exec, s[10:11]
	s_cbranch_vccnz .LBB39_147
; %bb.139:
	v_mov_b32_e32 v3, 6
	v_cmp_lt_i16_sdwa s[12:13], s49, v3 src0_sel:BYTE_0 src1_sel:DWORD
	s_mov_b64 s[10:11], -1
	s_and_b64 vcc, exec, s[12:13]
	s_cbranch_vccnz .LBB39_145
; %bb.140:
	v_cmp_gt_i16_sdwa s[12:13], s49, v3 src0_sel:BYTE_0 src1_sel:DWORD
	s_and_b64 vcc, exec, s[12:13]
	s_cbranch_vccz .LBB39_142
; %bb.141:
	v_cvt_f64_f32_e32 v[6:7], v2
	global_store_dwordx2 v[0:1], v[6:7], off
	s_mov_b64 s[10:11], 0
.LBB39_142:
	s_andn2_b64 vcc, exec, s[10:11]
	s_cbranch_vccnz .LBB39_144
; %bb.143:
	global_store_dword v[0:1], v2, off
.LBB39_144:
	s_mov_b64 s[10:11], 0
.LBB39_145:
	s_andn2_b64 vcc, exec, s[10:11]
	s_cbranch_vccnz .LBB39_147
; %bb.146:
	v_cvt_f16_f32_e32 v3, v2
	global_store_short v[0:1], v3, off
.LBB39_147:
	s_mov_b64 s[10:11], 0
.LBB39_148:
	s_andn2_b64 vcc, exec, s[10:11]
	s_cbranch_vccnz .LBB39_164
; %bb.149:
	v_mov_b32_e32 v3, 2
	v_cmp_lt_i16_sdwa s[12:13], s49, v3 src0_sel:BYTE_0 src1_sel:DWORD
	s_mov_b64 s[10:11], -1
	s_and_b64 vcc, exec, s[12:13]
	s_cbranch_vccnz .LBB39_159
; %bb.150:
	v_mov_b32_e32 v3, 3
	v_cmp_lt_i16_sdwa s[12:13], s49, v3 src0_sel:BYTE_0 src1_sel:DWORD
	s_and_b64 vcc, exec, s[12:13]
	s_cbranch_vccnz .LBB39_156
; %bb.151:
	v_cmp_gt_i16_sdwa s[12:13], s49, v3 src0_sel:BYTE_0 src1_sel:DWORD
	s_and_b64 vcc, exec, s[12:13]
	s_cbranch_vccz .LBB39_153
; %bb.152:
	v_trunc_f32_e32 v3, v2
	s_mov_b32 s10, 0x2f800000
	v_mul_f32_e64 v5, |v3|, s10
	v_floor_f32_e32 v5, v5
	s_mov_b32 s10, 0xcf800000
	v_cvt_u32_f32_e32 v6, v5
	v_fma_f32 v5, v5, s10, |v3|
	v_cvt_u32_f32_e32 v5, v5
	v_ashrrev_i32_e32 v3, 31, v3
	v_xor_b32_e32 v7, v6, v3
	s_mov_b64 s[10:11], 0
	v_xor_b32_e32 v5, v5, v3
	v_sub_co_u32_e32 v6, vcc, v5, v3
	v_subb_co_u32_e32 v7, vcc, v7, v3, vcc
	global_store_dwordx2 v[0:1], v[6:7], off
.LBB39_153:
	s_andn2_b64 vcc, exec, s[10:11]
	s_cbranch_vccnz .LBB39_155
; %bb.154:
	v_cvt_i32_f32_e32 v3, v2
	global_store_dword v[0:1], v3, off
.LBB39_155:
	s_mov_b64 s[10:11], 0
.LBB39_156:
	s_andn2_b64 vcc, exec, s[10:11]
	s_cbranch_vccnz .LBB39_158
; %bb.157:
	v_cvt_i32_f32_e32 v3, v2
	global_store_short v[0:1], v3, off
.LBB39_158:
	s_mov_b64 s[10:11], 0
.LBB39_159:
	s_andn2_b64 vcc, exec, s[10:11]
	s_cbranch_vccnz .LBB39_164
; %bb.160:
	v_mov_b32_e32 v3, 0
	v_cmp_gt_i16_sdwa s[12:13], s49, v3 src0_sel:BYTE_0 src1_sel:DWORD
	s_mov_b64 s[10:11], -1
	s_and_b64 vcc, exec, s[12:13]
	s_cbranch_vccz .LBB39_162
; %bb.161:
	v_cvt_i32_f32_e32 v3, v2
	s_mov_b64 s[10:11], 0
	global_store_byte v[0:1], v3, off
.LBB39_162:
	s_andn2_b64 vcc, exec, s[10:11]
	s_cbranch_vccnz .LBB39_164
; %bb.163:
	v_trunc_f32_e32 v2, v2
	s_mov_b32 s10, 0x2f800000
	v_mul_f32_e64 v3, |v2|, s10
	v_floor_f32_e32 v3, v3
	s_mov_b32 s10, 0xcf800000
	v_fma_f32 v3, v3, s10, |v2|
	v_cvt_u32_f32_e32 v3, v3
	v_ashrrev_i32_e32 v2, 31, v2
	v_xor_b32_e32 v3, v3, v2
	v_sub_u32_e32 v2, v3, v2
	global_store_byte v[0:1], v2, off
.LBB39_164:
.LBB39_165:
	v_add_u32_e32 v13, 0x80, v13
	s_mov_b64 s[10:11], -1
	s_branch .LBB39_276
.LBB39_166:
	s_mov_b64 s[8:9], -1
                                        ; implicit-def: $vgpr1
.LBB39_167:
	s_mov_b64 s[10:11], 0
.LBB39_168:
	s_and_b64 vcc, exec, s[10:11]
	s_cbranch_vccz .LBB39_172
; %bb.169:
	v_cmp_eq_u16_e32 vcc, 29, v4
	s_cbranch_vccz .LBB39_171
; %bb.170:
	global_load_dwordx2 v[6:7], v[2:3], off
	s_mov_b64 s[2:3], -1
	s_mov_b64 s[8:9], 0
	s_mov_b64 s[10:11], 0
	s_waitcnt vmcnt(0)
	v_ffbh_u32_e32 v1, v7
	v_min_u32_e32 v1, 32, v1
	v_lshlrev_b64 v[6:7], v1, v[6:7]
	v_min_u32_e32 v5, 1, v6
	v_or_b32_e32 v5, v7, v5
	v_cvt_f32_u32_e32 v5, v5
	v_sub_u32_e32 v1, 32, v1
	v_ldexp_f32 v1, v5, v1
	s_branch .LBB39_173
.LBB39_171:
	s_mov_b64 s[8:9], -1
                                        ; implicit-def: $vgpr1
.LBB39_172:
	s_mov_b64 s[10:11], 0
.LBB39_173:
	s_and_b64 vcc, exec, s[10:11]
	s_cbranch_vccz .LBB39_191
; %bb.174:
	v_cmp_gt_i16_e32 vcc, 27, v4
	s_cbranch_vccnz .LBB39_177
; %bb.175:
	v_cmp_lt_i16_e32 vcc, 27, v4
	s_cbranch_vccz .LBB39_178
; %bb.176:
	global_load_dword v1, v[2:3], off
	s_mov_b64 s[2:3], 0
	s_waitcnt vmcnt(0)
	v_cvt_f32_u32_e32 v1, v1
	s_branch .LBB39_179
.LBB39_177:
	s_mov_b64 s[2:3], -1
                                        ; implicit-def: $vgpr1
	s_branch .LBB39_182
.LBB39_178:
	s_mov_b64 s[2:3], -1
                                        ; implicit-def: $vgpr1
.LBB39_179:
	s_andn2_b64 vcc, exec, s[2:3]
	s_cbranch_vccnz .LBB39_181
; %bb.180:
	global_load_ushort v1, v[2:3], off
	s_waitcnt vmcnt(0)
	v_cvt_f32_u32_e32 v1, v1
.LBB39_181:
	s_mov_b64 s[2:3], 0
.LBB39_182:
	s_andn2_b64 vcc, exec, s[2:3]
	s_cbranch_vccnz .LBB39_190
; %bb.183:
	global_load_ubyte v5, v[2:3], off
	s_movk_i32 s2, 0x7f
                                        ; implicit-def: $sgpr14
	s_waitcnt vmcnt(0)
	v_cmp_lt_i16_e32 vcc, s2, v5
	s_mov_b64 s[2:3], 0
	s_and_saveexec_b64 s[10:11], vcc
	s_xor_b64 s[10:11], exec, s[10:11]
	s_cbranch_execz .LBB39_203
; %bb.184:
	s_movk_i32 s2, 0x80
	v_cmp_eq_u16_e32 vcc, s2, v5
	s_mov_b64 s[2:3], -1
                                        ; implicit-def: $sgpr14
	s_and_saveexec_b64 s[12:13], vcc
; %bb.185:
	s_mov_b32 s14, 0x7f800001
	s_xor_b64 s[2:3], exec, -1
; %bb.186:
	s_or_b64 exec, exec, s[12:13]
	s_and_b64 s[2:3], s[2:3], exec
	s_or_saveexec_b64 s[10:11], s[10:11]
	v_mov_b32_e32 v1, s14
	s_xor_b64 exec, exec, s[10:11]
	s_cbranch_execnz .LBB39_204
.LBB39_187:
	s_or_b64 exec, exec, s[10:11]
	s_and_saveexec_b64 s[10:11], s[2:3]
	s_cbranch_execz .LBB39_189
.LBB39_188:
	v_lshlrev_b32_e32 v1, 24, v5
	v_and_b32_e32 v5, 0xffff, v5
	v_and_b32_e32 v6, 7, v5
	v_ffbh_u32_e32 v8, v6
	v_min_u32_e32 v8, 32, v8
	v_subrev_u32_e32 v9, 28, v8
	v_bfe_u32 v7, v5, 3, 4
	v_lshlrev_b32_e32 v5, v9, v5
	v_sub_u32_e32 v8, 29, v8
	v_and_b32_e32 v5, 7, v5
	v_cmp_eq_u32_e32 vcc, 0, v7
	v_cndmask_b32_e32 v7, v7, v8, vcc
	v_cndmask_b32_e32 v5, v6, v5, vcc
	v_mov_b32_e32 v6, 0x3b800000
	v_lshlrev_b32_e32 v5, 20, v5
	v_and_b32_e32 v1, 0x80000000, v1
	v_lshl_add_u32 v6, v7, 23, v6
	v_or3_b32 v1, v1, v6, v5
.LBB39_189:
	s_or_b64 exec, exec, s[10:11]
.LBB39_190:
	s_mov_b64 s[2:3], -1
.LBB39_191:
	s_branch .LBB39_226
.LBB39_192:
	v_cmp_lt_i16_e32 vcc, 22, v4
	s_cbranch_vccz .LBB39_202
; %bb.193:
	v_cmp_gt_i16_e32 vcc, 24, v4
	s_cbranch_vccnz .LBB39_205
; %bb.194:
	v_cmp_lt_i16_e32 vcc, 24, v4
	s_cbranch_vccz .LBB39_206
; %bb.195:
	global_load_ubyte v5, v[2:3], off
	s_movk_i32 s2, 0x7f
                                        ; implicit-def: $sgpr14
	s_waitcnt vmcnt(0)
	v_cmp_lt_i16_e32 vcc, s2, v5
	s_mov_b64 s[2:3], 0
	s_and_saveexec_b64 s[10:11], vcc
	s_xor_b64 s[10:11], exec, s[10:11]
	s_cbranch_execz .LBB39_218
; %bb.196:
	s_movk_i32 s2, 0x80
	v_cmp_eq_u16_e32 vcc, s2, v5
	s_mov_b64 s[2:3], -1
                                        ; implicit-def: $sgpr14
	s_and_saveexec_b64 s[12:13], vcc
; %bb.197:
	s_mov_b32 s14, 0x7f800001
	s_xor_b64 s[2:3], exec, -1
; %bb.198:
	s_or_b64 exec, exec, s[12:13]
	s_and_b64 s[2:3], s[2:3], exec
	s_or_saveexec_b64 s[10:11], s[10:11]
	v_mov_b32_e32 v1, s14
	s_xor_b64 exec, exec, s[10:11]
	s_cbranch_execnz .LBB39_219
.LBB39_199:
	s_or_b64 exec, exec, s[10:11]
	s_and_saveexec_b64 s[10:11], s[2:3]
	s_cbranch_execz .LBB39_201
.LBB39_200:
	v_lshlrev_b32_e32 v1, 24, v5
	v_and_b32_e32 v5, 0xffff, v5
	v_and_b32_e32 v6, 3, v5
	v_ffbh_u32_e32 v8, v6
	v_min_u32_e32 v8, 32, v8
	v_subrev_u32_e32 v9, 29, v8
	v_bfe_u32 v7, v5, 2, 5
	v_lshlrev_b32_e32 v5, v9, v5
	v_sub_u32_e32 v8, 30, v8
	v_and_b32_e32 v5, 3, v5
	v_cmp_eq_u32_e32 vcc, 0, v7
	v_cndmask_b32_e32 v7, v7, v8, vcc
	v_cndmask_b32_e32 v5, v6, v5, vcc
	v_mov_b32_e32 v6, 0x37800000
	v_lshlrev_b32_e32 v5, 21, v5
	v_and_b32_e32 v1, 0x80000000, v1
	v_lshl_add_u32 v6, v7, 23, v6
	v_or3_b32 v1, v1, v6, v5
.LBB39_201:
	s_or_b64 exec, exec, s[10:11]
	s_mov_b64 s[2:3], 0
	s_branch .LBB39_207
.LBB39_202:
	s_mov_b64 s[10:11], -1
                                        ; implicit-def: $vgpr1
	s_branch .LBB39_213
.LBB39_203:
	s_or_saveexec_b64 s[10:11], s[10:11]
	v_mov_b32_e32 v1, s14
	s_xor_b64 exec, exec, s[10:11]
	s_cbranch_execz .LBB39_187
.LBB39_204:
	v_cmp_ne_u16_e32 vcc, 0, v5
	s_andn2_b64 s[2:3], s[2:3], exec
	s_and_b64 s[12:13], vcc, exec
	v_mov_b32_e32 v1, 0
	s_or_b64 s[2:3], s[2:3], s[12:13]
	s_or_b64 exec, exec, s[10:11]
	s_and_saveexec_b64 s[10:11], s[2:3]
	s_cbranch_execnz .LBB39_188
	s_branch .LBB39_189
.LBB39_205:
	s_mov_b64 s[2:3], -1
                                        ; implicit-def: $vgpr1
	s_branch .LBB39_210
.LBB39_206:
	s_mov_b64 s[2:3], -1
                                        ; implicit-def: $vgpr1
.LBB39_207:
	s_and_b64 vcc, exec, s[2:3]
	s_cbranch_vccz .LBB39_209
; %bb.208:
	global_load_ubyte v1, v[2:3], off
	s_mov_b32 s2, 0x7f800000
	s_waitcnt vmcnt(0)
	v_lshlrev_b32_e32 v1, 24, v1
	v_and_b32_e32 v5, 0x7f000000, v1
	v_ffbh_u32_e32 v6, v5
	v_min_u32_e32 v6, 32, v6
	v_sub_u32_e64 v6, v6, 4 clamp
	v_lshlrev_b32_e32 v8, v6, v5
	v_lshlrev_b32_e32 v6, 23, v6
	v_lshrrev_b32_e32 v8, 4, v8
	v_add_u32_e32 v7, 0x1000000, v5
	v_sub_u32_e32 v6, v8, v6
	v_ashrrev_i32_e32 v7, 8, v7
	v_add_u32_e32 v6, 0x3c000000, v6
	v_and_or_b32 v6, v7, s2, v6
	v_cmp_ne_u32_e32 vcc, 0, v5
	v_cndmask_b32_e32 v5, 0, v6, vcc
	s_brev_b32 s2, 1
	v_and_or_b32 v1, v1, s2, v5
.LBB39_209:
	s_mov_b64 s[2:3], 0
.LBB39_210:
	s_andn2_b64 vcc, exec, s[2:3]
	s_cbranch_vccnz .LBB39_212
; %bb.211:
	global_load_ubyte v1, v[2:3], off
	s_movk_i32 s2, 0x7f00
	s_brev_b32 s3, 16
	s_waitcnt vmcnt(0)
	v_lshlrev_b16_e32 v5, 8, v1
	v_lshlrev_b32_e32 v1, 25, v1
	v_lshrrev_b32_e32 v6, 4, v1
	v_and_or_b32 v7, v5, s2, 0.5
	v_or_b32_e32 v6, 0x70000000, v6
	v_add_f32_e32 v7, -0.5, v7
	v_mul_f32_e32 v6, 0x7800000, v6
	v_cmp_gt_u32_e32 vcc, s3, v1
	v_bfe_i32 v5, v5, 0, 16
	v_cndmask_b32_e32 v1, v6, v7, vcc
	s_brev_b32 s2, 1
	v_and_or_b32 v1, v5, s2, v1
.LBB39_212:
	s_mov_b64 s[10:11], 0
	s_mov_b64 s[2:3], -1
.LBB39_213:
	s_andn2_b64 vcc, exec, s[10:11]
	s_cbranch_vccnz .LBB39_226
; %bb.214:
	v_cmp_lt_i16_e32 vcc, 14, v4
	s_cbranch_vccz .LBB39_217
; %bb.215:
	v_cmp_eq_u16_e32 vcc, 15, v4
	s_cbranch_vccz .LBB39_220
; %bb.216:
	global_load_ushort v1, v[2:3], off
	s_mov_b64 s[2:3], -1
	s_mov_b64 s[8:9], 0
	s_waitcnt vmcnt(0)
	v_lshlrev_b32_e32 v1, 16, v1
	s_branch .LBB39_221
.LBB39_217:
	s_mov_b64 s[10:11], -1
                                        ; implicit-def: $vgpr1
	s_branch .LBB39_222
.LBB39_218:
	s_or_saveexec_b64 s[10:11], s[10:11]
	v_mov_b32_e32 v1, s14
	s_xor_b64 exec, exec, s[10:11]
	s_cbranch_execz .LBB39_199
.LBB39_219:
	v_cmp_ne_u16_e32 vcc, 0, v5
	s_andn2_b64 s[2:3], s[2:3], exec
	s_and_b64 s[12:13], vcc, exec
	v_mov_b32_e32 v1, 0
	s_or_b64 s[2:3], s[2:3], s[12:13]
	s_or_b64 exec, exec, s[10:11]
	s_and_saveexec_b64 s[10:11], s[2:3]
	s_cbranch_execnz .LBB39_200
	s_branch .LBB39_201
.LBB39_220:
	s_mov_b64 s[8:9], -1
                                        ; implicit-def: $vgpr1
.LBB39_221:
	s_mov_b64 s[10:11], 0
.LBB39_222:
	s_and_b64 vcc, exec, s[10:11]
	s_cbranch_vccz .LBB39_226
; %bb.223:
	v_cmp_eq_u16_e32 vcc, 11, v4
	s_cbranch_vccz .LBB39_225
; %bb.224:
	global_load_ubyte v1, v[2:3], off
	s_mov_b64 s[2:3], -1
	s_mov_b64 s[8:9], 0
	s_waitcnt vmcnt(0)
	v_cmp_ne_u16_e32 vcc, 0, v1
	v_cndmask_b32_e64 v1, 0, 1.0, vcc
	s_branch .LBB39_226
.LBB39_225:
	s_mov_b64 s[8:9], -1
                                        ; implicit-def: $vgpr1
.LBB39_226:
	s_branch .LBB39_25
.LBB39_227:
	v_cmp_gt_i16_e32 vcc, 5, v4
	s_cbranch_vccnz .LBB39_232
; %bb.228:
	v_cmp_gt_i16_e32 vcc, 8, v4
	s_cbranch_vccnz .LBB39_233
; %bb.229:
	;; [unrolled: 3-line block ×3, first 2 shown]
	v_cmp_lt_i16_e32 vcc, 9, v4
	s_cbranch_vccz .LBB39_235
; %bb.231:
	global_load_dwordx2 v[6:7], v[2:3], off
	s_mov_b64 s[2:3], 0
	s_waitcnt vmcnt(0)
	v_cvt_f32_f64_e32 v1, v[6:7]
	s_branch .LBB39_236
.LBB39_232:
                                        ; implicit-def: $vgpr1
	s_branch .LBB39_254
.LBB39_233:
	s_mov_b64 s[2:3], -1
                                        ; implicit-def: $vgpr1
	s_branch .LBB39_242
.LBB39_234:
	s_mov_b64 s[2:3], -1
                                        ; implicit-def: $vgpr1
	s_branch .LBB39_239
.LBB39_235:
	s_mov_b64 s[2:3], -1
                                        ; implicit-def: $vgpr1
.LBB39_236:
	s_andn2_b64 vcc, exec, s[2:3]
	s_cbranch_vccnz .LBB39_238
; %bb.237:
	global_load_dword v1, v[2:3], off
.LBB39_238:
	s_mov_b64 s[2:3], 0
.LBB39_239:
	s_andn2_b64 vcc, exec, s[2:3]
	s_cbranch_vccnz .LBB39_241
; %bb.240:
	global_load_dword v1, v[2:3], off
	s_waitcnt vmcnt(0)
	v_cvt_f32_f16_e32 v1, v1
.LBB39_241:
	s_mov_b64 s[2:3], 0
.LBB39_242:
	s_andn2_b64 vcc, exec, s[2:3]
	s_cbranch_vccnz .LBB39_253
; %bb.243:
	v_cmp_gt_i16_e32 vcc, 6, v4
	s_cbranch_vccnz .LBB39_246
; %bb.244:
	v_cmp_lt_i16_e32 vcc, 6, v4
	s_cbranch_vccz .LBB39_247
; %bb.245:
	global_load_dwordx2 v[6:7], v[2:3], off
	s_mov_b64 s[2:3], 0
	s_waitcnt vmcnt(0)
	v_cvt_f32_f64_e32 v1, v[6:7]
	s_branch .LBB39_248
.LBB39_246:
	s_mov_b64 s[2:3], -1
                                        ; implicit-def: $vgpr1
	s_branch .LBB39_251
.LBB39_247:
	s_mov_b64 s[2:3], -1
                                        ; implicit-def: $vgpr1
.LBB39_248:
	s_andn2_b64 vcc, exec, s[2:3]
	s_cbranch_vccnz .LBB39_250
; %bb.249:
	global_load_dword v1, v[2:3], off
.LBB39_250:
	s_mov_b64 s[2:3], 0
.LBB39_251:
	s_andn2_b64 vcc, exec, s[2:3]
	s_cbranch_vccnz .LBB39_253
; %bb.252:
	global_load_ushort v1, v[2:3], off
	s_waitcnt vmcnt(0)
	v_cvt_f32_f16_e32 v1, v1
.LBB39_253:
	s_cbranch_execnz .LBB39_273
.LBB39_254:
	v_cmp_gt_i16_e32 vcc, 2, v4
	s_cbranch_vccnz .LBB39_258
; %bb.255:
	v_cmp_gt_i16_e32 vcc, 3, v4
	s_cbranch_vccnz .LBB39_259
; %bb.256:
	v_cmp_lt_i16_e32 vcc, 3, v4
	s_cbranch_vccz .LBB39_260
; %bb.257:
	global_load_dwordx2 v[6:7], v[2:3], off
	s_mov_b64 s[2:3], 0
	s_waitcnt vmcnt(0)
	v_xor_b32_e32 v5, v6, v7
	v_ffbh_i32_e32 v1, v7
	v_ashrrev_i32_e32 v5, 31, v5
	v_add_u32_e32 v1, -1, v1
	v_add_u32_e32 v5, 32, v5
	v_min_u32_e32 v1, v1, v5
	v_lshlrev_b64 v[6:7], v1, v[6:7]
	v_min_u32_e32 v5, 1, v6
	v_or_b32_e32 v5, v7, v5
	v_cvt_f32_i32_e32 v5, v5
	v_sub_u32_e32 v1, 32, v1
	v_ldexp_f32 v1, v5, v1
	s_branch .LBB39_261
.LBB39_258:
	s_mov_b64 s[2:3], -1
                                        ; implicit-def: $vgpr1
	s_branch .LBB39_267
.LBB39_259:
	s_mov_b64 s[2:3], -1
                                        ; implicit-def: $vgpr1
	s_branch .LBB39_264
.LBB39_260:
	s_mov_b64 s[2:3], -1
                                        ; implicit-def: $vgpr1
.LBB39_261:
	s_andn2_b64 vcc, exec, s[2:3]
	s_cbranch_vccnz .LBB39_263
; %bb.262:
	global_load_dword v1, v[2:3], off
	s_waitcnt vmcnt(0)
	v_cvt_f32_i32_e32 v1, v1
.LBB39_263:
	s_mov_b64 s[2:3], 0
.LBB39_264:
	s_andn2_b64 vcc, exec, s[2:3]
	s_cbranch_vccnz .LBB39_266
; %bb.265:
	global_load_sshort v1, v[2:3], off
	s_waitcnt vmcnt(0)
	v_cvt_f32_i32_e32 v1, v1
.LBB39_266:
	s_mov_b64 s[2:3], 0
.LBB39_267:
	s_andn2_b64 vcc, exec, s[2:3]
	s_cbranch_vccnz .LBB39_273
; %bb.268:
	v_cmp_lt_i16_e32 vcc, 0, v4
	s_cbranch_vccz .LBB39_270
; %bb.269:
	global_load_sbyte v1, v[2:3], off
	s_mov_b64 s[2:3], 0
	s_waitcnt vmcnt(0)
	v_cvt_f32_i32_e32 v1, v1
	s_branch .LBB39_271
.LBB39_270:
	s_mov_b64 s[2:3], -1
                                        ; implicit-def: $vgpr1
.LBB39_271:
	s_andn2_b64 vcc, exec, s[2:3]
	s_cbranch_vccnz .LBB39_273
; %bb.272:
	global_load_ubyte v1, v[2:3], off
	s_waitcnt vmcnt(0)
	v_cvt_f32_ubyte0_e32 v1, v1
.LBB39_273:
	s_branch .LBB39_26
.LBB39_274:
	s_mov_b64 s[2:3], 0
.LBB39_275:
	s_mov_b64 s[10:11], 0
                                        ; implicit-def: $vgpr13
.LBB39_276:
	s_and_b64 s[62:63], s[2:3], exec
	s_and_b64 s[64:65], s[8:9], exec
	s_orn2_b64 s[2:3], s[10:11], exec
.LBB39_277:
	s_or_b64 exec, exec, s[66:67]
	s_mov_b64 s[12:13], 0
	s_mov_b64 s[10:11], 0
                                        ; implicit-def: $vgpr2_vgpr3
                                        ; implicit-def: $vgpr0
                                        ; implicit-def: $vgpr6
	s_and_saveexec_b64 s[66:67], s[2:3]
	s_cbranch_execz .LBB39_285
; %bb.278:
	v_cmp_gt_i32_e32 vcc, s80, v13
	s_mov_b64 s[2:3], -1
	s_mov_b64 s[68:69], s[64:65]
	s_mov_b64 s[70:71], s[62:63]
	s_and_saveexec_b64 s[72:73], vcc
	s_cbranch_execz .LBB39_564
; %bb.279:
	s_andn2_b64 vcc, exec, s[44:45]
	s_cbranch_vccnz .LBB39_288
; %bb.280:
	s_mov_b32 s2, 0
	s_andn2_b64 vcc, exec, s[60:61]
	v_mov_b32_e32 v2, 0
	v_mov_b32_e32 v0, 0
	s_cbranch_vccnz .LBB39_294
; %bb.281:
	s_add_i32 s48, s81, 1
	s_cmp_eq_u32 s82, 2
	s_cbranch_scc1 .LBB39_289
; %bb.282:
	s_and_b32 s2, s48, 28
	s_mov_b32 s3, 0
	v_mov_b32_e32 v0, 0
	s_mov_b64 s[68:69], s[34:35]
	s_mov_b64 s[70:71], s[58:59]
	v_mov_b32_e32 v3, v13
	v_mov_b32_e32 v2, 0
.LBB39_283:                             ; =>This Inner Loop Header: Depth=1
	s_load_dwordx8 s[16:23], s[68:69], 0x4
	s_load_dwordx4 s[40:43], s[68:69], 0x24
	s_load_dwordx8 s[8:15], s[70:71], 0x0
	s_add_u32 s68, s68, 48
	s_addc_u32 s69, s69, 0
	s_waitcnt vmcnt(0) lgkmcnt(0)
	v_mul_hi_u32 v1, s17, v3
	v_add_u32_e32 v1, v3, v1
	v_lshrrev_b32_e32 v1, s18, v1
	v_mul_lo_u32 v5, v1, s16
	v_mul_hi_u32 v6, s20, v1
	v_sub_u32_e32 v3, v3, v5
	v_add_u32_e32 v5, v1, v6
	v_lshrrev_b32_e32 v5, s21, v5
	v_mul_lo_u32 v7, v5, s19
	v_mul_hi_u32 v8, s23, v5
	v_sub_u32_e32 v1, v1, v7
	v_add_u32_e32 v7, v5, v8
	v_mul_lo_u32 v6, v3, s9
	v_mul_lo_u32 v3, v3, s8
	;; [unrolled: 1-line block ×4, first 2 shown]
	v_lshrrev_b32_e32 v7, s40, v7
	v_add3_u32 v0, v3, v0, v1
	v_mul_hi_u32 v3, s42, v7
	v_add_u32_e32 v3, v7, v3
	v_lshrrev_b32_e32 v3, s43, v3
	s_add_i32 s3, s3, 4
	v_add3_u32 v1, v6, v2, v8
	v_mul_lo_u32 v2, v7, s22
	v_mul_lo_u32 v6, v3, s41
	s_add_u32 s70, s70, 32
	v_sub_u32_e32 v2, v5, v2
	v_sub_u32_e32 v6, v7, v6
	s_addc_u32 s71, s71, 0
	v_mul_lo_u32 v5, v2, s12
	v_mul_lo_u32 v2, v2, s13
	;; [unrolled: 1-line block ×4, first 2 shown]
	s_cmp_eq_u32 s2, s3
	v_add3_u32 v2, v2, v1, v6
	v_add3_u32 v0, v5, v0, v7
	s_cbranch_scc0 .LBB39_283
; %bb.284:
	v_mov_b32_e32 v1, v2
	s_branch .LBB39_290
.LBB39_285:
	s_or_b64 exec, exec, s[66:67]
	s_mov_b64 s[2:3], 0
	s_and_saveexec_b64 s[8:9], s[64:65]
	s_cbranch_execnz .LBB39_952
.LBB39_286:
	s_or_b64 exec, exec, s[8:9]
	s_and_saveexec_b64 s[8:9], s[70:71]
	s_xor_b64 s[8:9], exec, s[8:9]
	s_cbranch_execz .LBB39_953
.LBB39_287:
	global_load_ubyte v1, v[2:3], off
	s_or_b64 s[10:11], s[10:11], exec
	s_waitcnt vmcnt(0)
	v_cmp_ne_u16_e32 vcc, 0, v1
	v_cndmask_b32_e64 v6, 0, 1.0, vcc
	s_or_b64 exec, exec, s[8:9]
	s_and_saveexec_b64 s[8:9], s[12:13]
	s_cbranch_execz .LBB39_999
	s_branch .LBB39_954
.LBB39_288:
                                        ; implicit-def: $vgpr2
                                        ; implicit-def: $vgpr0
	s_andn2_b64 vcc, exec, s[2:3]
	s_cbranch_vccz .LBB39_295
	s_branch .LBB39_297
.LBB39_289:
	s_mov_b32 s3, s2
	s_waitcnt vmcnt(0)
	v_pk_mov_b32 v[0:1], s[2:3], s[2:3] op_sel:[0,1]
                                        ; implicit-def: $vgpr2
	v_mov_b32_e32 v3, v13
.LBB39_290:
	s_and_b32 s10, s48, 3
	s_cmp_eq_u32 s10, 0
	s_cbranch_scc1 .LBB39_294
; %bb.291:
	s_lshl_b32 s3, s2, 3
	s_add_u32 s3, s3, s34
	s_addc_u32 s9, s35, 0
	s_add_u32 s8, s3, 0xc4
	s_addc_u32 s9, s9, 0
	s_mul_i32 s2, s2, 12
	s_add_u32 s2, s34, s2
	s_addc_u32 s3, s35, 0
.LBB39_292:                             ; =>This Inner Loop Header: Depth=1
	s_load_dwordx2 s[12:13], s[2:3], 0x4
	s_load_dword s11, s[2:3], 0xc
	s_load_dwordx2 s[14:15], s[8:9], 0x0
	v_mov_b32_e32 v2, v1
	s_add_u32 s2, s2, 12
	s_waitcnt lgkmcnt(0)
	v_mul_hi_u32 v1, s13, v3
	v_add_u32_e32 v1, v3, v1
	v_lshrrev_b32_e32 v1, s11, v1
	s_addc_u32 s3, s3, 0
	v_mul_lo_u32 v5, v1, s12
	s_add_u32 s8, s8, 8
	v_sub_u32_e32 v5, v3, v5
	v_mov_b32_e32 v3, v1
	s_addc_u32 s9, s9, 0
	s_add_i32 s10, s10, -1
	v_mad_u64_u32 v[6:7], s[12:13], v5, s15, v[2:3]
	v_mad_u64_u32 v[0:1], s[12:13], v5, s14, v[0:1]
	s_cmp_lg_u32 s10, 0
	v_mov_b32_e32 v1, v6
	s_cbranch_scc1 .LBB39_292
; %bb.293:
	v_mov_b32_e32 v2, v1
.LBB39_294:
	s_cbranch_execnz .LBB39_297
.LBB39_295:
	v_mul_hi_u32 v0, s29, v13
	v_add_u32_e32 v0, v13, v0
	s_waitcnt vmcnt(0)
	v_lshrrev_b32_e32 v1, s30, v0
	v_mul_lo_u32 v0, v1, s28
	v_sub_u32_e32 v0, v13, v0
	s_waitcnt lgkmcnt(0)
	v_mul_lo_u32 v2, v0, s37
	s_andn2_b64 vcc, exec, s[56:57]
	v_mul_lo_u32 v0, v0, s36
	s_cbranch_vccnz .LBB39_297
; %bb.296:
	v_mul_hi_u32 v3, s54, v1
	v_add_u32_e32 v3, v1, v3
	v_lshrrev_b32_e32 v3, s55, v3
	v_mul_lo_u32 v3, v3, s31
	v_sub_u32_e32 v3, v1, v3
	v_mad_u64_u32 v[0:1], s[2:3], v3, s38, v[0:1]
	v_mad_u64_u32 v[2:3], s[2:3], v3, s39, v[2:3]
.LBB39_297:
	s_waitcnt vmcnt(0) lgkmcnt(0)
	v_mov_b32_e32 v1, s27
	v_add_co_u32_e32 v2, vcc, s26, v2
	v_addc_co_u32_e32 v3, vcc, 0, v1, vcc
	v_cmp_gt_i16_e32 vcc, 11, v4
	s_cbranch_vccnz .LBB39_304
; %bb.298:
	v_cmp_lt_i16_e32 vcc, 25, v4
	s_cbranch_vccz .LBB39_313
; %bb.299:
	v_cmp_lt_i16_e32 vcc, 28, v4
	s_cbranch_vccz .LBB39_314
	;; [unrolled: 3-line block ×4, first 2 shown]
; %bb.302:
	v_cmp_eq_u16_e32 vcc, 46, v4
	s_mov_b64 s[10:11], 0
	s_cbranch_vccz .LBB39_335
; %bb.303:
	global_load_dword v1, v[2:3], off
	s_mov_b64 s[2:3], -1
	s_mov_b64 s[8:9], 0
	s_waitcnt vmcnt(0)
	v_lshlrev_b32_e32 v1, 16, v1
	s_branch .LBB39_336
.LBB39_304:
	s_mov_b64 s[2:3], 0
                                        ; implicit-def: $vgpr1
	s_mov_b64 s[8:9], s[64:65]
	s_cbranch_execnz .LBB39_513
.LBB39_305:
	s_andn2_b64 vcc, exec, s[2:3]
	s_cbranch_vccnz .LBB39_561
.LBB39_306:
	s_andn2_b64 vcc, exec, s[52:53]
	v_mov_b32_e32 v2, 0
	s_cbranch_vccnz .LBB39_319
; %bb.307:
	v_cmp_lt_i64_e64 s[2:3], s[50:51], 1
	s_and_b64 vcc, exec, s[2:3]
	v_mov_b32_e32 v2, 1.0
	s_cbranch_vccnz .LBB39_319
; %bb.308:
	s_cmp_lg_u64 s[50:51], 1
	s_cbranch_scc0 .LBB39_316
; %bb.309:
	s_andn2_b64 vcc, exec, s[0:1]
	v_mov_b32_e32 v2, 0x7fc00000
	s_cbranch_vccnz .LBB39_312
; %bb.310:
	s_mov_b64 s[2:3], 1
	v_mov_b32_e32 v3, 1.0
	s_waitcnt vmcnt(0)
	v_mov_b32_e32 v2, v1
.LBB39_311:                             ; =>This Inner Loop Header: Depth=1
	s_flbit_i32_b32 s10, s3
	s_min_u32 s12, s10, 32
	s_lshl_b64 s[10:11], s[2:3], s12
	s_min_u32 s10, s10, 1
	s_or_b32 s10, s11, s10
	v_cvt_f32_u32_e32 v5, s10
	s_sub_i32 s12, 32, s12
	s_add_u32 s2, s2, 1
	s_addc_u32 s3, s3, 0
	v_ldexp_f32 v5, v5, s12
	v_mul_f32_e32 v5, v3, v5
	s_cmp_lg_u64 s[50:51], s[2:3]
	v_mov_b32_e32 v3, v2
	v_fma_f32 v2, v1, v2, -v5
	s_cbranch_scc1 .LBB39_311
.LBB39_312:
	s_mov_b64 s[2:3], 0
	s_branch .LBB39_317
.LBB39_313:
	s_mov_b64 s[10:11], -1
	s_mov_b64 s[2:3], 0
	s_mov_b64 s[8:9], s[64:65]
                                        ; implicit-def: $vgpr1
	s_branch .LBB39_477
.LBB39_314:
	s_mov_b64 s[10:11], -1
	s_mov_b64 s[2:3], 0
	s_mov_b64 s[8:9], s[64:65]
                                        ; implicit-def: $vgpr1
	s_branch .LBB39_458
.LBB39_315:
	s_mov_b64 s[10:11], -1
	s_mov_b64 s[2:3], 0
	s_mov_b64 s[8:9], s[64:65]
                                        ; implicit-def: $vgpr1
	s_branch .LBB39_453
.LBB39_316:
	s_mov_b64 s[2:3], -1
                                        ; implicit-def: $vgpr2
.LBB39_317:
	s_andn2_b64 vcc, exec, s[2:3]
	s_cbranch_vccnz .LBB39_319
; %bb.318:
	s_waitcnt vmcnt(0)
	v_mov_b32_e32 v2, v1
.LBB39_319:
	s_waitcnt vmcnt(0)
	v_mov_b32_e32 v1, s25
	v_add_co_u32_e32 v0, vcc, s24, v0
	v_mov_b32_e32 v3, 11
	v_addc_co_u32_e32 v1, vcc, 0, v1, vcc
	v_cmp_lt_i16_sdwa s[2:3], s49, v3 src0_sel:BYTE_0 src1_sel:DWORD
	s_and_b64 vcc, exec, s[2:3]
	s_cbranch_vccnz .LBB39_326
; %bb.320:
	v_mov_b32_e32 v3, 25
	v_cmp_gt_i16_sdwa s[2:3], s49, v3 src0_sel:BYTE_0 src1_sel:DWORD
	s_and_b64 vcc, exec, s[2:3]
	s_cbranch_vccz .LBB39_327
; %bb.321:
	v_mov_b32_e32 v3, 28
	v_cmp_gt_i16_sdwa s[2:3], s49, v3 src0_sel:BYTE_0 src1_sel:DWORD
	s_and_b64 vcc, exec, s[2:3]
	s_cbranch_vccz .LBB39_328
	;; [unrolled: 5-line block ×4, first 2 shown]
; %bb.324:
	v_mov_b32_e32 v3, 46
	v_cmp_eq_u16_sdwa s[10:11], s49, v3 src0_sel:BYTE_0 src1_sel:DWORD
	s_mov_b64 s[12:13], 0
	s_mov_b64 s[2:3], -1
	s_and_b64 vcc, exec, s[10:11]
	s_mov_b64 s[10:11], 0
	s_cbranch_vccz .LBB39_340
; %bb.325:
	v_bfe_u32 v3, v2, 16, 1
	s_movk_i32 s2, 0x7fff
	v_add3_u32 v3, v2, v3, s2
	v_lshrrev_b32_e32 v3, 16, v3
	v_mov_b32_e32 v5, 0x7fc0
	v_cmp_o_f32_e32 vcc, v2, v2
	v_cndmask_b32_e32 v3, v5, v3, vcc
	global_store_dword v[0:1], v3, off
	s_mov_b64 s[10:11], -1
	s_mov_b64 s[2:3], 0
	s_branch .LBB39_340
.LBB39_326:
	s_mov_b64 s[12:13], -1
	s_mov_b64 s[10:11], 0
	s_mov_b64 s[2:3], s[62:63]
	s_branch .LBB39_409
.LBB39_327:
	s_mov_b64 s[12:13], -1
	s_mov_b64 s[10:11], 0
	s_mov_b64 s[2:3], s[62:63]
	s_branch .LBB39_367
.LBB39_328:
	s_mov_b64 s[12:13], -1
	s_mov_b64 s[10:11], 0
	s_mov_b64 s[2:3], s[62:63]
	s_branch .LBB39_350
.LBB39_329:
	s_or_saveexec_b64 s[14:15], s[14:15]
                                        ; implicit-def: $sgpr16
	s_xor_b64 exec, exec, s[14:15]
	s_cbranch_execz .LBB39_79
.LBB39_330:
	s_mov_b32 s16, 0x46000000
	v_add_f32_e64 v3, |v2|, s16
	v_and_b32_e32 v3, 0xff, v3
	v_cmp_ne_u32_e32 vcc, 0, v3
	s_andn2_b64 s[12:13], s[12:13], exec
	s_and_b64 s[18:19], vcc, exec
	s_mov_b32 s16, 0
	s_or_b64 s[12:13], s[12:13], s[18:19]
	s_or_b64 exec, exec, s[14:15]
	v_mov_b32_e32 v5, s16
	s_and_saveexec_b64 s[14:15], s[12:13]
	s_cbranch_execnz .LBB39_80
	s_branch .LBB39_81
.LBB39_331:
	s_mov_b64 s[10:11], -1
	s_mov_b64 s[2:3], 0
	s_mov_b64 s[8:9], s[64:65]
                                        ; implicit-def: $vgpr1
	s_branch .LBB39_336
.LBB39_332:
	s_mov_b64 s[12:13], -1
	s_mov_b64 s[10:11], 0
	s_mov_b64 s[2:3], s[62:63]
	s_branch .LBB39_346
.LBB39_333:
	s_or_saveexec_b64 s[14:15], s[14:15]
                                        ; implicit-def: $sgpr16
	s_xor_b64 exec, exec, s[14:15]
	s_cbranch_execz .LBB39_92
.LBB39_334:
	s_mov_b32 s16, 0x42800000
	v_add_f32_e64 v3, |v2|, s16
	v_and_b32_e32 v3, 0xff, v3
	v_cmp_ne_u32_e32 vcc, 0, v3
	s_andn2_b64 s[12:13], s[12:13], exec
	s_and_b64 s[18:19], vcc, exec
	s_mov_b32 s16, 0
	s_or_b64 s[12:13], s[12:13], s[18:19]
	s_or_b64 exec, exec, s[14:15]
	v_mov_b32_e32 v5, s16
	s_and_saveexec_b64 s[14:15], s[12:13]
	s_cbranch_execnz .LBB39_93
	s_branch .LBB39_94
.LBB39_335:
	s_mov_b64 s[8:9], -1
                                        ; implicit-def: $vgpr1
	s_mov_b64 s[2:3], 0
.LBB39_336:
	s_and_b64 vcc, exec, s[10:11]
	s_cbranch_vccz .LBB39_452
; %bb.337:
	v_cmp_eq_u16_e32 vcc, 44, v4
	s_cbranch_vccz .LBB39_451
; %bb.338:
	global_load_ubyte v1, v[2:3], off
	s_movk_i32 s8, 0xff
	v_mov_b32_e32 v5, 0x7f800001
	v_mov_b32_e32 v6, 0x400000
	s_mov_b64 s[2:3], -1
	s_waitcnt vmcnt(0)
	v_lshlrev_b32_e32 v7, 23, v1
	v_cmp_ne_u32_e32 vcc, s8, v1
	v_cndmask_b32_e32 v5, v5, v7, vcc
	v_cmp_ne_u32_e32 vcc, 0, v1
	v_cndmask_b32_e32 v1, v6, v5, vcc
	s_mov_b64 s[8:9], 0
	s_branch .LBB39_452
.LBB39_339:
	s_mov_b64 s[12:13], -1
	s_mov_b64 s[10:11], 0
	s_mov_b64 s[2:3], s[62:63]
.LBB39_340:
	s_and_b64 vcc, exec, s[12:13]
	s_cbranch_vccz .LBB39_345
; %bb.341:
	v_mov_b32_e32 v3, 44
	v_cmp_eq_u16_sdwa s[12:13], s49, v3 src0_sel:BYTE_0 src1_sel:DWORD
	s_mov_b64 s[2:3], -1
	s_and_b64 vcc, exec, s[12:13]
	s_cbranch_vccz .LBB39_345
; %bb.342:
	v_bfe_u32 v3, v2, 23, 8
	s_movk_i32 s2, 0xff
	v_cmp_ne_u32_e32 vcc, s2, v3
	v_mov_b32_e32 v5, 0xff
	s_and_saveexec_b64 s[10:11], vcc
; %bb.343:
	s_mov_b32 s2, 0x3fffff
	v_and_b32_e32 v6, 0x400000, v2
	v_and_or_b32 v3, v2, s2, v3
	v_cmp_ne_u32_e32 vcc, 0, v6
	v_cmp_ne_u32_e64 s[2:3], 0, v3
	s_and_b64 s[2:3], vcc, s[2:3]
	v_lshrrev_b32_e32 v5, 23, v2
	v_cndmask_b32_e64 v3, 0, 1, s[2:3]
	v_add_u32_e32 v5, v5, v3
; %bb.344:
	s_or_b64 exec, exec, s[10:11]
	s_mov_b64 s[10:11], -1
	s_mov_b64 s[2:3], 0
	global_store_byte v[0:1], v5, off
.LBB39_345:
	s_mov_b64 s[12:13], 0
.LBB39_346:
	s_and_b64 vcc, exec, s[12:13]
	s_cbranch_vccz .LBB39_349
; %bb.347:
	v_mov_b32_e32 v3, 29
	v_cmp_eq_u16_sdwa s[12:13], s49, v3 src0_sel:BYTE_0 src1_sel:DWORD
	s_mov_b64 s[2:3], -1
	s_and_b64 vcc, exec, s[12:13]
	s_cbranch_vccz .LBB39_349
; %bb.348:
	v_trunc_f32_e32 v3, v2
	v_mul_f32_e32 v5, 0x2f800000, v3
	v_floor_f32_e32 v5, v5
	v_fmac_f32_e32 v3, 0xcf800000, v5
	v_cvt_u32_f32_e32 v7, v5
	v_cvt_u32_f32_e32 v6, v3
	s_mov_b64 s[10:11], -1
	s_mov_b64 s[2:3], 0
	s_mov_b64 s[12:13], 0
	global_store_dwordx2 v[0:1], v[6:7], off
	s_branch .LBB39_350
.LBB39_349:
	s_mov_b64 s[12:13], 0
.LBB39_350:
	s_and_b64 vcc, exec, s[12:13]
	s_cbranch_vccz .LBB39_366
; %bb.351:
	v_mov_b32_e32 v3, 27
	v_cmp_lt_i16_sdwa s[12:13], s49, v3 src0_sel:BYTE_0 src1_sel:DWORD
	s_mov_b64 s[10:11], -1
	s_and_b64 vcc, exec, s[12:13]
	s_cbranch_vccnz .LBB39_357
; %bb.352:
	v_cmp_gt_i16_sdwa s[12:13], s49, v3 src0_sel:BYTE_0 src1_sel:DWORD
	v_cvt_u32_f32_e32 v3, v2
	s_and_b64 vcc, exec, s[12:13]
	s_cbranch_vccz .LBB39_354
; %bb.353:
	s_mov_b64 s[10:11], 0
	global_store_dword v[0:1], v3, off
.LBB39_354:
	s_andn2_b64 vcc, exec, s[10:11]
	s_cbranch_vccnz .LBB39_356
; %bb.355:
	global_store_short v[0:1], v3, off
.LBB39_356:
	s_mov_b64 s[10:11], 0
.LBB39_357:
	s_andn2_b64 vcc, exec, s[10:11]
	s_cbranch_vccnz .LBB39_365
; %bb.358:
	v_and_b32_e32 v3, 0x7fffffff, v2
	s_mov_b32 s10, 0x43800000
	v_cmp_gt_u32_e32 vcc, s10, v3
	v_mov_b32_e32 v5, 0x80
	s_and_saveexec_b64 s[10:11], vcc
	s_cbranch_execz .LBB39_364
; %bb.359:
	s_mov_b32 s12, 0x3bffffff
	v_cmp_lt_u32_e32 vcc, s12, v3
	s_mov_b64 s[12:13], 0
                                        ; implicit-def: $vgpr3
	s_and_saveexec_b64 s[14:15], vcc
	s_xor_b64 s[14:15], exec, s[14:15]
	s_cbranch_execz .LBB39_593
; %bb.360:
	v_bfe_u32 v3, v2, 20, 1
	s_mov_b32 s16, 0x487ffff
	v_add3_u32 v3, v2, v3, s16
	s_mov_b64 s[12:13], exec
	v_lshrrev_b32_e32 v3, 20, v3
	s_or_saveexec_b64 s[14:15], s[14:15]
                                        ; implicit-def: $sgpr16
	s_xor_b64 exec, exec, s[14:15]
	s_cbranch_execnz .LBB39_594
.LBB39_361:
	s_or_b64 exec, exec, s[14:15]
	v_mov_b32_e32 v5, s16
	s_and_saveexec_b64 s[14:15], s[12:13]
.LBB39_362:
	v_lshrrev_b32_e32 v5, 24, v2
	s_movk_i32 s12, 0x80
	v_and_or_b32 v5, v5, s12, v3
.LBB39_363:
	s_or_b64 exec, exec, s[14:15]
.LBB39_364:
	s_or_b64 exec, exec, s[10:11]
	global_store_byte v[0:1], v5, off
.LBB39_365:
	s_mov_b64 s[10:11], -1
.LBB39_366:
	s_mov_b64 s[12:13], 0
.LBB39_367:
	s_and_b64 vcc, exec, s[12:13]
	s_cbranch_vccz .LBB39_408
; %bb.368:
	v_mov_b32_e32 v3, 22
	v_cmp_gt_i16_sdwa s[14:15], s49, v3 src0_sel:BYTE_0 src1_sel:DWORD
	s_mov_b64 s[12:13], -1
	s_and_b64 vcc, exec, s[14:15]
	s_cbranch_vccz .LBB39_400
; %bb.369:
	v_mov_b32_e32 v3, 24
	v_cmp_lt_i16_sdwa s[12:13], s49, v3 src0_sel:BYTE_0 src1_sel:DWORD
	s_mov_b64 s[10:11], -1
	s_and_b64 vcc, exec, s[12:13]
	s_cbranch_vccnz .LBB39_389
; %bb.370:
	v_cmp_gt_i16_sdwa s[12:13], s49, v3 src0_sel:BYTE_0 src1_sel:DWORD
	s_and_b64 vcc, exec, s[12:13]
	s_cbranch_vccz .LBB39_378
; %bb.371:
	v_and_b32_e32 v3, 0x7fffffff, v2
	s_mov_b32 s10, 0x47800000
	v_cmp_gt_u32_e32 vcc, s10, v3
	v_mov_b32_e32 v5, 0x80
	s_and_saveexec_b64 s[10:11], vcc
	s_cbranch_execz .LBB39_377
; %bb.372:
	s_mov_b32 s12, 0x37ffffff
	v_cmp_lt_u32_e32 vcc, s12, v3
	s_mov_b64 s[12:13], 0
                                        ; implicit-def: $vgpr3
	s_and_saveexec_b64 s[14:15], vcc
	s_xor_b64 s[14:15], exec, s[14:15]
	s_cbranch_execz .LBB39_596
; %bb.373:
	v_bfe_u32 v3, v2, 21, 1
	s_mov_b32 s16, 0x88fffff
	v_add3_u32 v3, v2, v3, s16
	s_mov_b64 s[12:13], exec
	v_lshrrev_b32_e32 v3, 21, v3
	s_or_saveexec_b64 s[14:15], s[14:15]
                                        ; implicit-def: $sgpr16
	s_xor_b64 exec, exec, s[14:15]
	s_cbranch_execnz .LBB39_597
.LBB39_374:
	s_or_b64 exec, exec, s[14:15]
	v_mov_b32_e32 v5, s16
	s_and_saveexec_b64 s[14:15], s[12:13]
.LBB39_375:
	v_lshrrev_b32_e32 v5, 24, v2
	s_movk_i32 s12, 0x80
	v_and_or_b32 v5, v5, s12, v3
.LBB39_376:
	s_or_b64 exec, exec, s[14:15]
.LBB39_377:
	s_or_b64 exec, exec, s[10:11]
	s_mov_b64 s[10:11], 0
	global_store_byte v[0:1], v5, off
.LBB39_378:
	s_and_b64 vcc, exec, s[10:11]
	s_cbranch_vccz .LBB39_388
; %bb.379:
	v_and_b32_e32 v5, 0x7fffffff, v2
	s_mov_b32 s10, 0x43f00000
	v_cmp_gt_u32_e32 vcc, s10, v5
                                        ; implicit-def: $vgpr3
	s_and_saveexec_b64 s[10:11], vcc
	s_xor_b64 s[10:11], exec, s[10:11]
	s_cbranch_execz .LBB39_385
; %bb.380:
	s_mov_b32 s12, 0x3c7fffff
	v_cmp_lt_u32_e32 vcc, s12, v5
                                        ; implicit-def: $vgpr3
	s_and_saveexec_b64 s[12:13], vcc
	s_xor_b64 s[12:13], exec, s[12:13]
; %bb.381:
	v_bfe_u32 v3, v2, 20, 1
	s_mov_b32 s14, 0x407ffff
	v_add3_u32 v3, v2, v3, s14
	v_lshrrev_b32_e32 v5, 20, v3
	v_and_b32_e32 v3, 0xff00000, v3
	s_mov_b32 s14, 0x7f00000
	v_mov_b32_e32 v6, 0x7e
	v_cmp_ne_u32_e32 vcc, s14, v3
	v_cndmask_b32_e32 v3, v6, v5, vcc
; %bb.382:
	s_andn2_saveexec_b64 s[12:13], s[12:13]
; %bb.383:
	s_mov_b32 s14, 0x46800000
	v_add_f32_e64 v3, |v2|, s14
; %bb.384:
	s_or_b64 exec, exec, s[12:13]
                                        ; implicit-def: $vgpr5
.LBB39_385:
	s_andn2_saveexec_b64 s[10:11], s[10:11]
; %bb.386:
	s_mov_b32 s12, 0x7f800000
	v_mov_b32_e32 v3, 0x7e
	v_mov_b32_e32 v6, 0x7f
	v_cmp_lt_u32_e32 vcc, s12, v5
	v_cndmask_b32_e32 v3, v3, v6, vcc
; %bb.387:
	s_or_b64 exec, exec, s[10:11]
	v_lshrrev_b32_e32 v5, 24, v2
	s_movk_i32 s10, 0x80
	v_and_or_b32 v3, v5, s10, v3
	global_store_byte v[0:1], v3, off
.LBB39_388:
	s_mov_b64 s[10:11], 0
.LBB39_389:
	s_andn2_b64 vcc, exec, s[10:11]
	s_cbranch_vccnz .LBB39_399
; %bb.390:
	v_and_b32_e32 v5, 0x7fffffff, v2
	s_mov_b32 s10, 0x47800000
	v_cmp_gt_u32_e32 vcc, s10, v5
                                        ; implicit-def: $vgpr3
	s_and_saveexec_b64 s[10:11], vcc
	s_xor_b64 s[10:11], exec, s[10:11]
	s_cbranch_execz .LBB39_396
; %bb.391:
	s_mov_b32 s12, 0x387fffff
	v_cmp_lt_u32_e32 vcc, s12, v5
                                        ; implicit-def: $vgpr3
	s_and_saveexec_b64 s[12:13], vcc
	s_xor_b64 s[12:13], exec, s[12:13]
; %bb.392:
	v_bfe_u32 v3, v2, 21, 1
	s_mov_b32 s14, 0x80fffff
	v_add3_u32 v3, v2, v3, s14
	v_lshrrev_b32_e32 v3, 21, v3
; %bb.393:
	s_andn2_saveexec_b64 s[12:13], s[12:13]
; %bb.394:
	s_mov_b32 s14, 0x43000000
	v_add_f32_e64 v3, |v2|, s14
; %bb.395:
	s_or_b64 exec, exec, s[12:13]
                                        ; implicit-def: $vgpr5
.LBB39_396:
	s_andn2_saveexec_b64 s[10:11], s[10:11]
; %bb.397:
	s_mov_b32 s12, 0x7f800000
	v_mov_b32_e32 v3, 0x7c
	v_mov_b32_e32 v6, 0x7f
	v_cmp_lt_u32_e32 vcc, s12, v5
	v_cndmask_b32_e32 v3, v3, v6, vcc
; %bb.398:
	s_or_b64 exec, exec, s[10:11]
	v_lshrrev_b32_e32 v5, 24, v2
	s_movk_i32 s10, 0x80
	v_and_or_b32 v3, v5, s10, v3
	global_store_byte v[0:1], v3, off
.LBB39_399:
	s_mov_b64 s[12:13], 0
	s_mov_b64 s[10:11], -1
.LBB39_400:
	s_andn2_b64 vcc, exec, s[12:13]
	s_cbranch_vccnz .LBB39_408
; %bb.401:
	v_mov_b32_e32 v3, 14
	v_cmp_gt_i16_sdwa s[14:15], s49, v3 src0_sel:BYTE_0 src1_sel:DWORD
	s_mov_b64 s[12:13], -1
	s_and_b64 vcc, exec, s[14:15]
	s_cbranch_vccz .LBB39_405
; %bb.402:
	v_mov_b32_e32 v3, 15
	v_cmp_eq_u16_sdwa s[12:13], s49, v3 src0_sel:BYTE_0 src1_sel:DWORD
	s_mov_b64 s[2:3], -1
	s_and_b64 vcc, exec, s[12:13]
	s_cbranch_vccz .LBB39_404
; %bb.403:
	v_bfe_u32 v3, v2, 16, 1
	s_movk_i32 s2, 0x7fff
	v_add3_u32 v3, v2, v3, s2
	v_lshrrev_b32_e32 v3, 16, v3
	v_mov_b32_e32 v5, 0x7fc0
	v_cmp_o_f32_e32 vcc, v2, v2
	v_cndmask_b32_e32 v3, v5, v3, vcc
	global_store_short v[0:1], v3, off
	s_mov_b64 s[10:11], -1
	s_mov_b64 s[2:3], 0
.LBB39_404:
	s_mov_b64 s[12:13], 0
.LBB39_405:
	s_and_b64 vcc, exec, s[12:13]
	s_cbranch_vccz .LBB39_408
; %bb.406:
	v_mov_b32_e32 v3, 11
	v_cmp_eq_u16_sdwa s[12:13], s49, v3 src0_sel:BYTE_0 src1_sel:DWORD
	s_mov_b64 s[2:3], -1
	s_and_b64 vcc, exec, s[12:13]
	s_cbranch_vccz .LBB39_408
; %bb.407:
	v_cmp_neq_f32_e32 vcc, 0, v2
	v_cndmask_b32_e64 v3, 0, 1, vcc
	s_mov_b64 s[10:11], -1
	s_mov_b64 s[2:3], 0
	global_store_byte v[0:1], v3, off
.LBB39_408:
	s_mov_b64 s[12:13], 0
.LBB39_409:
	s_and_b64 vcc, exec, s[12:13]
	s_cbranch_vccz .LBB39_448
; %bb.410:
	v_mov_b32_e32 v3, 5
	v_cmp_lt_i16_sdwa s[12:13], s49, v3 src0_sel:BYTE_0 src1_sel:DWORD
	s_mov_b64 s[10:11], -1
	s_and_b64 vcc, exec, s[12:13]
	s_cbranch_vccnz .LBB39_431
; %bb.411:
	v_mov_b32_e32 v3, 8
	v_cmp_lt_i16_sdwa s[12:13], s49, v3 src0_sel:BYTE_0 src1_sel:DWORD
	s_and_b64 vcc, exec, s[12:13]
	s_cbranch_vccnz .LBB39_421
; %bb.412:
	v_mov_b32_e32 v3, 9
	v_cmp_lt_i16_sdwa s[12:13], s49, v3 src0_sel:BYTE_0 src1_sel:DWORD
	s_and_b64 vcc, exec, s[12:13]
	s_cbranch_vccnz .LBB39_418
; %bb.413:
	v_cmp_gt_i16_sdwa s[12:13], s49, v3 src0_sel:BYTE_0 src1_sel:DWORD
	s_and_b64 vcc, exec, s[12:13]
	s_cbranch_vccz .LBB39_415
; %bb.414:
	v_mov_b32_e32 v8, 0
	v_cvt_f64_f32_e32 v[6:7], v2
	v_mov_b32_e32 v9, v8
	s_mov_b64 s[10:11], 0
	global_store_dwordx4 v[0:1], v[6:9], off
.LBB39_415:
	s_andn2_b64 vcc, exec, s[10:11]
	s_cbranch_vccnz .LBB39_417
; %bb.416:
	v_mov_b32_e32 v3, 0
	global_store_dwordx2 v[0:1], v[2:3], off
.LBB39_417:
	s_mov_b64 s[10:11], 0
.LBB39_418:
	s_andn2_b64 vcc, exec, s[10:11]
	s_cbranch_vccnz .LBB39_420
; %bb.419:
	v_cvt_f16_f32_e32 v3, v2
	global_store_dword v[0:1], v3, off
.LBB39_420:
	s_mov_b64 s[10:11], 0
.LBB39_421:
	s_andn2_b64 vcc, exec, s[10:11]
	s_cbranch_vccnz .LBB39_430
; %bb.422:
	v_mov_b32_e32 v3, 6
	v_cmp_lt_i16_sdwa s[12:13], s49, v3 src0_sel:BYTE_0 src1_sel:DWORD
	s_mov_b64 s[10:11], -1
	s_and_b64 vcc, exec, s[12:13]
	s_cbranch_vccnz .LBB39_428
; %bb.423:
	v_cmp_gt_i16_sdwa s[12:13], s49, v3 src0_sel:BYTE_0 src1_sel:DWORD
	s_and_b64 vcc, exec, s[12:13]
	s_cbranch_vccz .LBB39_425
; %bb.424:
	v_cvt_f64_f32_e32 v[6:7], v2
	s_mov_b64 s[10:11], 0
	global_store_dwordx2 v[0:1], v[6:7], off
.LBB39_425:
	s_andn2_b64 vcc, exec, s[10:11]
	s_cbranch_vccnz .LBB39_427
; %bb.426:
	global_store_dword v[0:1], v2, off
.LBB39_427:
	s_mov_b64 s[10:11], 0
.LBB39_428:
	s_andn2_b64 vcc, exec, s[10:11]
	s_cbranch_vccnz .LBB39_430
; %bb.429:
	v_cvt_f16_f32_e32 v3, v2
	global_store_short v[0:1], v3, off
.LBB39_430:
	s_mov_b64 s[10:11], 0
.LBB39_431:
	s_andn2_b64 vcc, exec, s[10:11]
	s_cbranch_vccnz .LBB39_447
; %bb.432:
	v_mov_b32_e32 v3, 2
	v_cmp_lt_i16_sdwa s[12:13], s49, v3 src0_sel:BYTE_0 src1_sel:DWORD
	s_mov_b64 s[10:11], -1
	s_and_b64 vcc, exec, s[12:13]
	s_cbranch_vccnz .LBB39_442
; %bb.433:
	v_mov_b32_e32 v3, 3
	v_cmp_lt_i16_sdwa s[12:13], s49, v3 src0_sel:BYTE_0 src1_sel:DWORD
	s_and_b64 vcc, exec, s[12:13]
	s_cbranch_vccnz .LBB39_439
; %bb.434:
	v_cmp_gt_i16_sdwa s[12:13], s49, v3 src0_sel:BYTE_0 src1_sel:DWORD
	s_and_b64 vcc, exec, s[12:13]
	s_cbranch_vccz .LBB39_436
; %bb.435:
	v_trunc_f32_e32 v3, v2
	s_mov_b32 s10, 0x2f800000
	v_mul_f32_e64 v5, |v3|, s10
	v_floor_f32_e32 v5, v5
	s_mov_b32 s10, 0xcf800000
	v_cvt_u32_f32_e32 v6, v5
	v_fma_f32 v5, v5, s10, |v3|
	v_cvt_u32_f32_e32 v5, v5
	v_ashrrev_i32_e32 v3, 31, v3
	v_xor_b32_e32 v7, v6, v3
	s_mov_b64 s[10:11], 0
	v_xor_b32_e32 v5, v5, v3
	v_sub_co_u32_e32 v6, vcc, v5, v3
	v_subb_co_u32_e32 v7, vcc, v7, v3, vcc
	global_store_dwordx2 v[0:1], v[6:7], off
.LBB39_436:
	s_andn2_b64 vcc, exec, s[10:11]
	s_cbranch_vccnz .LBB39_438
; %bb.437:
	v_cvt_i32_f32_e32 v3, v2
	global_store_dword v[0:1], v3, off
.LBB39_438:
	s_mov_b64 s[10:11], 0
.LBB39_439:
	s_andn2_b64 vcc, exec, s[10:11]
	s_cbranch_vccnz .LBB39_441
; %bb.440:
	v_cvt_i32_f32_e32 v3, v2
	global_store_short v[0:1], v3, off
.LBB39_441:
	s_mov_b64 s[10:11], 0
.LBB39_442:
	s_andn2_b64 vcc, exec, s[10:11]
	s_cbranch_vccnz .LBB39_447
; %bb.443:
	v_mov_b32_e32 v3, 0
	v_cmp_gt_i16_sdwa s[12:13], s49, v3 src0_sel:BYTE_0 src1_sel:DWORD
	s_mov_b64 s[10:11], -1
	s_and_b64 vcc, exec, s[12:13]
	s_cbranch_vccz .LBB39_445
; %bb.444:
	v_cvt_i32_f32_e32 v3, v2
	s_mov_b64 s[10:11], 0
	global_store_byte v[0:1], v3, off
.LBB39_445:
	s_andn2_b64 vcc, exec, s[10:11]
	s_cbranch_vccnz .LBB39_447
; %bb.446:
	v_trunc_f32_e32 v2, v2
	s_mov_b32 s10, 0x2f800000
	v_mul_f32_e64 v3, |v2|, s10
	v_floor_f32_e32 v3, v3
	s_mov_b32 s10, 0xcf800000
	v_fma_f32 v3, v3, s10, |v2|
	v_cvt_u32_f32_e32 v3, v3
	v_ashrrev_i32_e32 v2, 31, v2
	v_xor_b32_e32 v3, v3, v2
	v_sub_u32_e32 v2, v3, v2
	global_store_byte v[0:1], v2, off
.LBB39_447:
	s_mov_b64 s[10:11], -1
.LBB39_448:
	s_andn2_b64 vcc, exec, s[10:11]
	s_cbranch_vccnz .LBB39_450
; %bb.449:
	v_add_u32_e32 v13, 0x80, v13
	s_mov_b64 s[10:11], -1
	s_branch .LBB39_563
.LBB39_450:
	s_mov_b64 s[10:11], 0
	s_branch .LBB39_562
.LBB39_451:
	s_mov_b64 s[8:9], -1
                                        ; implicit-def: $vgpr1
.LBB39_452:
	s_mov_b64 s[10:11], 0
.LBB39_453:
	s_and_b64 vcc, exec, s[10:11]
	s_cbranch_vccz .LBB39_457
; %bb.454:
	v_cmp_eq_u16_e32 vcc, 29, v4
	s_cbranch_vccz .LBB39_456
; %bb.455:
	global_load_dwordx2 v[6:7], v[2:3], off
	s_mov_b64 s[2:3], -1
	s_mov_b64 s[8:9], 0
	s_mov_b64 s[10:11], 0
	s_waitcnt vmcnt(0)
	v_ffbh_u32_e32 v1, v7
	v_min_u32_e32 v1, 32, v1
	v_lshlrev_b64 v[6:7], v1, v[6:7]
	v_min_u32_e32 v5, 1, v6
	v_or_b32_e32 v5, v7, v5
	v_cvt_f32_u32_e32 v5, v5
	v_sub_u32_e32 v1, 32, v1
	v_ldexp_f32 v1, v5, v1
	s_branch .LBB39_458
.LBB39_456:
	s_mov_b64 s[8:9], -1
                                        ; implicit-def: $vgpr1
.LBB39_457:
	s_mov_b64 s[10:11], 0
.LBB39_458:
	s_and_b64 vcc, exec, s[10:11]
	s_cbranch_vccz .LBB39_476
; %bb.459:
	v_cmp_gt_i16_e32 vcc, 27, v4
	s_cbranch_vccnz .LBB39_462
; %bb.460:
	v_cmp_lt_i16_e32 vcc, 27, v4
	s_cbranch_vccz .LBB39_463
; %bb.461:
	global_load_dword v1, v[2:3], off
	s_mov_b64 s[2:3], 0
	s_waitcnt vmcnt(0)
	v_cvt_f32_u32_e32 v1, v1
	s_branch .LBB39_464
.LBB39_462:
	s_mov_b64 s[2:3], -1
                                        ; implicit-def: $vgpr1
	s_branch .LBB39_467
.LBB39_463:
	s_mov_b64 s[2:3], -1
                                        ; implicit-def: $vgpr1
.LBB39_464:
	s_andn2_b64 vcc, exec, s[2:3]
	s_cbranch_vccnz .LBB39_466
; %bb.465:
	global_load_ushort v1, v[2:3], off
	s_waitcnt vmcnt(0)
	v_cvt_f32_u32_e32 v1, v1
.LBB39_466:
	s_mov_b64 s[2:3], 0
.LBB39_467:
	s_andn2_b64 vcc, exec, s[2:3]
	s_cbranch_vccnz .LBB39_475
; %bb.468:
	global_load_ubyte v5, v[2:3], off
	s_movk_i32 s2, 0x7f
                                        ; implicit-def: $sgpr14
	s_waitcnt vmcnt(0)
	v_cmp_lt_i16_e32 vcc, s2, v5
	s_mov_b64 s[2:3], 0
	s_and_saveexec_b64 s[10:11], vcc
	s_xor_b64 s[10:11], exec, s[10:11]
	s_cbranch_execz .LBB39_489
; %bb.469:
	s_movk_i32 s2, 0x80
	v_cmp_eq_u16_e32 vcc, s2, v5
	s_mov_b64 s[2:3], -1
                                        ; implicit-def: $sgpr14
	s_and_saveexec_b64 s[12:13], vcc
; %bb.470:
	s_mov_b32 s14, 0x7f800001
	s_xor_b64 s[2:3], exec, -1
; %bb.471:
	s_or_b64 exec, exec, s[12:13]
	s_and_b64 s[2:3], s[2:3], exec
	s_or_saveexec_b64 s[10:11], s[10:11]
	v_mov_b32_e32 v1, s14
	s_xor_b64 exec, exec, s[10:11]
	s_cbranch_execnz .LBB39_490
.LBB39_472:
	s_or_b64 exec, exec, s[10:11]
	s_and_saveexec_b64 s[10:11], s[2:3]
	s_cbranch_execz .LBB39_474
.LBB39_473:
	v_lshlrev_b32_e32 v1, 24, v5
	v_and_b32_e32 v5, 0xffff, v5
	v_and_b32_e32 v6, 7, v5
	v_ffbh_u32_e32 v8, v6
	v_min_u32_e32 v8, 32, v8
	v_subrev_u32_e32 v9, 28, v8
	v_bfe_u32 v7, v5, 3, 4
	v_lshlrev_b32_e32 v5, v9, v5
	v_sub_u32_e32 v8, 29, v8
	v_and_b32_e32 v5, 7, v5
	v_cmp_eq_u32_e32 vcc, 0, v7
	v_cndmask_b32_e32 v7, v7, v8, vcc
	v_cndmask_b32_e32 v5, v6, v5, vcc
	v_mov_b32_e32 v6, 0x3b800000
	v_lshlrev_b32_e32 v5, 20, v5
	v_and_b32_e32 v1, 0x80000000, v1
	v_lshl_add_u32 v6, v7, 23, v6
	v_or3_b32 v1, v1, v6, v5
.LBB39_474:
	s_or_b64 exec, exec, s[10:11]
.LBB39_475:
	s_mov_b64 s[2:3], -1
.LBB39_476:
	s_mov_b64 s[10:11], 0
.LBB39_477:
	s_and_b64 vcc, exec, s[10:11]
	s_cbranch_vccz .LBB39_512
; %bb.478:
	v_cmp_lt_i16_e32 vcc, 22, v4
	s_cbranch_vccz .LBB39_488
; %bb.479:
	v_cmp_gt_i16_e32 vcc, 24, v4
	s_cbranch_vccnz .LBB39_491
; %bb.480:
	v_cmp_lt_i16_e32 vcc, 24, v4
	s_cbranch_vccz .LBB39_492
; %bb.481:
	global_load_ubyte v5, v[2:3], off
	s_movk_i32 s2, 0x7f
                                        ; implicit-def: $sgpr14
	s_waitcnt vmcnt(0)
	v_cmp_lt_i16_e32 vcc, s2, v5
	s_mov_b64 s[2:3], 0
	s_and_saveexec_b64 s[10:11], vcc
	s_xor_b64 s[10:11], exec, s[10:11]
	s_cbranch_execz .LBB39_504
; %bb.482:
	s_movk_i32 s2, 0x80
	v_cmp_eq_u16_e32 vcc, s2, v5
	s_mov_b64 s[2:3], -1
                                        ; implicit-def: $sgpr14
	s_and_saveexec_b64 s[12:13], vcc
; %bb.483:
	s_mov_b32 s14, 0x7f800001
	s_xor_b64 s[2:3], exec, -1
; %bb.484:
	s_or_b64 exec, exec, s[12:13]
	s_and_b64 s[2:3], s[2:3], exec
	s_or_saveexec_b64 s[10:11], s[10:11]
	v_mov_b32_e32 v1, s14
	s_xor_b64 exec, exec, s[10:11]
	s_cbranch_execnz .LBB39_505
.LBB39_485:
	s_or_b64 exec, exec, s[10:11]
	s_and_saveexec_b64 s[10:11], s[2:3]
	s_cbranch_execz .LBB39_487
.LBB39_486:
	v_lshlrev_b32_e32 v1, 24, v5
	v_and_b32_e32 v5, 0xffff, v5
	v_and_b32_e32 v6, 3, v5
	v_ffbh_u32_e32 v8, v6
	v_min_u32_e32 v8, 32, v8
	v_subrev_u32_e32 v9, 29, v8
	v_bfe_u32 v7, v5, 2, 5
	v_lshlrev_b32_e32 v5, v9, v5
	v_sub_u32_e32 v8, 30, v8
	v_and_b32_e32 v5, 3, v5
	v_cmp_eq_u32_e32 vcc, 0, v7
	v_cndmask_b32_e32 v7, v7, v8, vcc
	v_cndmask_b32_e32 v5, v6, v5, vcc
	v_mov_b32_e32 v6, 0x37800000
	v_lshlrev_b32_e32 v5, 21, v5
	v_and_b32_e32 v1, 0x80000000, v1
	v_lshl_add_u32 v6, v7, 23, v6
	v_or3_b32 v1, v1, v6, v5
.LBB39_487:
	s_or_b64 exec, exec, s[10:11]
	s_mov_b64 s[2:3], 0
	s_branch .LBB39_493
.LBB39_488:
	s_mov_b64 s[10:11], -1
                                        ; implicit-def: $vgpr1
	s_branch .LBB39_499
.LBB39_489:
	s_or_saveexec_b64 s[10:11], s[10:11]
	v_mov_b32_e32 v1, s14
	s_xor_b64 exec, exec, s[10:11]
	s_cbranch_execz .LBB39_472
.LBB39_490:
	v_cmp_ne_u16_e32 vcc, 0, v5
	s_andn2_b64 s[2:3], s[2:3], exec
	s_and_b64 s[12:13], vcc, exec
	v_mov_b32_e32 v1, 0
	s_or_b64 s[2:3], s[2:3], s[12:13]
	s_or_b64 exec, exec, s[10:11]
	s_and_saveexec_b64 s[10:11], s[2:3]
	s_cbranch_execnz .LBB39_473
	s_branch .LBB39_474
.LBB39_491:
	s_mov_b64 s[2:3], -1
                                        ; implicit-def: $vgpr1
	s_branch .LBB39_496
.LBB39_492:
	s_mov_b64 s[2:3], -1
                                        ; implicit-def: $vgpr1
.LBB39_493:
	s_and_b64 vcc, exec, s[2:3]
	s_cbranch_vccz .LBB39_495
; %bb.494:
	global_load_ubyte v1, v[2:3], off
	s_mov_b32 s2, 0x7f800000
	s_waitcnt vmcnt(0)
	v_lshlrev_b32_e32 v1, 24, v1
	v_and_b32_e32 v5, 0x7f000000, v1
	v_ffbh_u32_e32 v6, v5
	v_min_u32_e32 v6, 32, v6
	v_sub_u32_e64 v6, v6, 4 clamp
	v_lshlrev_b32_e32 v8, v6, v5
	v_lshlrev_b32_e32 v6, 23, v6
	v_lshrrev_b32_e32 v8, 4, v8
	v_add_u32_e32 v7, 0x1000000, v5
	v_sub_u32_e32 v6, v8, v6
	v_ashrrev_i32_e32 v7, 8, v7
	v_add_u32_e32 v6, 0x3c000000, v6
	v_and_or_b32 v6, v7, s2, v6
	v_cmp_ne_u32_e32 vcc, 0, v5
	v_cndmask_b32_e32 v5, 0, v6, vcc
	s_brev_b32 s2, 1
	v_and_or_b32 v1, v1, s2, v5
.LBB39_495:
	s_mov_b64 s[2:3], 0
.LBB39_496:
	s_andn2_b64 vcc, exec, s[2:3]
	s_cbranch_vccnz .LBB39_498
; %bb.497:
	global_load_ubyte v1, v[2:3], off
	s_movk_i32 s2, 0x7f00
	s_brev_b32 s3, 16
	s_waitcnt vmcnt(0)
	v_lshlrev_b16_e32 v5, 8, v1
	v_lshlrev_b32_e32 v1, 25, v1
	v_lshrrev_b32_e32 v6, 4, v1
	v_and_or_b32 v7, v5, s2, 0.5
	v_or_b32_e32 v6, 0x70000000, v6
	v_add_f32_e32 v7, -0.5, v7
	v_mul_f32_e32 v6, 0x7800000, v6
	v_cmp_gt_u32_e32 vcc, s3, v1
	v_bfe_i32 v5, v5, 0, 16
	v_cndmask_b32_e32 v1, v6, v7, vcc
	s_brev_b32 s2, 1
	v_and_or_b32 v1, v5, s2, v1
.LBB39_498:
	s_mov_b64 s[10:11], 0
	s_mov_b64 s[2:3], -1
.LBB39_499:
	s_andn2_b64 vcc, exec, s[10:11]
	s_cbranch_vccnz .LBB39_512
; %bb.500:
	v_cmp_lt_i16_e32 vcc, 14, v4
	s_cbranch_vccz .LBB39_503
; %bb.501:
	v_cmp_eq_u16_e32 vcc, 15, v4
	s_cbranch_vccz .LBB39_506
; %bb.502:
	global_load_ushort v1, v[2:3], off
	s_mov_b64 s[2:3], -1
	s_mov_b64 s[8:9], 0
	s_waitcnt vmcnt(0)
	v_lshlrev_b32_e32 v1, 16, v1
	s_branch .LBB39_507
.LBB39_503:
	s_mov_b64 s[10:11], -1
                                        ; implicit-def: $vgpr1
	s_branch .LBB39_508
.LBB39_504:
	s_or_saveexec_b64 s[10:11], s[10:11]
	v_mov_b32_e32 v1, s14
	s_xor_b64 exec, exec, s[10:11]
	s_cbranch_execz .LBB39_485
.LBB39_505:
	v_cmp_ne_u16_e32 vcc, 0, v5
	s_andn2_b64 s[2:3], s[2:3], exec
	s_and_b64 s[12:13], vcc, exec
	v_mov_b32_e32 v1, 0
	s_or_b64 s[2:3], s[2:3], s[12:13]
	s_or_b64 exec, exec, s[10:11]
	s_and_saveexec_b64 s[10:11], s[2:3]
	s_cbranch_execnz .LBB39_486
	s_branch .LBB39_487
.LBB39_506:
	s_mov_b64 s[8:9], -1
                                        ; implicit-def: $vgpr1
.LBB39_507:
	s_mov_b64 s[10:11], 0
.LBB39_508:
	s_and_b64 vcc, exec, s[10:11]
	s_cbranch_vccz .LBB39_512
; %bb.509:
	v_cmp_eq_u16_e32 vcc, 11, v4
	s_cbranch_vccz .LBB39_511
; %bb.510:
	global_load_ubyte v1, v[2:3], off
	s_mov_b64 s[2:3], -1
	s_mov_b64 s[8:9], 0
	s_waitcnt vmcnt(0)
	v_cmp_ne_u16_e32 vcc, 0, v1
	v_cndmask_b32_e64 v1, 0, 1.0, vcc
	s_branch .LBB39_512
.LBB39_511:
	s_mov_b64 s[8:9], -1
                                        ; implicit-def: $vgpr1
.LBB39_512:
	s_branch .LBB39_305
.LBB39_513:
	v_cmp_gt_i16_e32 vcc, 5, v4
	s_cbranch_vccnz .LBB39_518
; %bb.514:
	v_cmp_gt_i16_e32 vcc, 8, v4
	s_cbranch_vccnz .LBB39_519
; %bb.515:
	v_cmp_gt_i16_e32 vcc, 9, v4
	s_cbranch_vccnz .LBB39_520
; %bb.516:
	v_cmp_lt_i16_e32 vcc, 9, v4
	s_cbranch_vccz .LBB39_521
; %bb.517:
	global_load_dwordx2 v[6:7], v[2:3], off
	s_mov_b64 s[2:3], 0
	s_waitcnt vmcnt(0)
	v_cvt_f32_f64_e32 v1, v[6:7]
	s_branch .LBB39_522
.LBB39_518:
	s_mov_b64 s[2:3], -1
                                        ; implicit-def: $vgpr1
	s_branch .LBB39_540
.LBB39_519:
	s_mov_b64 s[2:3], -1
                                        ; implicit-def: $vgpr1
	s_branch .LBB39_528
.LBB39_520:
	s_mov_b64 s[2:3], -1
                                        ; implicit-def: $vgpr1
	s_branch .LBB39_525
.LBB39_521:
	s_mov_b64 s[2:3], -1
                                        ; implicit-def: $vgpr1
.LBB39_522:
	s_andn2_b64 vcc, exec, s[2:3]
	s_cbranch_vccnz .LBB39_524
; %bb.523:
	global_load_dword v1, v[2:3], off
.LBB39_524:
	s_mov_b64 s[2:3], 0
.LBB39_525:
	s_andn2_b64 vcc, exec, s[2:3]
	s_cbranch_vccnz .LBB39_527
; %bb.526:
	global_load_dword v1, v[2:3], off
	s_waitcnt vmcnt(0)
	v_cvt_f32_f16_e32 v1, v1
.LBB39_527:
	s_mov_b64 s[2:3], 0
.LBB39_528:
	s_andn2_b64 vcc, exec, s[2:3]
	s_cbranch_vccnz .LBB39_539
; %bb.529:
	v_cmp_gt_i16_e32 vcc, 6, v4
	s_cbranch_vccnz .LBB39_532
; %bb.530:
	v_cmp_lt_i16_e32 vcc, 6, v4
	s_cbranch_vccz .LBB39_533
; %bb.531:
	global_load_dwordx2 v[6:7], v[2:3], off
	s_mov_b64 s[2:3], 0
	s_waitcnt vmcnt(0)
	v_cvt_f32_f64_e32 v1, v[6:7]
	s_branch .LBB39_534
.LBB39_532:
	s_mov_b64 s[2:3], -1
                                        ; implicit-def: $vgpr1
	s_branch .LBB39_537
.LBB39_533:
	s_mov_b64 s[2:3], -1
                                        ; implicit-def: $vgpr1
.LBB39_534:
	s_andn2_b64 vcc, exec, s[2:3]
	s_cbranch_vccnz .LBB39_536
; %bb.535:
	global_load_dword v1, v[2:3], off
.LBB39_536:
	s_mov_b64 s[2:3], 0
.LBB39_537:
	s_andn2_b64 vcc, exec, s[2:3]
	s_cbranch_vccnz .LBB39_539
; %bb.538:
	global_load_ushort v1, v[2:3], off
	s_waitcnt vmcnt(0)
	v_cvt_f32_f16_e32 v1, v1
.LBB39_539:
	s_mov_b64 s[2:3], 0
.LBB39_540:
	s_andn2_b64 vcc, exec, s[2:3]
	s_cbranch_vccnz .LBB39_560
; %bb.541:
	v_cmp_gt_i16_e32 vcc, 2, v4
	s_cbranch_vccnz .LBB39_545
; %bb.542:
	v_cmp_gt_i16_e32 vcc, 3, v4
	s_cbranch_vccnz .LBB39_546
; %bb.543:
	v_cmp_lt_i16_e32 vcc, 3, v4
	s_cbranch_vccz .LBB39_547
; %bb.544:
	global_load_dwordx2 v[6:7], v[2:3], off
	s_mov_b64 s[2:3], 0
	s_waitcnt vmcnt(0)
	v_xor_b32_e32 v5, v6, v7
	v_ffbh_i32_e32 v1, v7
	v_ashrrev_i32_e32 v5, 31, v5
	v_add_u32_e32 v1, -1, v1
	v_add_u32_e32 v5, 32, v5
	v_min_u32_e32 v1, v1, v5
	v_lshlrev_b64 v[6:7], v1, v[6:7]
	v_min_u32_e32 v5, 1, v6
	v_or_b32_e32 v5, v7, v5
	v_cvt_f32_i32_e32 v5, v5
	v_sub_u32_e32 v1, 32, v1
	v_ldexp_f32 v1, v5, v1
	s_branch .LBB39_548
.LBB39_545:
	s_mov_b64 s[2:3], -1
                                        ; implicit-def: $vgpr1
	s_branch .LBB39_554
.LBB39_546:
	s_mov_b64 s[2:3], -1
                                        ; implicit-def: $vgpr1
	s_branch .LBB39_551
.LBB39_547:
	s_mov_b64 s[2:3], -1
                                        ; implicit-def: $vgpr1
.LBB39_548:
	s_andn2_b64 vcc, exec, s[2:3]
	s_cbranch_vccnz .LBB39_550
; %bb.549:
	global_load_dword v1, v[2:3], off
	s_waitcnt vmcnt(0)
	v_cvt_f32_i32_e32 v1, v1
.LBB39_550:
	s_mov_b64 s[2:3], 0
.LBB39_551:
	s_andn2_b64 vcc, exec, s[2:3]
	s_cbranch_vccnz .LBB39_553
; %bb.552:
	global_load_sshort v1, v[2:3], off
	s_waitcnt vmcnt(0)
	v_cvt_f32_i32_e32 v1, v1
.LBB39_553:
	s_mov_b64 s[2:3], 0
.LBB39_554:
	s_andn2_b64 vcc, exec, s[2:3]
	s_cbranch_vccnz .LBB39_560
; %bb.555:
	v_cmp_lt_i16_e32 vcc, 0, v4
	s_cbranch_vccz .LBB39_557
; %bb.556:
	global_load_sbyte v1, v[2:3], off
	s_mov_b64 s[2:3], 0
	s_waitcnt vmcnt(0)
	v_cvt_f32_i32_e32 v1, v1
	s_branch .LBB39_558
.LBB39_557:
	s_mov_b64 s[2:3], -1
                                        ; implicit-def: $vgpr1
.LBB39_558:
	s_andn2_b64 vcc, exec, s[2:3]
	s_cbranch_vccnz .LBB39_560
; %bb.559:
	global_load_ubyte v1, v[2:3], off
	s_waitcnt vmcnt(0)
	v_cvt_f32_ubyte0_e32 v1, v1
.LBB39_560:
	s_branch .LBB39_306
.LBB39_561:
	s_mov_b64 s[10:11], 0
	s_mov_b64 s[2:3], s[62:63]
.LBB39_562:
                                        ; implicit-def: $vgpr13
.LBB39_563:
	s_andn2_b64 s[12:13], s[62:63], exec
	s_and_b64 s[2:3], s[2:3], exec
	s_or_b64 s[70:71], s[12:13], s[2:3]
	s_andn2_b64 s[2:3], s[64:65], exec
	s_and_b64 s[8:9], s[8:9], exec
	s_or_b64 s[68:69], s[2:3], s[8:9]
	s_orn2_b64 s[2:3], s[10:11], exec
.LBB39_564:
	s_or_b64 exec, exec, s[72:73]
	s_mov_b64 s[8:9], 0
	s_mov_b64 s[12:13], 0
	;; [unrolled: 1-line block ×3, first 2 shown]
                                        ; implicit-def: $vgpr2_vgpr3
                                        ; implicit-def: $vgpr0
                                        ; implicit-def: $vgpr6
	s_and_saveexec_b64 s[72:73], s[2:3]
	s_cbranch_execz .LBB39_951
; %bb.565:
	v_cmp_gt_i32_e32 vcc, s80, v13
	s_mov_b64 s[10:11], -1
	s_mov_b64 s[2:3], s[68:69]
	s_mov_b64 s[76:77], s[70:71]
	s_and_saveexec_b64 s[74:75], vcc
	s_cbranch_execz .LBB39_850
; %bb.566:
	s_andn2_b64 vcc, exec, s[44:45]
	s_cbranch_vccnz .LBB39_572
; %bb.567:
	s_mov_b32 s2, 0
	s_andn2_b64 vcc, exec, s[60:61]
	v_mov_b32_e32 v2, 0
	v_mov_b32_e32 v0, 0
	s_cbranch_vccnz .LBB39_578
; %bb.568:
	s_add_i32 s48, s81, 1
	s_cmp_eq_u32 s82, 2
	s_cbranch_scc1 .LBB39_573
; %bb.569:
	s_and_b32 s2, s48, 28
	s_mov_b32 s3, 0
	v_mov_b32_e32 v0, 0
	s_mov_b64 s[76:77], s[34:35]
	s_mov_b64 s[78:79], s[58:59]
	v_mov_b32_e32 v3, v13
	v_mov_b32_e32 v2, 0
.LBB39_570:                             ; =>This Inner Loop Header: Depth=1
	s_load_dwordx8 s[16:23], s[76:77], 0x4
	s_load_dwordx4 s[40:43], s[76:77], 0x24
	s_load_dwordx8 s[8:15], s[78:79], 0x0
	s_add_u32 s76, s76, 48
	s_addc_u32 s77, s77, 0
	s_waitcnt vmcnt(0) lgkmcnt(0)
	v_mul_hi_u32 v1, s17, v3
	v_add_u32_e32 v1, v3, v1
	v_lshrrev_b32_e32 v1, s18, v1
	v_mul_lo_u32 v5, v1, s16
	v_mul_hi_u32 v6, s20, v1
	v_sub_u32_e32 v3, v3, v5
	v_add_u32_e32 v5, v1, v6
	v_lshrrev_b32_e32 v5, s21, v5
	v_mul_lo_u32 v7, v5, s19
	v_mul_hi_u32 v8, s23, v5
	v_sub_u32_e32 v1, v1, v7
	v_add_u32_e32 v7, v5, v8
	v_mul_lo_u32 v6, v3, s9
	v_mul_lo_u32 v3, v3, s8
	;; [unrolled: 1-line block ×4, first 2 shown]
	v_lshrrev_b32_e32 v7, s40, v7
	v_add3_u32 v0, v3, v0, v1
	v_mul_hi_u32 v3, s42, v7
	v_add_u32_e32 v3, v7, v3
	v_lshrrev_b32_e32 v3, s43, v3
	s_add_i32 s3, s3, 4
	v_add3_u32 v1, v6, v2, v8
	v_mul_lo_u32 v2, v7, s22
	v_mul_lo_u32 v6, v3, s41
	s_add_u32 s78, s78, 32
	v_sub_u32_e32 v2, v5, v2
	v_sub_u32_e32 v6, v7, v6
	s_addc_u32 s79, s79, 0
	v_mul_lo_u32 v5, v2, s12
	v_mul_lo_u32 v2, v2, s13
	;; [unrolled: 1-line block ×4, first 2 shown]
	s_cmp_eq_u32 s2, s3
	v_add3_u32 v2, v2, v1, v6
	v_add3_u32 v0, v5, v0, v7
	s_cbranch_scc0 .LBB39_570
; %bb.571:
	v_mov_b32_e32 v1, v2
	s_branch .LBB39_574
.LBB39_572:
	s_mov_b64 s[2:3], -1
                                        ; implicit-def: $vgpr2
                                        ; implicit-def: $vgpr0
	s_branch .LBB39_579
.LBB39_573:
	s_mov_b32 s3, s2
	s_waitcnt vmcnt(0)
	v_pk_mov_b32 v[0:1], s[2:3], s[2:3] op_sel:[0,1]
                                        ; implicit-def: $vgpr2
	v_mov_b32_e32 v3, v13
.LBB39_574:
	s_and_b32 s10, s48, 3
	s_cmp_eq_u32 s10, 0
	s_cbranch_scc1 .LBB39_578
; %bb.575:
	s_lshl_b32 s3, s2, 3
	s_add_u32 s3, s3, s34
	s_addc_u32 s9, s35, 0
	s_add_u32 s8, s3, 0xc4
	s_addc_u32 s9, s9, 0
	s_mul_i32 s2, s2, 12
	s_add_u32 s2, s34, s2
	s_addc_u32 s3, s35, 0
.LBB39_576:                             ; =>This Inner Loop Header: Depth=1
	s_load_dwordx2 s[12:13], s[2:3], 0x4
	s_load_dword s11, s[2:3], 0xc
	s_load_dwordx2 s[14:15], s[8:9], 0x0
	v_mov_b32_e32 v2, v1
	s_add_u32 s2, s2, 12
	s_waitcnt lgkmcnt(0)
	v_mul_hi_u32 v1, s13, v3
	v_add_u32_e32 v1, v3, v1
	v_lshrrev_b32_e32 v1, s11, v1
	s_addc_u32 s3, s3, 0
	v_mul_lo_u32 v5, v1, s12
	s_add_u32 s8, s8, 8
	v_sub_u32_e32 v5, v3, v5
	v_mov_b32_e32 v3, v1
	s_addc_u32 s9, s9, 0
	s_add_i32 s10, s10, -1
	v_mad_u64_u32 v[6:7], s[12:13], v5, s15, v[2:3]
	v_mad_u64_u32 v[0:1], s[12:13], v5, s14, v[0:1]
	s_cmp_lg_u32 s10, 0
	v_mov_b32_e32 v1, v6
	s_cbranch_scc1 .LBB39_576
; %bb.577:
	v_mov_b32_e32 v2, v1
.LBB39_578:
	s_mov_b64 s[2:3], 0
.LBB39_579:
	s_andn2_b64 vcc, exec, s[2:3]
	s_cbranch_vccnz .LBB39_582
; %bb.580:
	v_mul_hi_u32 v0, s29, v13
	v_add_u32_e32 v0, v13, v0
	s_waitcnt vmcnt(0)
	v_lshrrev_b32_e32 v1, s30, v0
	v_mul_lo_u32 v0, v1, s28
	v_sub_u32_e32 v0, v13, v0
	s_waitcnt lgkmcnt(0)
	v_mul_lo_u32 v2, v0, s37
	s_andn2_b64 vcc, exec, s[56:57]
	v_mul_lo_u32 v0, v0, s36
	s_cbranch_vccnz .LBB39_582
; %bb.581:
	v_mul_hi_u32 v3, s54, v1
	v_add_u32_e32 v3, v1, v3
	v_lshrrev_b32_e32 v3, s55, v3
	v_mul_lo_u32 v3, v3, s31
	v_sub_u32_e32 v3, v1, v3
	v_mad_u64_u32 v[0:1], s[2:3], v3, s38, v[0:1]
	v_mad_u64_u32 v[2:3], s[2:3], v3, s39, v[2:3]
.LBB39_582:
	s_waitcnt vmcnt(0) lgkmcnt(0)
	v_mov_b32_e32 v1, s27
	v_add_co_u32_e32 v2, vcc, s26, v2
	v_addc_co_u32_e32 v3, vcc, 0, v1, vcc
	v_cmp_gt_i16_e32 vcc, 11, v4
	s_cbranch_vccnz .LBB39_589
; %bb.583:
	v_cmp_lt_i16_e32 vcc, 25, v4
	s_cbranch_vccz .LBB39_590
; %bb.584:
	v_cmp_lt_i16_e32 vcc, 28, v4
	s_cbranch_vccz .LBB39_591
	;; [unrolled: 3-line block ×4, first 2 shown]
; %bb.587:
	v_cmp_eq_u16_e32 vcc, 46, v4
	s_mov_b64 s[10:11], 0
	s_cbranch_vccz .LBB39_598
; %bb.588:
	global_load_dword v1, v[2:3], off
	s_mov_b64 s[2:3], -1
	s_mov_b64 s[8:9], 0
	s_waitcnt vmcnt(0)
	v_lshlrev_b32_e32 v1, 16, v1
	s_branch .LBB39_599
.LBB39_589:
	s_mov_b64 s[10:11], -1
	s_mov_b64 s[2:3], 0
                                        ; implicit-def: $vgpr1
	s_mov_b64 s[8:9], s[68:69]
	s_branch .LBB39_664
.LBB39_590:
	s_mov_b64 s[10:11], -1
	s_mov_b64 s[2:3], 0
	s_mov_b64 s[8:9], s[68:69]
                                        ; implicit-def: $vgpr1
	s_branch .LBB39_628
.LBB39_591:
	s_mov_b64 s[10:11], -1
	s_mov_b64 s[2:3], 0
	s_mov_b64 s[8:9], s[68:69]
                                        ; implicit-def: $vgpr1
	s_branch .LBB39_609
.LBB39_592:
	s_mov_b64 s[10:11], -1
	s_mov_b64 s[2:3], 0
	s_mov_b64 s[8:9], s[68:69]
                                        ; implicit-def: $vgpr1
	s_branch .LBB39_604
.LBB39_593:
	s_or_saveexec_b64 s[14:15], s[14:15]
                                        ; implicit-def: $sgpr16
	s_xor_b64 exec, exec, s[14:15]
	s_cbranch_execz .LBB39_361
.LBB39_594:
	s_mov_b32 s16, 0x46000000
	v_add_f32_e64 v3, |v2|, s16
	v_and_b32_e32 v3, 0xff, v3
	v_cmp_ne_u32_e32 vcc, 0, v3
	s_andn2_b64 s[12:13], s[12:13], exec
	s_and_b64 s[18:19], vcc, exec
	s_mov_b32 s16, 0
	s_or_b64 s[12:13], s[12:13], s[18:19]
	s_or_b64 exec, exec, s[14:15]
	v_mov_b32_e32 v5, s16
	s_and_saveexec_b64 s[14:15], s[12:13]
	s_cbranch_execnz .LBB39_362
	s_branch .LBB39_363
.LBB39_595:
	s_mov_b64 s[10:11], -1
	s_mov_b64 s[2:3], 0
	s_mov_b64 s[8:9], s[68:69]
                                        ; implicit-def: $vgpr1
	s_branch .LBB39_599
.LBB39_596:
	s_or_saveexec_b64 s[14:15], s[14:15]
                                        ; implicit-def: $sgpr16
	s_xor_b64 exec, exec, s[14:15]
	s_cbranch_execz .LBB39_374
.LBB39_597:
	s_mov_b32 s16, 0x42800000
	v_add_f32_e64 v3, |v2|, s16
	v_and_b32_e32 v3, 0xff, v3
	v_cmp_ne_u32_e32 vcc, 0, v3
	s_andn2_b64 s[12:13], s[12:13], exec
	s_and_b64 s[18:19], vcc, exec
	s_mov_b32 s16, 0
	s_or_b64 s[12:13], s[12:13], s[18:19]
	s_or_b64 exec, exec, s[14:15]
	v_mov_b32_e32 v5, s16
	s_and_saveexec_b64 s[14:15], s[12:13]
	s_cbranch_execnz .LBB39_375
	s_branch .LBB39_376
.LBB39_598:
	s_mov_b64 s[8:9], -1
                                        ; implicit-def: $vgpr1
	s_mov_b64 s[2:3], 0
.LBB39_599:
	s_and_b64 vcc, exec, s[10:11]
	s_cbranch_vccz .LBB39_603
; %bb.600:
	v_cmp_eq_u16_e32 vcc, 44, v4
	s_cbranch_vccz .LBB39_602
; %bb.601:
	global_load_ubyte v1, v[2:3], off
	s_movk_i32 s8, 0xff
	v_mov_b32_e32 v5, 0x7f800001
	v_mov_b32_e32 v6, 0x400000
	s_mov_b64 s[2:3], -1
	s_waitcnt vmcnt(0)
	v_lshlrev_b32_e32 v7, 23, v1
	v_cmp_ne_u32_e32 vcc, s8, v1
	v_cndmask_b32_e32 v5, v5, v7, vcc
	v_cmp_ne_u32_e32 vcc, 0, v1
	v_cndmask_b32_e32 v1, v6, v5, vcc
	s_mov_b64 s[8:9], 0
	s_branch .LBB39_603
.LBB39_602:
	s_mov_b64 s[8:9], -1
                                        ; implicit-def: $vgpr1
.LBB39_603:
	s_mov_b64 s[10:11], 0
.LBB39_604:
	s_and_b64 vcc, exec, s[10:11]
	s_cbranch_vccz .LBB39_608
; %bb.605:
	v_cmp_eq_u16_e32 vcc, 29, v4
	s_cbranch_vccz .LBB39_607
; %bb.606:
	global_load_dwordx2 v[6:7], v[2:3], off
	s_mov_b64 s[2:3], -1
	s_mov_b64 s[8:9], 0
	s_mov_b64 s[10:11], 0
	s_waitcnt vmcnt(0)
	v_ffbh_u32_e32 v1, v7
	v_min_u32_e32 v1, 32, v1
	v_lshlrev_b64 v[6:7], v1, v[6:7]
	v_min_u32_e32 v5, 1, v6
	v_or_b32_e32 v5, v7, v5
	v_cvt_f32_u32_e32 v5, v5
	v_sub_u32_e32 v1, 32, v1
	v_ldexp_f32 v1, v5, v1
	s_branch .LBB39_609
.LBB39_607:
	s_mov_b64 s[8:9], -1
                                        ; implicit-def: $vgpr1
.LBB39_608:
	s_mov_b64 s[10:11], 0
.LBB39_609:
	s_and_b64 vcc, exec, s[10:11]
	s_cbranch_vccz .LBB39_627
; %bb.610:
	v_cmp_gt_i16_e32 vcc, 27, v4
	s_cbranch_vccnz .LBB39_613
; %bb.611:
	v_cmp_lt_i16_e32 vcc, 27, v4
	s_cbranch_vccz .LBB39_614
; %bb.612:
	global_load_dword v1, v[2:3], off
	s_mov_b64 s[2:3], 0
	s_waitcnt vmcnt(0)
	v_cvt_f32_u32_e32 v1, v1
	s_branch .LBB39_615
.LBB39_613:
	s_mov_b64 s[2:3], -1
                                        ; implicit-def: $vgpr1
	s_branch .LBB39_618
.LBB39_614:
	s_mov_b64 s[2:3], -1
                                        ; implicit-def: $vgpr1
.LBB39_615:
	s_andn2_b64 vcc, exec, s[2:3]
	s_cbranch_vccnz .LBB39_617
; %bb.616:
	global_load_ushort v1, v[2:3], off
	s_waitcnt vmcnt(0)
	v_cvt_f32_u32_e32 v1, v1
.LBB39_617:
	s_mov_b64 s[2:3], 0
.LBB39_618:
	s_andn2_b64 vcc, exec, s[2:3]
	s_cbranch_vccnz .LBB39_626
; %bb.619:
	global_load_ubyte v5, v[2:3], off
	s_movk_i32 s2, 0x7f
                                        ; implicit-def: $sgpr14
	s_waitcnt vmcnt(0)
	v_cmp_lt_i16_e32 vcc, s2, v5
	s_mov_b64 s[2:3], 0
	s_and_saveexec_b64 s[10:11], vcc
	s_xor_b64 s[10:11], exec, s[10:11]
	s_cbranch_execz .LBB39_640
; %bb.620:
	s_movk_i32 s2, 0x80
	v_cmp_eq_u16_e32 vcc, s2, v5
	s_mov_b64 s[2:3], -1
                                        ; implicit-def: $sgpr14
	s_and_saveexec_b64 s[12:13], vcc
; %bb.621:
	s_mov_b32 s14, 0x7f800001
	s_xor_b64 s[2:3], exec, -1
; %bb.622:
	s_or_b64 exec, exec, s[12:13]
	s_and_b64 s[2:3], s[2:3], exec
	s_or_saveexec_b64 s[10:11], s[10:11]
	v_mov_b32_e32 v1, s14
	s_xor_b64 exec, exec, s[10:11]
	s_cbranch_execnz .LBB39_641
.LBB39_623:
	s_or_b64 exec, exec, s[10:11]
	s_and_saveexec_b64 s[10:11], s[2:3]
	s_cbranch_execz .LBB39_625
.LBB39_624:
	v_lshlrev_b32_e32 v1, 24, v5
	v_and_b32_e32 v5, 0xffff, v5
	v_and_b32_e32 v6, 7, v5
	v_ffbh_u32_e32 v8, v6
	v_min_u32_e32 v8, 32, v8
	v_subrev_u32_e32 v9, 28, v8
	v_bfe_u32 v7, v5, 3, 4
	v_lshlrev_b32_e32 v5, v9, v5
	v_sub_u32_e32 v8, 29, v8
	v_and_b32_e32 v5, 7, v5
	v_cmp_eq_u32_e32 vcc, 0, v7
	v_cndmask_b32_e32 v7, v7, v8, vcc
	v_cndmask_b32_e32 v5, v6, v5, vcc
	v_mov_b32_e32 v6, 0x3b800000
	v_lshlrev_b32_e32 v5, 20, v5
	v_and_b32_e32 v1, 0x80000000, v1
	v_lshl_add_u32 v6, v7, 23, v6
	v_or3_b32 v1, v1, v6, v5
.LBB39_625:
	s_or_b64 exec, exec, s[10:11]
.LBB39_626:
	s_mov_b64 s[2:3], -1
.LBB39_627:
	s_mov_b64 s[10:11], 0
.LBB39_628:
	s_and_b64 vcc, exec, s[10:11]
	s_cbranch_vccz .LBB39_663
; %bb.629:
	v_cmp_lt_i16_e32 vcc, 22, v4
	s_cbranch_vccz .LBB39_639
; %bb.630:
	v_cmp_gt_i16_e32 vcc, 24, v4
	s_cbranch_vccnz .LBB39_642
; %bb.631:
	v_cmp_lt_i16_e32 vcc, 24, v4
	s_cbranch_vccz .LBB39_643
; %bb.632:
	global_load_ubyte v5, v[2:3], off
	s_movk_i32 s2, 0x7f
                                        ; implicit-def: $sgpr14
	s_waitcnt vmcnt(0)
	v_cmp_lt_i16_e32 vcc, s2, v5
	s_mov_b64 s[2:3], 0
	s_and_saveexec_b64 s[10:11], vcc
	s_xor_b64 s[10:11], exec, s[10:11]
	s_cbranch_execz .LBB39_655
; %bb.633:
	s_movk_i32 s2, 0x80
	v_cmp_eq_u16_e32 vcc, s2, v5
	s_mov_b64 s[2:3], -1
                                        ; implicit-def: $sgpr14
	s_and_saveexec_b64 s[12:13], vcc
; %bb.634:
	s_mov_b32 s14, 0x7f800001
	s_xor_b64 s[2:3], exec, -1
; %bb.635:
	s_or_b64 exec, exec, s[12:13]
	s_and_b64 s[2:3], s[2:3], exec
	s_or_saveexec_b64 s[10:11], s[10:11]
	v_mov_b32_e32 v1, s14
	s_xor_b64 exec, exec, s[10:11]
	s_cbranch_execnz .LBB39_656
.LBB39_636:
	s_or_b64 exec, exec, s[10:11]
	s_and_saveexec_b64 s[10:11], s[2:3]
	s_cbranch_execz .LBB39_638
.LBB39_637:
	v_lshlrev_b32_e32 v1, 24, v5
	v_and_b32_e32 v5, 0xffff, v5
	v_and_b32_e32 v6, 3, v5
	v_ffbh_u32_e32 v8, v6
	v_min_u32_e32 v8, 32, v8
	v_subrev_u32_e32 v9, 29, v8
	v_bfe_u32 v7, v5, 2, 5
	v_lshlrev_b32_e32 v5, v9, v5
	v_sub_u32_e32 v8, 30, v8
	v_and_b32_e32 v5, 3, v5
	v_cmp_eq_u32_e32 vcc, 0, v7
	v_cndmask_b32_e32 v7, v7, v8, vcc
	v_cndmask_b32_e32 v5, v6, v5, vcc
	v_mov_b32_e32 v6, 0x37800000
	v_lshlrev_b32_e32 v5, 21, v5
	v_and_b32_e32 v1, 0x80000000, v1
	v_lshl_add_u32 v6, v7, 23, v6
	v_or3_b32 v1, v1, v6, v5
.LBB39_638:
	s_or_b64 exec, exec, s[10:11]
	s_mov_b64 s[2:3], 0
	s_branch .LBB39_644
.LBB39_639:
	s_mov_b64 s[10:11], -1
                                        ; implicit-def: $vgpr1
	s_branch .LBB39_650
.LBB39_640:
	s_or_saveexec_b64 s[10:11], s[10:11]
	v_mov_b32_e32 v1, s14
	s_xor_b64 exec, exec, s[10:11]
	s_cbranch_execz .LBB39_623
.LBB39_641:
	v_cmp_ne_u16_e32 vcc, 0, v5
	s_andn2_b64 s[2:3], s[2:3], exec
	s_and_b64 s[12:13], vcc, exec
	v_mov_b32_e32 v1, 0
	s_or_b64 s[2:3], s[2:3], s[12:13]
	s_or_b64 exec, exec, s[10:11]
	s_and_saveexec_b64 s[10:11], s[2:3]
	s_cbranch_execnz .LBB39_624
	s_branch .LBB39_625
.LBB39_642:
	s_mov_b64 s[2:3], -1
                                        ; implicit-def: $vgpr1
	s_branch .LBB39_647
.LBB39_643:
	s_mov_b64 s[2:3], -1
                                        ; implicit-def: $vgpr1
.LBB39_644:
	s_and_b64 vcc, exec, s[2:3]
	s_cbranch_vccz .LBB39_646
; %bb.645:
	global_load_ubyte v1, v[2:3], off
	s_mov_b32 s2, 0x7f800000
	s_waitcnt vmcnt(0)
	v_lshlrev_b32_e32 v1, 24, v1
	v_and_b32_e32 v5, 0x7f000000, v1
	v_ffbh_u32_e32 v6, v5
	v_min_u32_e32 v6, 32, v6
	v_sub_u32_e64 v6, v6, 4 clamp
	v_lshlrev_b32_e32 v8, v6, v5
	v_lshlrev_b32_e32 v6, 23, v6
	v_lshrrev_b32_e32 v8, 4, v8
	v_add_u32_e32 v7, 0x1000000, v5
	v_sub_u32_e32 v6, v8, v6
	v_ashrrev_i32_e32 v7, 8, v7
	v_add_u32_e32 v6, 0x3c000000, v6
	v_and_or_b32 v6, v7, s2, v6
	v_cmp_ne_u32_e32 vcc, 0, v5
	v_cndmask_b32_e32 v5, 0, v6, vcc
	s_brev_b32 s2, 1
	v_and_or_b32 v1, v1, s2, v5
.LBB39_646:
	s_mov_b64 s[2:3], 0
.LBB39_647:
	s_andn2_b64 vcc, exec, s[2:3]
	s_cbranch_vccnz .LBB39_649
; %bb.648:
	global_load_ubyte v1, v[2:3], off
	s_movk_i32 s2, 0x7f00
	s_brev_b32 s3, 16
	s_waitcnt vmcnt(0)
	v_lshlrev_b16_e32 v5, 8, v1
	v_lshlrev_b32_e32 v1, 25, v1
	v_lshrrev_b32_e32 v6, 4, v1
	v_and_or_b32 v7, v5, s2, 0.5
	v_or_b32_e32 v6, 0x70000000, v6
	v_add_f32_e32 v7, -0.5, v7
	v_mul_f32_e32 v6, 0x7800000, v6
	v_cmp_gt_u32_e32 vcc, s3, v1
	v_bfe_i32 v5, v5, 0, 16
	v_cndmask_b32_e32 v1, v6, v7, vcc
	s_brev_b32 s2, 1
	v_and_or_b32 v1, v5, s2, v1
.LBB39_649:
	s_mov_b64 s[10:11], 0
	s_mov_b64 s[2:3], -1
.LBB39_650:
	s_andn2_b64 vcc, exec, s[10:11]
	s_cbranch_vccnz .LBB39_663
; %bb.651:
	v_cmp_lt_i16_e32 vcc, 14, v4
	s_cbranch_vccz .LBB39_654
; %bb.652:
	v_cmp_eq_u16_e32 vcc, 15, v4
	s_cbranch_vccz .LBB39_657
; %bb.653:
	global_load_ushort v1, v[2:3], off
	s_mov_b64 s[2:3], -1
	s_mov_b64 s[8:9], 0
	s_waitcnt vmcnt(0)
	v_lshlrev_b32_e32 v1, 16, v1
	s_branch .LBB39_658
.LBB39_654:
	s_mov_b64 s[10:11], -1
                                        ; implicit-def: $vgpr1
	s_branch .LBB39_659
.LBB39_655:
	s_or_saveexec_b64 s[10:11], s[10:11]
	v_mov_b32_e32 v1, s14
	s_xor_b64 exec, exec, s[10:11]
	s_cbranch_execz .LBB39_636
.LBB39_656:
	v_cmp_ne_u16_e32 vcc, 0, v5
	s_andn2_b64 s[2:3], s[2:3], exec
	s_and_b64 s[12:13], vcc, exec
	v_mov_b32_e32 v1, 0
	s_or_b64 s[2:3], s[2:3], s[12:13]
	s_or_b64 exec, exec, s[10:11]
	s_and_saveexec_b64 s[10:11], s[2:3]
	s_cbranch_execnz .LBB39_637
	s_branch .LBB39_638
.LBB39_657:
	s_mov_b64 s[8:9], -1
                                        ; implicit-def: $vgpr1
.LBB39_658:
	s_mov_b64 s[10:11], 0
.LBB39_659:
	s_and_b64 vcc, exec, s[10:11]
	s_cbranch_vccz .LBB39_663
; %bb.660:
	v_cmp_eq_u16_e32 vcc, 11, v4
	s_cbranch_vccz .LBB39_662
; %bb.661:
	global_load_ubyte v1, v[2:3], off
	s_mov_b64 s[2:3], -1
	s_mov_b64 s[8:9], 0
	s_waitcnt vmcnt(0)
	v_cmp_ne_u16_e32 vcc, 0, v1
	v_cndmask_b32_e64 v1, 0, 1.0, vcc
	s_branch .LBB39_663
.LBB39_662:
	s_mov_b64 s[8:9], -1
                                        ; implicit-def: $vgpr1
.LBB39_663:
	s_mov_b64 s[10:11], 0
.LBB39_664:
	s_and_b64 vcc, exec, s[10:11]
	s_cbranch_vccz .LBB39_713
; %bb.665:
	v_cmp_gt_i16_e32 vcc, 5, v4
	s_cbranch_vccnz .LBB39_670
; %bb.666:
	v_cmp_gt_i16_e32 vcc, 8, v4
	s_cbranch_vccnz .LBB39_671
	;; [unrolled: 3-line block ×3, first 2 shown]
; %bb.668:
	v_cmp_lt_i16_e32 vcc, 9, v4
	s_cbranch_vccz .LBB39_673
; %bb.669:
	global_load_dwordx2 v[6:7], v[2:3], off
	s_mov_b64 s[2:3], 0
	s_waitcnt vmcnt(0)
	v_cvt_f32_f64_e32 v1, v[6:7]
	s_branch .LBB39_674
.LBB39_670:
	s_mov_b64 s[2:3], -1
                                        ; implicit-def: $vgpr1
	s_branch .LBB39_692
.LBB39_671:
	s_mov_b64 s[2:3], -1
                                        ; implicit-def: $vgpr1
	s_branch .LBB39_680
.LBB39_672:
	s_mov_b64 s[2:3], -1
                                        ; implicit-def: $vgpr1
	s_branch .LBB39_677
.LBB39_673:
	s_mov_b64 s[2:3], -1
                                        ; implicit-def: $vgpr1
.LBB39_674:
	s_andn2_b64 vcc, exec, s[2:3]
	s_cbranch_vccnz .LBB39_676
; %bb.675:
	global_load_dword v1, v[2:3], off
.LBB39_676:
	s_mov_b64 s[2:3], 0
.LBB39_677:
	s_andn2_b64 vcc, exec, s[2:3]
	s_cbranch_vccnz .LBB39_679
; %bb.678:
	global_load_dword v1, v[2:3], off
	s_waitcnt vmcnt(0)
	v_cvt_f32_f16_e32 v1, v1
.LBB39_679:
	s_mov_b64 s[2:3], 0
.LBB39_680:
	s_andn2_b64 vcc, exec, s[2:3]
	s_cbranch_vccnz .LBB39_691
; %bb.681:
	v_cmp_gt_i16_e32 vcc, 6, v4
	s_cbranch_vccnz .LBB39_684
; %bb.682:
	v_cmp_lt_i16_e32 vcc, 6, v4
	s_cbranch_vccz .LBB39_685
; %bb.683:
	global_load_dwordx2 v[6:7], v[2:3], off
	s_mov_b64 s[2:3], 0
	s_waitcnt vmcnt(0)
	v_cvt_f32_f64_e32 v1, v[6:7]
	s_branch .LBB39_686
.LBB39_684:
	s_mov_b64 s[2:3], -1
                                        ; implicit-def: $vgpr1
	s_branch .LBB39_689
.LBB39_685:
	s_mov_b64 s[2:3], -1
                                        ; implicit-def: $vgpr1
.LBB39_686:
	s_andn2_b64 vcc, exec, s[2:3]
	s_cbranch_vccnz .LBB39_688
; %bb.687:
	global_load_dword v1, v[2:3], off
.LBB39_688:
	s_mov_b64 s[2:3], 0
.LBB39_689:
	s_andn2_b64 vcc, exec, s[2:3]
	s_cbranch_vccnz .LBB39_691
; %bb.690:
	global_load_ushort v1, v[2:3], off
	s_waitcnt vmcnt(0)
	v_cvt_f32_f16_e32 v1, v1
.LBB39_691:
	s_mov_b64 s[2:3], 0
.LBB39_692:
	s_andn2_b64 vcc, exec, s[2:3]
	s_cbranch_vccnz .LBB39_712
; %bb.693:
	v_cmp_gt_i16_e32 vcc, 2, v4
	s_cbranch_vccnz .LBB39_697
; %bb.694:
	v_cmp_gt_i16_e32 vcc, 3, v4
	s_cbranch_vccnz .LBB39_698
; %bb.695:
	v_cmp_lt_i16_e32 vcc, 3, v4
	s_cbranch_vccz .LBB39_699
; %bb.696:
	global_load_dwordx2 v[6:7], v[2:3], off
	s_mov_b64 s[2:3], 0
	s_waitcnt vmcnt(0)
	v_xor_b32_e32 v5, v6, v7
	v_ffbh_i32_e32 v1, v7
	v_ashrrev_i32_e32 v5, 31, v5
	v_add_u32_e32 v1, -1, v1
	v_add_u32_e32 v5, 32, v5
	v_min_u32_e32 v1, v1, v5
	v_lshlrev_b64 v[6:7], v1, v[6:7]
	v_min_u32_e32 v5, 1, v6
	v_or_b32_e32 v5, v7, v5
	v_cvt_f32_i32_e32 v5, v5
	v_sub_u32_e32 v1, 32, v1
	v_ldexp_f32 v1, v5, v1
	s_branch .LBB39_700
.LBB39_697:
	s_mov_b64 s[2:3], -1
                                        ; implicit-def: $vgpr1
	s_branch .LBB39_706
.LBB39_698:
	s_mov_b64 s[2:3], -1
                                        ; implicit-def: $vgpr1
	s_branch .LBB39_703
.LBB39_699:
	s_mov_b64 s[2:3], -1
                                        ; implicit-def: $vgpr1
.LBB39_700:
	s_andn2_b64 vcc, exec, s[2:3]
	s_cbranch_vccnz .LBB39_702
; %bb.701:
	global_load_dword v1, v[2:3], off
	s_waitcnt vmcnt(0)
	v_cvt_f32_i32_e32 v1, v1
.LBB39_702:
	s_mov_b64 s[2:3], 0
.LBB39_703:
	s_andn2_b64 vcc, exec, s[2:3]
	s_cbranch_vccnz .LBB39_705
; %bb.704:
	global_load_sshort v1, v[2:3], off
	s_waitcnt vmcnt(0)
	v_cvt_f32_i32_e32 v1, v1
.LBB39_705:
	s_mov_b64 s[2:3], 0
.LBB39_706:
	s_andn2_b64 vcc, exec, s[2:3]
	s_cbranch_vccnz .LBB39_712
; %bb.707:
	v_cmp_lt_i16_e32 vcc, 0, v4
	s_cbranch_vccz .LBB39_709
; %bb.708:
	global_load_sbyte v1, v[2:3], off
	s_mov_b64 s[2:3], 0
	s_waitcnt vmcnt(0)
	v_cvt_f32_i32_e32 v1, v1
	s_branch .LBB39_710
.LBB39_709:
	s_mov_b64 s[2:3], -1
                                        ; implicit-def: $vgpr1
.LBB39_710:
	s_andn2_b64 vcc, exec, s[2:3]
	s_cbranch_vccnz .LBB39_712
; %bb.711:
	global_load_ubyte v1, v[2:3], off
	s_waitcnt vmcnt(0)
	v_cvt_f32_ubyte0_e32 v1, v1
.LBB39_712:
	s_mov_b64 s[2:3], -1
.LBB39_713:
	s_andn2_b64 vcc, exec, s[2:3]
	s_cbranch_vccnz .LBB39_721
; %bb.714:
	s_andn2_b64 vcc, exec, s[52:53]
	v_mov_b32_e32 v2, 0
	s_cbranch_vccnz .LBB39_725
; %bb.715:
	v_cmp_lt_i64_e64 s[2:3], s[50:51], 1
	s_and_b64 vcc, exec, s[2:3]
	v_mov_b32_e32 v2, 1.0
	s_cbranch_vccnz .LBB39_725
; %bb.716:
	s_cmp_lg_u64 s[50:51], 1
	s_cbranch_scc0 .LBB39_722
; %bb.717:
	s_andn2_b64 vcc, exec, s[0:1]
	v_mov_b32_e32 v2, 0x7fc00000
	s_cbranch_vccnz .LBB39_720
; %bb.718:
	s_mov_b64 s[2:3], 1
	v_mov_b32_e32 v3, 1.0
	s_waitcnt vmcnt(0)
	v_mov_b32_e32 v2, v1
.LBB39_719:                             ; =>This Inner Loop Header: Depth=1
	s_flbit_i32_b32 s10, s3
	s_min_u32 s12, s10, 32
	s_lshl_b64 s[10:11], s[2:3], s12
	s_min_u32 s10, s10, 1
	s_or_b32 s10, s11, s10
	v_cvt_f32_u32_e32 v5, s10
	s_sub_i32 s12, 32, s12
	s_add_u32 s2, s2, 1
	s_addc_u32 s3, s3, 0
	v_ldexp_f32 v5, v5, s12
	v_mul_f32_e32 v5, v3, v5
	s_cmp_lg_u64 s[50:51], s[2:3]
	v_mov_b32_e32 v3, v2
	v_fma_f32 v2, v1, v2, -v5
	s_cbranch_scc1 .LBB39_719
.LBB39_720:
	s_mov_b64 s[2:3], 0
	s_branch .LBB39_723
.LBB39_721:
	s_mov_b64 s[10:11], 0
	s_mov_b64 s[2:3], s[70:71]
	s_branch .LBB39_848
.LBB39_722:
	s_mov_b64 s[2:3], -1
                                        ; implicit-def: $vgpr2
.LBB39_723:
	s_andn2_b64 vcc, exec, s[2:3]
	s_cbranch_vccnz .LBB39_725
; %bb.724:
	s_waitcnt vmcnt(0)
	v_mov_b32_e32 v2, v1
.LBB39_725:
	s_waitcnt vmcnt(0)
	v_mov_b32_e32 v1, s25
	v_add_co_u32_e32 v0, vcc, s24, v0
	v_mov_b32_e32 v3, 11
	v_addc_co_u32_e32 v1, vcc, 0, v1, vcc
	v_cmp_lt_i16_sdwa s[2:3], s49, v3 src0_sel:BYTE_0 src1_sel:DWORD
	s_and_b64 vcc, exec, s[2:3]
	s_cbranch_vccnz .LBB39_732
; %bb.726:
	v_mov_b32_e32 v3, 25
	v_cmp_gt_i16_sdwa s[2:3], s49, v3 src0_sel:BYTE_0 src1_sel:DWORD
	s_and_b64 vcc, exec, s[2:3]
	s_cbranch_vccz .LBB39_733
; %bb.727:
	v_mov_b32_e32 v3, 28
	v_cmp_gt_i16_sdwa s[2:3], s49, v3 src0_sel:BYTE_0 src1_sel:DWORD
	s_and_b64 vcc, exec, s[2:3]
	s_cbranch_vccz .LBB39_734
	;; [unrolled: 5-line block ×4, first 2 shown]
; %bb.730:
	v_mov_b32_e32 v3, 46
	v_cmp_eq_u16_sdwa s[10:11], s49, v3 src0_sel:BYTE_0 src1_sel:DWORD
	s_mov_b64 s[12:13], 0
	s_mov_b64 s[2:3], -1
	s_and_b64 vcc, exec, s[10:11]
	s_mov_b64 s[10:11], 0
	s_cbranch_vccz .LBB39_737
; %bb.731:
	v_bfe_u32 v3, v2, 16, 1
	s_movk_i32 s2, 0x7fff
	v_add3_u32 v3, v2, v3, s2
	v_lshrrev_b32_e32 v3, 16, v3
	v_mov_b32_e32 v5, 0x7fc0
	v_cmp_o_f32_e32 vcc, v2, v2
	v_cndmask_b32_e32 v3, v5, v3, vcc
	global_store_dword v[0:1], v3, off
	s_mov_b64 s[10:11], -1
	s_mov_b64 s[2:3], 0
	s_branch .LBB39_737
.LBB39_732:
	s_mov_b64 s[12:13], -1
	s_mov_b64 s[10:11], 0
	s_mov_b64 s[2:3], s[70:71]
	s_branch .LBB39_806
.LBB39_733:
	s_mov_b64 s[12:13], -1
	s_mov_b64 s[10:11], 0
	s_mov_b64 s[2:3], s[70:71]
	s_branch .LBB39_764
.LBB39_734:
	s_mov_b64 s[12:13], -1
	s_mov_b64 s[10:11], 0
	s_mov_b64 s[2:3], s[70:71]
	s_branch .LBB39_747
.LBB39_735:
	s_mov_b64 s[12:13], -1
	s_mov_b64 s[10:11], 0
	s_mov_b64 s[2:3], s[70:71]
	s_branch .LBB39_743
.LBB39_736:
	s_mov_b64 s[12:13], -1
	s_mov_b64 s[10:11], 0
	s_mov_b64 s[2:3], s[70:71]
.LBB39_737:
	s_and_b64 vcc, exec, s[12:13]
	s_cbranch_vccz .LBB39_742
; %bb.738:
	v_mov_b32_e32 v3, 44
	v_cmp_eq_u16_sdwa s[12:13], s49, v3 src0_sel:BYTE_0 src1_sel:DWORD
	s_mov_b64 s[2:3], -1
	s_and_b64 vcc, exec, s[12:13]
	s_cbranch_vccz .LBB39_742
; %bb.739:
	v_bfe_u32 v3, v2, 23, 8
	s_movk_i32 s2, 0xff
	v_cmp_ne_u32_e32 vcc, s2, v3
	v_mov_b32_e32 v5, 0xff
	s_and_saveexec_b64 s[10:11], vcc
; %bb.740:
	s_mov_b32 s2, 0x3fffff
	v_and_b32_e32 v6, 0x400000, v2
	v_and_or_b32 v3, v2, s2, v3
	v_cmp_ne_u32_e32 vcc, 0, v6
	v_cmp_ne_u32_e64 s[2:3], 0, v3
	s_and_b64 s[2:3], vcc, s[2:3]
	v_lshrrev_b32_e32 v5, 23, v2
	v_cndmask_b32_e64 v3, 0, 1, s[2:3]
	v_add_u32_e32 v5, v5, v3
; %bb.741:
	s_or_b64 exec, exec, s[10:11]
	s_mov_b64 s[10:11], -1
	s_mov_b64 s[2:3], 0
	global_store_byte v[0:1], v5, off
.LBB39_742:
	s_mov_b64 s[12:13], 0
.LBB39_743:
	s_and_b64 vcc, exec, s[12:13]
	s_cbranch_vccz .LBB39_746
; %bb.744:
	v_mov_b32_e32 v3, 29
	v_cmp_eq_u16_sdwa s[12:13], s49, v3 src0_sel:BYTE_0 src1_sel:DWORD
	s_mov_b64 s[2:3], -1
	s_and_b64 vcc, exec, s[12:13]
	s_cbranch_vccz .LBB39_746
; %bb.745:
	v_trunc_f32_e32 v3, v2
	v_mul_f32_e32 v5, 0x2f800000, v3
	v_floor_f32_e32 v5, v5
	v_fmac_f32_e32 v3, 0xcf800000, v5
	v_cvt_u32_f32_e32 v7, v5
	v_cvt_u32_f32_e32 v6, v3
	s_mov_b64 s[10:11], -1
	s_mov_b64 s[2:3], 0
	s_mov_b64 s[12:13], 0
	global_store_dwordx2 v[0:1], v[6:7], off
	s_branch .LBB39_747
.LBB39_746:
	s_mov_b64 s[12:13], 0
.LBB39_747:
	s_and_b64 vcc, exec, s[12:13]
	s_cbranch_vccz .LBB39_763
; %bb.748:
	v_mov_b32_e32 v3, 27
	v_cmp_lt_i16_sdwa s[12:13], s49, v3 src0_sel:BYTE_0 src1_sel:DWORD
	s_mov_b64 s[10:11], -1
	s_and_b64 vcc, exec, s[12:13]
	s_cbranch_vccnz .LBB39_754
; %bb.749:
	v_cmp_gt_i16_sdwa s[12:13], s49, v3 src0_sel:BYTE_0 src1_sel:DWORD
	v_cvt_u32_f32_e32 v3, v2
	s_and_b64 vcc, exec, s[12:13]
	s_cbranch_vccz .LBB39_751
; %bb.750:
	s_mov_b64 s[10:11], 0
	global_store_dword v[0:1], v3, off
.LBB39_751:
	s_andn2_b64 vcc, exec, s[10:11]
	s_cbranch_vccnz .LBB39_753
; %bb.752:
	global_store_short v[0:1], v3, off
.LBB39_753:
	s_mov_b64 s[10:11], 0
.LBB39_754:
	s_andn2_b64 vcc, exec, s[10:11]
	s_cbranch_vccnz .LBB39_762
; %bb.755:
	v_and_b32_e32 v3, 0x7fffffff, v2
	s_mov_b32 s10, 0x43800000
	v_cmp_gt_u32_e32 vcc, s10, v3
	v_mov_b32_e32 v5, 0x80
	s_and_saveexec_b64 s[10:11], vcc
	s_cbranch_execz .LBB39_761
; %bb.756:
	s_mov_b32 s12, 0x3bffffff
	v_cmp_lt_u32_e32 vcc, s12, v3
	s_mov_b64 s[12:13], 0
                                        ; implicit-def: $vgpr3
	s_and_saveexec_b64 s[14:15], vcc
	s_xor_b64 s[14:15], exec, s[14:15]
	s_cbranch_execz .LBB39_879
; %bb.757:
	v_bfe_u32 v3, v2, 20, 1
	s_mov_b32 s16, 0x487ffff
	v_add3_u32 v3, v2, v3, s16
	s_mov_b64 s[12:13], exec
	v_lshrrev_b32_e32 v3, 20, v3
	s_or_saveexec_b64 s[14:15], s[14:15]
                                        ; implicit-def: $sgpr16
	s_xor_b64 exec, exec, s[14:15]
	s_cbranch_execnz .LBB39_880
.LBB39_758:
	s_or_b64 exec, exec, s[14:15]
	v_mov_b32_e32 v5, s16
	s_and_saveexec_b64 s[14:15], s[12:13]
.LBB39_759:
	v_lshrrev_b32_e32 v5, 24, v2
	s_movk_i32 s12, 0x80
	v_and_or_b32 v5, v5, s12, v3
.LBB39_760:
	s_or_b64 exec, exec, s[14:15]
.LBB39_761:
	s_or_b64 exec, exec, s[10:11]
	global_store_byte v[0:1], v5, off
.LBB39_762:
	s_mov_b64 s[10:11], -1
.LBB39_763:
	s_mov_b64 s[12:13], 0
.LBB39_764:
	s_and_b64 vcc, exec, s[12:13]
	s_cbranch_vccz .LBB39_805
; %bb.765:
	v_mov_b32_e32 v3, 22
	v_cmp_gt_i16_sdwa s[14:15], s49, v3 src0_sel:BYTE_0 src1_sel:DWORD
	s_mov_b64 s[12:13], -1
	s_and_b64 vcc, exec, s[14:15]
	s_cbranch_vccz .LBB39_797
; %bb.766:
	v_mov_b32_e32 v3, 24
	v_cmp_lt_i16_sdwa s[12:13], s49, v3 src0_sel:BYTE_0 src1_sel:DWORD
	s_mov_b64 s[10:11], -1
	s_and_b64 vcc, exec, s[12:13]
	s_cbranch_vccnz .LBB39_786
; %bb.767:
	v_cmp_gt_i16_sdwa s[12:13], s49, v3 src0_sel:BYTE_0 src1_sel:DWORD
	s_and_b64 vcc, exec, s[12:13]
	s_cbranch_vccz .LBB39_775
; %bb.768:
	v_and_b32_e32 v3, 0x7fffffff, v2
	s_mov_b32 s10, 0x47800000
	v_cmp_gt_u32_e32 vcc, s10, v3
	v_mov_b32_e32 v5, 0x80
	s_and_saveexec_b64 s[10:11], vcc
	s_cbranch_execz .LBB39_774
; %bb.769:
	s_mov_b32 s12, 0x37ffffff
	v_cmp_lt_u32_e32 vcc, s12, v3
	s_mov_b64 s[12:13], 0
                                        ; implicit-def: $vgpr3
	s_and_saveexec_b64 s[14:15], vcc
	s_xor_b64 s[14:15], exec, s[14:15]
	s_cbranch_execz .LBB39_882
; %bb.770:
	v_bfe_u32 v3, v2, 21, 1
	s_mov_b32 s16, 0x88fffff
	v_add3_u32 v3, v2, v3, s16
	s_mov_b64 s[12:13], exec
	v_lshrrev_b32_e32 v3, 21, v3
	s_or_saveexec_b64 s[14:15], s[14:15]
                                        ; implicit-def: $sgpr16
	s_xor_b64 exec, exec, s[14:15]
	s_cbranch_execnz .LBB39_883
.LBB39_771:
	s_or_b64 exec, exec, s[14:15]
	v_mov_b32_e32 v5, s16
	s_and_saveexec_b64 s[14:15], s[12:13]
.LBB39_772:
	v_lshrrev_b32_e32 v5, 24, v2
	s_movk_i32 s12, 0x80
	v_and_or_b32 v5, v5, s12, v3
.LBB39_773:
	s_or_b64 exec, exec, s[14:15]
.LBB39_774:
	s_or_b64 exec, exec, s[10:11]
	s_mov_b64 s[10:11], 0
	global_store_byte v[0:1], v5, off
.LBB39_775:
	s_and_b64 vcc, exec, s[10:11]
	s_cbranch_vccz .LBB39_785
; %bb.776:
	v_and_b32_e32 v5, 0x7fffffff, v2
	s_mov_b32 s10, 0x43f00000
	v_cmp_gt_u32_e32 vcc, s10, v5
                                        ; implicit-def: $vgpr3
	s_and_saveexec_b64 s[10:11], vcc
	s_xor_b64 s[10:11], exec, s[10:11]
	s_cbranch_execz .LBB39_782
; %bb.777:
	s_mov_b32 s12, 0x3c7fffff
	v_cmp_lt_u32_e32 vcc, s12, v5
                                        ; implicit-def: $vgpr3
	s_and_saveexec_b64 s[12:13], vcc
	s_xor_b64 s[12:13], exec, s[12:13]
; %bb.778:
	v_bfe_u32 v3, v2, 20, 1
	s_mov_b32 s14, 0x407ffff
	v_add3_u32 v3, v2, v3, s14
	v_lshrrev_b32_e32 v5, 20, v3
	v_and_b32_e32 v3, 0xff00000, v3
	s_mov_b32 s14, 0x7f00000
	v_mov_b32_e32 v6, 0x7e
	v_cmp_ne_u32_e32 vcc, s14, v3
	v_cndmask_b32_e32 v3, v6, v5, vcc
; %bb.779:
	s_andn2_saveexec_b64 s[12:13], s[12:13]
; %bb.780:
	s_mov_b32 s14, 0x46800000
	v_add_f32_e64 v3, |v2|, s14
; %bb.781:
	s_or_b64 exec, exec, s[12:13]
                                        ; implicit-def: $vgpr5
.LBB39_782:
	s_andn2_saveexec_b64 s[10:11], s[10:11]
; %bb.783:
	s_mov_b32 s12, 0x7f800000
	v_mov_b32_e32 v3, 0x7e
	v_mov_b32_e32 v6, 0x7f
	v_cmp_lt_u32_e32 vcc, s12, v5
	v_cndmask_b32_e32 v3, v3, v6, vcc
; %bb.784:
	s_or_b64 exec, exec, s[10:11]
	v_lshrrev_b32_e32 v5, 24, v2
	s_movk_i32 s10, 0x80
	v_and_or_b32 v3, v5, s10, v3
	global_store_byte v[0:1], v3, off
.LBB39_785:
	s_mov_b64 s[10:11], 0
.LBB39_786:
	s_andn2_b64 vcc, exec, s[10:11]
	s_cbranch_vccnz .LBB39_796
; %bb.787:
	v_and_b32_e32 v5, 0x7fffffff, v2
	s_mov_b32 s10, 0x47800000
	v_cmp_gt_u32_e32 vcc, s10, v5
                                        ; implicit-def: $vgpr3
	s_and_saveexec_b64 s[10:11], vcc
	s_xor_b64 s[10:11], exec, s[10:11]
	s_cbranch_execz .LBB39_793
; %bb.788:
	s_mov_b32 s12, 0x387fffff
	v_cmp_lt_u32_e32 vcc, s12, v5
                                        ; implicit-def: $vgpr3
	s_and_saveexec_b64 s[12:13], vcc
	s_xor_b64 s[12:13], exec, s[12:13]
; %bb.789:
	v_bfe_u32 v3, v2, 21, 1
	s_mov_b32 s14, 0x80fffff
	v_add3_u32 v3, v2, v3, s14
	v_lshrrev_b32_e32 v3, 21, v3
; %bb.790:
	s_andn2_saveexec_b64 s[12:13], s[12:13]
; %bb.791:
	s_mov_b32 s14, 0x43000000
	v_add_f32_e64 v3, |v2|, s14
; %bb.792:
	s_or_b64 exec, exec, s[12:13]
                                        ; implicit-def: $vgpr5
.LBB39_793:
	s_andn2_saveexec_b64 s[10:11], s[10:11]
; %bb.794:
	s_mov_b32 s12, 0x7f800000
	v_mov_b32_e32 v3, 0x7c
	v_mov_b32_e32 v6, 0x7f
	v_cmp_lt_u32_e32 vcc, s12, v5
	v_cndmask_b32_e32 v3, v3, v6, vcc
; %bb.795:
	s_or_b64 exec, exec, s[10:11]
	v_lshrrev_b32_e32 v5, 24, v2
	s_movk_i32 s10, 0x80
	v_and_or_b32 v3, v5, s10, v3
	global_store_byte v[0:1], v3, off
.LBB39_796:
	s_mov_b64 s[12:13], 0
	s_mov_b64 s[10:11], -1
.LBB39_797:
	s_andn2_b64 vcc, exec, s[12:13]
	s_cbranch_vccnz .LBB39_805
; %bb.798:
	v_mov_b32_e32 v3, 14
	v_cmp_gt_i16_sdwa s[14:15], s49, v3 src0_sel:BYTE_0 src1_sel:DWORD
	s_mov_b64 s[12:13], -1
	s_and_b64 vcc, exec, s[14:15]
	s_cbranch_vccz .LBB39_802
; %bb.799:
	v_mov_b32_e32 v3, 15
	v_cmp_eq_u16_sdwa s[12:13], s49, v3 src0_sel:BYTE_0 src1_sel:DWORD
	s_mov_b64 s[2:3], -1
	s_and_b64 vcc, exec, s[12:13]
	s_cbranch_vccz .LBB39_801
; %bb.800:
	v_bfe_u32 v3, v2, 16, 1
	s_movk_i32 s2, 0x7fff
	v_add3_u32 v3, v2, v3, s2
	v_lshrrev_b32_e32 v3, 16, v3
	v_mov_b32_e32 v5, 0x7fc0
	v_cmp_o_f32_e32 vcc, v2, v2
	v_cndmask_b32_e32 v3, v5, v3, vcc
	global_store_short v[0:1], v3, off
	s_mov_b64 s[10:11], -1
	s_mov_b64 s[2:3], 0
.LBB39_801:
	s_mov_b64 s[12:13], 0
.LBB39_802:
	s_and_b64 vcc, exec, s[12:13]
	s_cbranch_vccz .LBB39_805
; %bb.803:
	v_mov_b32_e32 v3, 11
	v_cmp_eq_u16_sdwa s[12:13], s49, v3 src0_sel:BYTE_0 src1_sel:DWORD
	s_mov_b64 s[2:3], -1
	s_and_b64 vcc, exec, s[12:13]
	s_cbranch_vccz .LBB39_805
; %bb.804:
	v_cmp_neq_f32_e32 vcc, 0, v2
	v_cndmask_b32_e64 v3, 0, 1, vcc
	s_mov_b64 s[10:11], -1
	s_mov_b64 s[2:3], 0
	global_store_byte v[0:1], v3, off
.LBB39_805:
	s_mov_b64 s[12:13], 0
.LBB39_806:
	s_and_b64 vcc, exec, s[12:13]
	s_cbranch_vccz .LBB39_845
; %bb.807:
	v_mov_b32_e32 v3, 5
	v_cmp_lt_i16_sdwa s[12:13], s49, v3 src0_sel:BYTE_0 src1_sel:DWORD
	s_mov_b64 s[10:11], -1
	s_and_b64 vcc, exec, s[12:13]
	s_cbranch_vccnz .LBB39_828
; %bb.808:
	v_mov_b32_e32 v3, 8
	v_cmp_lt_i16_sdwa s[12:13], s49, v3 src0_sel:BYTE_0 src1_sel:DWORD
	s_and_b64 vcc, exec, s[12:13]
	s_cbranch_vccnz .LBB39_818
; %bb.809:
	v_mov_b32_e32 v3, 9
	v_cmp_lt_i16_sdwa s[12:13], s49, v3 src0_sel:BYTE_0 src1_sel:DWORD
	s_and_b64 vcc, exec, s[12:13]
	s_cbranch_vccnz .LBB39_815
; %bb.810:
	v_cmp_gt_i16_sdwa s[12:13], s49, v3 src0_sel:BYTE_0 src1_sel:DWORD
	s_and_b64 vcc, exec, s[12:13]
	s_cbranch_vccz .LBB39_812
; %bb.811:
	v_mov_b32_e32 v8, 0
	v_cvt_f64_f32_e32 v[6:7], v2
	v_mov_b32_e32 v9, v8
	s_mov_b64 s[10:11], 0
	global_store_dwordx4 v[0:1], v[6:9], off
.LBB39_812:
	s_andn2_b64 vcc, exec, s[10:11]
	s_cbranch_vccnz .LBB39_814
; %bb.813:
	v_mov_b32_e32 v3, 0
	global_store_dwordx2 v[0:1], v[2:3], off
.LBB39_814:
	s_mov_b64 s[10:11], 0
.LBB39_815:
	s_andn2_b64 vcc, exec, s[10:11]
	s_cbranch_vccnz .LBB39_817
; %bb.816:
	v_cvt_f16_f32_e32 v3, v2
	global_store_dword v[0:1], v3, off
.LBB39_817:
	s_mov_b64 s[10:11], 0
.LBB39_818:
	s_andn2_b64 vcc, exec, s[10:11]
	s_cbranch_vccnz .LBB39_827
; %bb.819:
	v_mov_b32_e32 v3, 6
	v_cmp_lt_i16_sdwa s[12:13], s49, v3 src0_sel:BYTE_0 src1_sel:DWORD
	s_mov_b64 s[10:11], -1
	s_and_b64 vcc, exec, s[12:13]
	s_cbranch_vccnz .LBB39_825
; %bb.820:
	v_cmp_gt_i16_sdwa s[12:13], s49, v3 src0_sel:BYTE_0 src1_sel:DWORD
	s_and_b64 vcc, exec, s[12:13]
	s_cbranch_vccz .LBB39_822
; %bb.821:
	v_cvt_f64_f32_e32 v[6:7], v2
	s_mov_b64 s[10:11], 0
	global_store_dwordx2 v[0:1], v[6:7], off
.LBB39_822:
	s_andn2_b64 vcc, exec, s[10:11]
	s_cbranch_vccnz .LBB39_824
; %bb.823:
	global_store_dword v[0:1], v2, off
.LBB39_824:
	s_mov_b64 s[10:11], 0
.LBB39_825:
	s_andn2_b64 vcc, exec, s[10:11]
	s_cbranch_vccnz .LBB39_827
; %bb.826:
	v_cvt_f16_f32_e32 v3, v2
	global_store_short v[0:1], v3, off
.LBB39_827:
	s_mov_b64 s[10:11], 0
.LBB39_828:
	s_andn2_b64 vcc, exec, s[10:11]
	s_cbranch_vccnz .LBB39_844
; %bb.829:
	v_mov_b32_e32 v3, 2
	v_cmp_lt_i16_sdwa s[12:13], s49, v3 src0_sel:BYTE_0 src1_sel:DWORD
	s_mov_b64 s[10:11], -1
	s_and_b64 vcc, exec, s[12:13]
	s_cbranch_vccnz .LBB39_839
; %bb.830:
	v_mov_b32_e32 v3, 3
	v_cmp_lt_i16_sdwa s[12:13], s49, v3 src0_sel:BYTE_0 src1_sel:DWORD
	s_and_b64 vcc, exec, s[12:13]
	s_cbranch_vccnz .LBB39_836
; %bb.831:
	v_cmp_gt_i16_sdwa s[12:13], s49, v3 src0_sel:BYTE_0 src1_sel:DWORD
	s_and_b64 vcc, exec, s[12:13]
	s_cbranch_vccz .LBB39_833
; %bb.832:
	v_trunc_f32_e32 v3, v2
	s_mov_b32 s10, 0x2f800000
	v_mul_f32_e64 v5, |v3|, s10
	v_floor_f32_e32 v5, v5
	s_mov_b32 s10, 0xcf800000
	v_cvt_u32_f32_e32 v6, v5
	v_fma_f32 v5, v5, s10, |v3|
	v_cvt_u32_f32_e32 v5, v5
	v_ashrrev_i32_e32 v3, 31, v3
	v_xor_b32_e32 v7, v6, v3
	s_mov_b64 s[10:11], 0
	v_xor_b32_e32 v5, v5, v3
	v_sub_co_u32_e32 v6, vcc, v5, v3
	v_subb_co_u32_e32 v7, vcc, v7, v3, vcc
	global_store_dwordx2 v[0:1], v[6:7], off
.LBB39_833:
	s_andn2_b64 vcc, exec, s[10:11]
	s_cbranch_vccnz .LBB39_835
; %bb.834:
	v_cvt_i32_f32_e32 v3, v2
	global_store_dword v[0:1], v3, off
.LBB39_835:
	s_mov_b64 s[10:11], 0
.LBB39_836:
	s_andn2_b64 vcc, exec, s[10:11]
	s_cbranch_vccnz .LBB39_838
; %bb.837:
	v_cvt_i32_f32_e32 v3, v2
	global_store_short v[0:1], v3, off
.LBB39_838:
	s_mov_b64 s[10:11], 0
.LBB39_839:
	s_andn2_b64 vcc, exec, s[10:11]
	s_cbranch_vccnz .LBB39_844
; %bb.840:
	v_mov_b32_e32 v3, 0
	v_cmp_gt_i16_sdwa s[12:13], s49, v3 src0_sel:BYTE_0 src1_sel:DWORD
	s_mov_b64 s[10:11], -1
	s_and_b64 vcc, exec, s[12:13]
	s_cbranch_vccz .LBB39_842
; %bb.841:
	v_cvt_i32_f32_e32 v3, v2
	s_mov_b64 s[10:11], 0
	global_store_byte v[0:1], v3, off
.LBB39_842:
	s_andn2_b64 vcc, exec, s[10:11]
	s_cbranch_vccnz .LBB39_844
; %bb.843:
	v_trunc_f32_e32 v2, v2
	s_mov_b32 s10, 0x2f800000
	v_mul_f32_e64 v3, |v2|, s10
	v_floor_f32_e32 v3, v3
	s_mov_b32 s10, 0xcf800000
	v_fma_f32 v3, v3, s10, |v2|
	v_cvt_u32_f32_e32 v3, v3
	v_ashrrev_i32_e32 v2, 31, v2
	v_xor_b32_e32 v3, v3, v2
	v_sub_u32_e32 v2, v3, v2
	global_store_byte v[0:1], v2, off
.LBB39_844:
	s_mov_b64 s[10:11], -1
.LBB39_845:
	s_andn2_b64 vcc, exec, s[10:11]
	s_cbranch_vccnz .LBB39_847
; %bb.846:
	v_add_u32_e32 v13, 0x80, v13
	s_mov_b64 s[10:11], -1
	s_branch .LBB39_849
.LBB39_847:
	s_mov_b64 s[10:11], 0
.LBB39_848:
                                        ; implicit-def: $vgpr13
.LBB39_849:
	s_andn2_b64 s[12:13], s[70:71], exec
	s_and_b64 s[2:3], s[2:3], exec
	s_or_b64 s[76:77], s[12:13], s[2:3]
	s_andn2_b64 s[2:3], s[68:69], exec
	s_and_b64 s[8:9], s[8:9], exec
	s_or_b64 s[2:3], s[2:3], s[8:9]
	s_orn2_b64 s[10:11], s[10:11], exec
.LBB39_850:
	s_or_b64 exec, exec, s[74:75]
	s_mov_b64 s[8:9], 0
	s_mov_b64 s[12:13], 0
	;; [unrolled: 1-line block ×3, first 2 shown]
                                        ; implicit-def: $vgpr2_vgpr3
                                        ; implicit-def: $vgpr0
                                        ; implicit-def: $vgpr6
	s_and_saveexec_b64 s[74:75], s[10:11]
	s_cbranch_execz .LBB39_950
; %bb.851:
	v_cmp_gt_i32_e32 vcc, s80, v13
	s_mov_b64 s[10:11], 0
	s_mov_b64 s[16:17], s[2:3]
                                        ; implicit-def: $vgpr2_vgpr3
                                        ; implicit-def: $vgpr0
                                        ; implicit-def: $vgpr6
	s_and_saveexec_b64 s[78:79], vcc
	s_cbranch_execz .LBB39_949
; %bb.852:
	s_andn2_b64 vcc, exec, s[44:45]
	s_cbranch_vccnz .LBB39_858
; %bb.853:
	s_mov_b32 s80, 0
	s_andn2_b64 vcc, exec, s[60:61]
	v_mov_b32_e32 v2, 0
	v_mov_b32_e32 v0, 0
	s_cbranch_vccnz .LBB39_864
; %bb.854:
	s_add_i32 s48, s81, 1
	s_cmp_eq_u32 s82, 2
	s_cbranch_scc1 .LBB39_859
; %bb.855:
	s_and_b32 s80, s48, 28
	s_mov_b32 s81, 0
	v_mov_b32_e32 v0, 0
	s_mov_b64 s[60:61], s[34:35]
	v_mov_b32_e32 v3, v13
	v_mov_b32_e32 v2, 0
.LBB39_856:                             ; =>This Inner Loop Header: Depth=1
	s_load_dwordx8 s[16:23], s[60:61], 0x4
	s_load_dwordx4 s[40:43], s[60:61], 0x24
	s_load_dwordx8 s[8:15], s[58:59], 0x0
	s_add_u32 s60, s60, 48
	s_addc_u32 s61, s61, 0
	s_waitcnt vmcnt(0) lgkmcnt(0)
	v_mul_hi_u32 v1, s17, v3
	v_add_u32_e32 v1, v3, v1
	v_lshrrev_b32_e32 v1, s18, v1
	v_mul_lo_u32 v5, v1, s16
	v_mul_hi_u32 v6, s20, v1
	v_sub_u32_e32 v3, v3, v5
	v_add_u32_e32 v5, v1, v6
	v_lshrrev_b32_e32 v5, s21, v5
	v_mul_lo_u32 v7, v5, s19
	v_mul_hi_u32 v8, s23, v5
	v_sub_u32_e32 v1, v1, v7
	v_add_u32_e32 v7, v5, v8
	v_mul_lo_u32 v6, v3, s9
	v_mul_lo_u32 v3, v3, s8
	;; [unrolled: 1-line block ×4, first 2 shown]
	v_lshrrev_b32_e32 v7, s40, v7
	v_add3_u32 v0, v3, v0, v1
	v_mul_hi_u32 v3, s42, v7
	v_add_u32_e32 v3, v7, v3
	v_lshrrev_b32_e32 v3, s43, v3
	s_add_i32 s81, s81, 4
	v_add3_u32 v1, v6, v2, v8
	v_mul_lo_u32 v2, v7, s22
	v_mul_lo_u32 v6, v3, s41
	s_add_u32 s58, s58, 32
	v_sub_u32_e32 v2, v5, v2
	v_sub_u32_e32 v6, v7, v6
	s_addc_u32 s59, s59, 0
	v_mul_lo_u32 v5, v2, s12
	v_mul_lo_u32 v2, v2, s13
	;; [unrolled: 1-line block ×4, first 2 shown]
	s_cmp_eq_u32 s80, s81
	v_add3_u32 v2, v2, v1, v6
	v_add3_u32 v0, v5, v0, v7
	s_cbranch_scc0 .LBB39_856
; %bb.857:
	v_mov_b32_e32 v1, v2
	s_branch .LBB39_860
.LBB39_858:
	s_mov_b64 s[8:9], -1
                                        ; implicit-def: $vgpr2
                                        ; implicit-def: $vgpr0
	s_branch .LBB39_865
.LBB39_859:
	s_mov_b32 s81, s80
	s_waitcnt vmcnt(0)
	v_pk_mov_b32 v[0:1], s[80:81], s[80:81] op_sel:[0,1]
                                        ; implicit-def: $vgpr2
	v_mov_b32_e32 v3, v13
.LBB39_860:
	s_and_b32 s12, s48, 3
	s_cmp_eq_u32 s12, 0
	s_cbranch_scc1 .LBB39_864
; %bb.861:
	s_lshl_b32 s8, s80, 3
	s_add_u32 s8, s8, s34
	s_addc_u32 s9, s35, 0
	s_add_u32 s8, s8, 0xc4
	s_addc_u32 s9, s9, 0
	s_mul_i32 s10, s80, 12
	s_add_u32 s10, s34, s10
	s_addc_u32 s11, s35, 0
.LBB39_862:                             ; =>This Inner Loop Header: Depth=1
	s_load_dwordx2 s[14:15], s[10:11], 0x4
	s_load_dword s13, s[10:11], 0xc
	s_load_dwordx2 s[16:17], s[8:9], 0x0
	v_mov_b32_e32 v2, v1
	s_add_u32 s10, s10, 12
	s_waitcnt lgkmcnt(0)
	v_mul_hi_u32 v1, s15, v3
	v_add_u32_e32 v1, v3, v1
	v_lshrrev_b32_e32 v1, s13, v1
	s_addc_u32 s11, s11, 0
	v_mul_lo_u32 v5, v1, s14
	s_add_u32 s8, s8, 8
	v_sub_u32_e32 v5, v3, v5
	v_mov_b32_e32 v3, v1
	s_addc_u32 s9, s9, 0
	s_add_i32 s12, s12, -1
	v_mad_u64_u32 v[6:7], s[14:15], v5, s17, v[2:3]
	v_mad_u64_u32 v[0:1], s[14:15], v5, s16, v[0:1]
	s_cmp_lg_u32 s12, 0
	v_mov_b32_e32 v1, v6
	s_cbranch_scc1 .LBB39_862
; %bb.863:
	v_mov_b32_e32 v2, v1
.LBB39_864:
	s_mov_b64 s[8:9], 0
.LBB39_865:
	s_andn2_b64 vcc, exec, s[8:9]
	s_cbranch_vccnz .LBB39_868
; %bb.866:
	v_mul_hi_u32 v0, s29, v13
	v_add_u32_e32 v0, v13, v0
	s_waitcnt vmcnt(0)
	v_lshrrev_b32_e32 v1, s30, v0
	v_mul_lo_u32 v0, v1, s28
	v_sub_u32_e32 v0, v13, v0
	s_waitcnt lgkmcnt(0)
	v_mul_lo_u32 v2, v0, s37
	s_andn2_b64 vcc, exec, s[56:57]
	v_mul_lo_u32 v0, v0, s36
	s_cbranch_vccnz .LBB39_868
; %bb.867:
	v_mul_hi_u32 v3, s54, v1
	v_add_u32_e32 v3, v1, v3
	v_lshrrev_b32_e32 v3, s55, v3
	v_mul_lo_u32 v3, v3, s31
	v_sub_u32_e32 v3, v1, v3
	v_mad_u64_u32 v[0:1], s[8:9], v3, s38, v[0:1]
	v_mad_u64_u32 v[2:3], s[8:9], v3, s39, v[2:3]
.LBB39_868:
	s_waitcnt vmcnt(0) lgkmcnt(0)
	v_mov_b32_e32 v1, s27
	v_add_co_u32_e32 v2, vcc, s26, v2
	v_addc_co_u32_e32 v3, vcc, 0, v1, vcc
	v_cmp_gt_i16_e32 vcc, 11, v4
	s_cbranch_vccnz .LBB39_875
; %bb.869:
	v_cmp_lt_i16_e32 vcc, 25, v4
	s_mov_b64 s[10:11], 0
	s_cbranch_vccz .LBB39_876
; %bb.870:
	v_cmp_lt_i16_e32 vcc, 28, v4
	s_cbranch_vccz .LBB39_877
; %bb.871:
	v_cmp_lt_i16_e32 vcc, 43, v4
	;; [unrolled: 3-line block ×3, first 2 shown]
	s_cbranch_vccz .LBB39_881
; %bb.873:
	v_cmp_eq_u16_e32 vcc, 46, v4
	s_mov_b64 s[14:15], 0
	s_cbranch_vccz .LBB39_884
; %bb.874:
	global_load_dword v1, v[2:3], off
	s_mov_b64 s[8:9], 0
	s_mov_b64 s[12:13], -1
	s_waitcnt vmcnt(0)
	v_lshlrev_b32_e32 v6, 16, v1
	s_branch .LBB39_885
.LBB39_875:
	s_mov_b64 s[16:17], -1
	s_mov_b64 s[12:13], 0
	s_mov_b64 s[10:11], 0
	;; [unrolled: 1-line block ×3, first 2 shown]
                                        ; implicit-def: $vgpr6
	s_branch .LBB39_948
.LBB39_876:
	s_mov_b64 s[14:15], -1
	s_mov_b64 s[12:13], 0
	s_mov_b64 s[8:9], s[2:3]
                                        ; implicit-def: $vgpr6
	s_branch .LBB39_914
.LBB39_877:
	s_mov_b64 s[14:15], -1
	s_mov_b64 s[12:13], 0
	s_mov_b64 s[8:9], s[2:3]
                                        ; implicit-def: $vgpr6
	s_branch .LBB39_895
.LBB39_878:
	s_mov_b64 s[14:15], -1
	s_mov_b64 s[12:13], 0
	s_mov_b64 s[8:9], s[2:3]
                                        ; implicit-def: $vgpr6
	s_branch .LBB39_890
.LBB39_879:
	s_or_saveexec_b64 s[14:15], s[14:15]
                                        ; implicit-def: $sgpr16
	s_xor_b64 exec, exec, s[14:15]
	s_cbranch_execz .LBB39_758
.LBB39_880:
	s_mov_b32 s16, 0x46000000
	v_add_f32_e64 v3, |v2|, s16
	v_and_b32_e32 v3, 0xff, v3
	v_cmp_ne_u32_e32 vcc, 0, v3
	s_andn2_b64 s[12:13], s[12:13], exec
	s_and_b64 s[18:19], vcc, exec
	s_mov_b32 s16, 0
	s_or_b64 s[12:13], s[12:13], s[18:19]
	s_or_b64 exec, exec, s[14:15]
	v_mov_b32_e32 v5, s16
	s_and_saveexec_b64 s[14:15], s[12:13]
	s_cbranch_execnz .LBB39_759
	s_branch .LBB39_760
.LBB39_881:
	s_mov_b64 s[14:15], -1
	s_mov_b64 s[12:13], 0
	s_mov_b64 s[8:9], s[2:3]
                                        ; implicit-def: $vgpr6
	s_branch .LBB39_885
.LBB39_882:
	s_or_saveexec_b64 s[14:15], s[14:15]
                                        ; implicit-def: $sgpr16
	s_xor_b64 exec, exec, s[14:15]
	s_cbranch_execz .LBB39_771
.LBB39_883:
	s_mov_b32 s16, 0x42800000
	v_add_f32_e64 v3, |v2|, s16
	v_and_b32_e32 v3, 0xff, v3
	v_cmp_ne_u32_e32 vcc, 0, v3
	s_andn2_b64 s[12:13], s[12:13], exec
	s_and_b64 s[18:19], vcc, exec
	s_mov_b32 s16, 0
	s_or_b64 s[12:13], s[12:13], s[18:19]
	s_or_b64 exec, exec, s[14:15]
	v_mov_b32_e32 v5, s16
	s_and_saveexec_b64 s[14:15], s[12:13]
	s_cbranch_execnz .LBB39_772
	s_branch .LBB39_773
.LBB39_884:
	s_mov_b64 s[8:9], -1
                                        ; implicit-def: $vgpr6
	s_mov_b64 s[12:13], 0
.LBB39_885:
	s_and_b64 vcc, exec, s[14:15]
	s_cbranch_vccz .LBB39_889
; %bb.886:
	v_cmp_eq_u16_e32 vcc, 44, v4
	s_cbranch_vccz .LBB39_888
; %bb.887:
	global_load_ubyte v1, v[2:3], off
	s_movk_i32 s12, 0xff
	v_mov_b32_e32 v5, 0x7f800001
	v_mov_b32_e32 v6, 0x400000
	s_mov_b64 s[8:9], 0
	s_waitcnt vmcnt(0)
	v_lshlrev_b32_e32 v7, 23, v1
	v_cmp_ne_u32_e32 vcc, s12, v1
	v_cndmask_b32_e32 v5, v5, v7, vcc
	v_cmp_ne_u32_e32 vcc, 0, v1
	v_cndmask_b32_e32 v6, v6, v5, vcc
	s_mov_b64 s[12:13], -1
	s_branch .LBB39_889
.LBB39_888:
	s_mov_b64 s[8:9], -1
                                        ; implicit-def: $vgpr6
.LBB39_889:
	s_mov_b64 s[14:15], 0
.LBB39_890:
	s_and_b64 vcc, exec, s[14:15]
	s_cbranch_vccz .LBB39_894
; %bb.891:
	v_cmp_eq_u16_e32 vcc, 29, v4
	s_cbranch_vccz .LBB39_893
; %bb.892:
	global_load_dwordx2 v[6:7], v[2:3], off
	s_mov_b64 s[8:9], 0
	s_mov_b64 s[12:13], -1
	s_mov_b64 s[14:15], 0
	s_waitcnt vmcnt(0)
	v_ffbh_u32_e32 v1, v7
	v_min_u32_e32 v1, 32, v1
	v_lshlrev_b64 v[6:7], v1, v[6:7]
	v_min_u32_e32 v5, 1, v6
	v_or_b32_e32 v5, v7, v5
	v_cvt_f32_u32_e32 v5, v5
	v_sub_u32_e32 v1, 32, v1
	v_ldexp_f32 v6, v5, v1
	s_branch .LBB39_895
.LBB39_893:
	s_mov_b64 s[8:9], -1
                                        ; implicit-def: $vgpr6
.LBB39_894:
	s_mov_b64 s[14:15], 0
.LBB39_895:
	s_and_b64 vcc, exec, s[14:15]
	s_cbranch_vccz .LBB39_913
; %bb.896:
	v_cmp_gt_i16_e32 vcc, 27, v4
	s_cbranch_vccnz .LBB39_899
; %bb.897:
	v_cmp_lt_i16_e32 vcc, 27, v4
	s_cbranch_vccz .LBB39_900
; %bb.898:
	global_load_dword v1, v[2:3], off
	s_mov_b64 s[12:13], 0
	s_waitcnt vmcnt(0)
	v_cvt_f32_u32_e32 v6, v1
	s_branch .LBB39_901
.LBB39_899:
	s_mov_b64 s[12:13], -1
                                        ; implicit-def: $vgpr6
	s_branch .LBB39_904
.LBB39_900:
	s_mov_b64 s[12:13], -1
                                        ; implicit-def: $vgpr6
.LBB39_901:
	s_andn2_b64 vcc, exec, s[12:13]
	s_cbranch_vccnz .LBB39_903
; %bb.902:
	global_load_ushort v1, v[2:3], off
	s_waitcnt vmcnt(0)
	v_cvt_f32_u32_e32 v6, v1
.LBB39_903:
	s_mov_b64 s[12:13], 0
.LBB39_904:
	s_andn2_b64 vcc, exec, s[12:13]
	s_cbranch_vccnz .LBB39_912
; %bb.905:
	global_load_ubyte v1, v[2:3], off
	s_movk_i32 s12, 0x7f
                                        ; implicit-def: $sgpr18
	s_waitcnt vmcnt(0)
	v_cmp_lt_i16_e32 vcc, s12, v1
	s_mov_b64 s[12:13], 0
	s_and_saveexec_b64 s[14:15], vcc
	s_xor_b64 s[14:15], exec, s[14:15]
	s_cbranch_execz .LBB39_926
; %bb.906:
	s_movk_i32 s12, 0x80
	v_cmp_eq_u16_e32 vcc, s12, v1
	s_mov_b64 s[12:13], -1
                                        ; implicit-def: $sgpr18
	s_and_saveexec_b64 s[16:17], vcc
; %bb.907:
	s_mov_b32 s18, 0x7f800001
	s_xor_b64 s[12:13], exec, -1
; %bb.908:
	s_or_b64 exec, exec, s[16:17]
	s_and_b64 s[12:13], s[12:13], exec
	s_or_saveexec_b64 s[14:15], s[14:15]
	v_mov_b32_e32 v6, s18
	s_xor_b64 exec, exec, s[14:15]
	s_cbranch_execnz .LBB39_927
.LBB39_909:
	s_or_b64 exec, exec, s[14:15]
	s_and_saveexec_b64 s[14:15], s[12:13]
	s_cbranch_execz .LBB39_911
.LBB39_910:
	v_lshlrev_b32_e32 v5, 24, v1
	v_and_b32_e32 v1, 0xffff, v1
	v_and_b32_e32 v6, 7, v1
	v_ffbh_u32_e32 v8, v6
	v_min_u32_e32 v8, 32, v8
	v_subrev_u32_e32 v9, 28, v8
	v_bfe_u32 v7, v1, 3, 4
	v_lshlrev_b32_e32 v1, v9, v1
	v_sub_u32_e32 v8, 29, v8
	v_and_b32_e32 v1, 7, v1
	v_cmp_eq_u32_e32 vcc, 0, v7
	v_cndmask_b32_e32 v7, v7, v8, vcc
	v_cndmask_b32_e32 v1, v6, v1, vcc
	v_mov_b32_e32 v6, 0x3b800000
	v_lshlrev_b32_e32 v1, 20, v1
	v_and_b32_e32 v5, 0x80000000, v5
	v_lshl_add_u32 v6, v7, 23, v6
	v_or3_b32 v6, v5, v6, v1
.LBB39_911:
	s_or_b64 exec, exec, s[14:15]
.LBB39_912:
	s_mov_b64 s[12:13], -1
.LBB39_913:
	s_mov_b64 s[14:15], 0
.LBB39_914:
	s_and_b64 vcc, exec, s[14:15]
	s_cbranch_vccz .LBB39_947
; %bb.915:
	v_cmp_lt_i16_e32 vcc, 22, v4
	s_cbranch_vccz .LBB39_925
; %bb.916:
	v_cmp_gt_i16_e32 vcc, 24, v4
	s_cbranch_vccnz .LBB39_928
; %bb.917:
	v_cmp_lt_i16_e32 vcc, 24, v4
	s_cbranch_vccz .LBB39_929
; %bb.918:
	global_load_ubyte v1, v[2:3], off
	s_movk_i32 s10, 0x7f
                                        ; implicit-def: $sgpr16
	s_waitcnt vmcnt(0)
	v_cmp_lt_i16_e32 vcc, s10, v1
	s_mov_b64 s[10:11], 0
	s_and_saveexec_b64 s[12:13], vcc
	s_xor_b64 s[12:13], exec, s[12:13]
	s_cbranch_execz .LBB39_941
; %bb.919:
	s_movk_i32 s10, 0x80
	v_cmp_eq_u16_e32 vcc, s10, v1
	s_mov_b64 s[10:11], -1
                                        ; implicit-def: $sgpr16
	s_and_saveexec_b64 s[14:15], vcc
; %bb.920:
	s_mov_b32 s16, 0x7f800001
	s_xor_b64 s[10:11], exec, -1
; %bb.921:
	s_or_b64 exec, exec, s[14:15]
	s_and_b64 s[10:11], s[10:11], exec
	s_or_saveexec_b64 s[12:13], s[12:13]
	v_mov_b32_e32 v6, s16
	s_xor_b64 exec, exec, s[12:13]
	s_cbranch_execnz .LBB39_942
.LBB39_922:
	s_or_b64 exec, exec, s[12:13]
	s_and_saveexec_b64 s[12:13], s[10:11]
	s_cbranch_execz .LBB39_924
.LBB39_923:
	v_lshlrev_b32_e32 v5, 24, v1
	v_and_b32_e32 v1, 0xffff, v1
	v_and_b32_e32 v6, 3, v1
	v_ffbh_u32_e32 v8, v6
	v_min_u32_e32 v8, 32, v8
	v_subrev_u32_e32 v9, 29, v8
	v_bfe_u32 v7, v1, 2, 5
	v_lshlrev_b32_e32 v1, v9, v1
	v_sub_u32_e32 v8, 30, v8
	v_and_b32_e32 v1, 3, v1
	v_cmp_eq_u32_e32 vcc, 0, v7
	v_cndmask_b32_e32 v7, v7, v8, vcc
	v_cndmask_b32_e32 v1, v6, v1, vcc
	v_mov_b32_e32 v6, 0x37800000
	v_lshlrev_b32_e32 v1, 21, v1
	v_and_b32_e32 v5, 0x80000000, v5
	v_lshl_add_u32 v6, v7, 23, v6
	v_or3_b32 v6, v5, v6, v1
.LBB39_924:
	s_or_b64 exec, exec, s[12:13]
	s_mov_b64 s[10:11], 0
	s_branch .LBB39_930
.LBB39_925:
	s_mov_b64 s[10:11], -1
                                        ; implicit-def: $vgpr6
	s_branch .LBB39_936
.LBB39_926:
	s_or_saveexec_b64 s[14:15], s[14:15]
	v_mov_b32_e32 v6, s18
	s_xor_b64 exec, exec, s[14:15]
	s_cbranch_execz .LBB39_909
.LBB39_927:
	v_cmp_ne_u16_e32 vcc, 0, v1
	s_andn2_b64 s[12:13], s[12:13], exec
	s_and_b64 s[16:17], vcc, exec
	v_mov_b32_e32 v6, 0
	s_or_b64 s[12:13], s[12:13], s[16:17]
	s_or_b64 exec, exec, s[14:15]
	s_and_saveexec_b64 s[14:15], s[12:13]
	s_cbranch_execnz .LBB39_910
	s_branch .LBB39_911
.LBB39_928:
	s_mov_b64 s[10:11], -1
                                        ; implicit-def: $vgpr6
	s_branch .LBB39_933
.LBB39_929:
	s_mov_b64 s[10:11], -1
                                        ; implicit-def: $vgpr6
.LBB39_930:
	s_and_b64 vcc, exec, s[10:11]
	s_cbranch_vccz .LBB39_932
; %bb.931:
	global_load_ubyte v1, v[2:3], off
	s_mov_b32 s10, 0x7f800000
	s_waitcnt vmcnt(0)
	v_lshlrev_b32_e32 v1, 24, v1
	v_and_b32_e32 v5, 0x7f000000, v1
	v_ffbh_u32_e32 v6, v5
	v_min_u32_e32 v6, 32, v6
	v_sub_u32_e64 v6, v6, 4 clamp
	v_lshlrev_b32_e32 v8, v6, v5
	v_lshlrev_b32_e32 v6, 23, v6
	v_lshrrev_b32_e32 v8, 4, v8
	v_add_u32_e32 v7, 0x1000000, v5
	v_sub_u32_e32 v6, v8, v6
	v_ashrrev_i32_e32 v7, 8, v7
	v_add_u32_e32 v6, 0x3c000000, v6
	v_and_or_b32 v6, v7, s10, v6
	v_cmp_ne_u32_e32 vcc, 0, v5
	v_cndmask_b32_e32 v5, 0, v6, vcc
	s_brev_b32 s10, 1
	v_and_or_b32 v6, v1, s10, v5
.LBB39_932:
	s_mov_b64 s[10:11], 0
.LBB39_933:
	s_andn2_b64 vcc, exec, s[10:11]
	s_cbranch_vccnz .LBB39_935
; %bb.934:
	global_load_ubyte v1, v[2:3], off
	s_movk_i32 s10, 0x7f00
	s_brev_b32 s11, 16
	s_waitcnt vmcnt(0)
	v_lshlrev_b16_e32 v5, 8, v1
	v_lshlrev_b32_e32 v1, 25, v1
	v_lshrrev_b32_e32 v6, 4, v1
	v_and_or_b32 v7, v5, s10, 0.5
	v_or_b32_e32 v6, 0x70000000, v6
	v_add_f32_e32 v7, -0.5, v7
	v_mul_f32_e32 v6, 0x7800000, v6
	v_cmp_gt_u32_e32 vcc, s11, v1
	v_bfe_i32 v5, v5, 0, 16
	v_cndmask_b32_e32 v1, v6, v7, vcc
	s_brev_b32 s10, 1
	v_and_or_b32 v6, v5, s10, v1
.LBB39_935:
	s_mov_b64 s[10:11], 0
	s_mov_b64 s[12:13], -1
.LBB39_936:
	s_andn2_b64 vcc, exec, s[10:11]
	s_mov_b64 s[10:11], 0
	s_cbranch_vccnz .LBB39_947
; %bb.937:
	v_cmp_lt_i16_e32 vcc, 14, v4
	s_cbranch_vccz .LBB39_940
; %bb.938:
	v_cmp_eq_u16_e32 vcc, 15, v4
	s_cbranch_vccz .LBB39_943
; %bb.939:
	global_load_ushort v1, v[2:3], off
	s_mov_b64 s[8:9], 0
	s_mov_b64 s[12:13], -1
	s_waitcnt vmcnt(0)
	v_lshlrev_b32_e32 v6, 16, v1
	s_branch .LBB39_944
.LBB39_940:
	s_mov_b64 s[14:15], -1
                                        ; implicit-def: $vgpr6
	s_branch .LBB39_945
.LBB39_941:
	s_or_saveexec_b64 s[12:13], s[12:13]
	v_mov_b32_e32 v6, s16
	s_xor_b64 exec, exec, s[12:13]
	s_cbranch_execz .LBB39_922
.LBB39_942:
	v_cmp_ne_u16_e32 vcc, 0, v1
	s_andn2_b64 s[10:11], s[10:11], exec
	s_and_b64 s[14:15], vcc, exec
	v_mov_b32_e32 v6, 0
	s_or_b64 s[10:11], s[10:11], s[14:15]
	s_or_b64 exec, exec, s[12:13]
	s_and_saveexec_b64 s[12:13], s[10:11]
	s_cbranch_execnz .LBB39_923
	s_branch .LBB39_924
.LBB39_943:
	s_mov_b64 s[8:9], -1
                                        ; implicit-def: $vgpr6
.LBB39_944:
	s_mov_b64 s[14:15], 0
.LBB39_945:
	s_and_b64 vcc, exec, s[14:15]
	s_cbranch_vccz .LBB39_947
; %bb.946:
	v_cmp_ne_u16_e32 vcc, 11, v4
	s_andn2_b64 s[8:9], s[8:9], exec
	s_and_b64 s[14:15], vcc, exec
	s_mov_b64 s[10:11], -1
	s_or_b64 s[8:9], s[8:9], s[14:15]
                                        ; implicit-def: $vgpr6
.LBB39_947:
	s_mov_b64 s[16:17], 0
.LBB39_948:
	s_and_b64 s[14:15], s[12:13], exec
	s_and_b64 s[12:13], s[16:17], exec
	s_andn2_b64 s[16:17], s[2:3], exec
	s_and_b64 s[8:9], s[8:9], exec
	s_and_b64 s[10:11], s[10:11], exec
	s_or_b64 s[16:17], s[16:17], s[8:9]
.LBB39_949:
	s_or_b64 exec, exec, s[78:79]
	s_and_b64 s[8:9], s[10:11], exec
	s_andn2_b64 s[2:3], s[2:3], exec
	s_and_b64 s[10:11], s[16:17], exec
	s_and_b64 s[14:15], s[14:15], exec
	;; [unrolled: 1-line block ×3, first 2 shown]
	s_or_b64 s[2:3], s[2:3], s[10:11]
.LBB39_950:
	s_or_b64 exec, exec, s[74:75]
	s_andn2_b64 s[10:11], s[70:71], exec
	s_and_b64 s[16:17], s[76:77], exec
	s_or_b64 s[70:71], s[10:11], s[16:17]
	s_and_b64 s[10:11], s[14:15], exec
	s_andn2_b64 s[14:15], s[68:69], exec
	s_and_b64 s[2:3], s[2:3], exec
	s_and_b64 s[12:13], s[12:13], exec
	;; [unrolled: 1-line block ×3, first 2 shown]
	s_or_b64 s[68:69], s[14:15], s[2:3]
.LBB39_951:
	s_or_b64 exec, exec, s[72:73]
	s_andn2_b64 s[2:3], s[62:63], exec
	s_and_b64 s[14:15], s[70:71], exec
	s_or_b64 s[62:63], s[2:3], s[14:15]
	s_and_b64 s[70:71], s[8:9], exec
	s_andn2_b64 s[2:3], s[64:65], exec
	s_and_b64 s[8:9], s[68:69], exec
	s_and_b64 s[10:11], s[10:11], exec
	s_and_b64 s[12:13], s[12:13], exec
	s_or_b64 s[64:65], s[2:3], s[8:9]
	s_or_b64 exec, exec, s[66:67]
	s_mov_b64 s[2:3], 0
	s_and_saveexec_b64 s[8:9], s[64:65]
	s_cbranch_execz .LBB39_286
.LBB39_952:
	s_mov_b64 s[2:3], exec
	s_andn2_b64 s[70:71], s[70:71], exec
	s_trap 2
                                        ; implicit-def: $vgpr6
	s_or_b64 exec, exec, s[8:9]
	s_and_saveexec_b64 s[8:9], s[70:71]
	s_xor_b64 s[8:9], exec, s[8:9]
	s_cbranch_execnz .LBB39_287
.LBB39_953:
	s_or_b64 exec, exec, s[8:9]
	s_and_saveexec_b64 s[8:9], s[12:13]
	s_cbranch_execz .LBB39_999
.LBB39_954:
	v_cmp_gt_i16_e32 vcc, 5, v4
	s_cbranch_vccnz .LBB39_959
; %bb.955:
	v_cmp_gt_i16_e32 vcc, 8, v4
	s_cbranch_vccnz .LBB39_960
; %bb.956:
	;; [unrolled: 3-line block ×3, first 2 shown]
	v_cmp_lt_i16_e32 vcc, 9, v4
	s_cbranch_vccz .LBB39_962
; %bb.958:
	global_load_dwordx2 v[6:7], v[2:3], off
	s_mov_b64 s[12:13], 0
	s_waitcnt vmcnt(0)
	v_cvt_f32_f64_e32 v6, v[6:7]
	s_branch .LBB39_963
.LBB39_959:
                                        ; implicit-def: $vgpr6
	s_branch .LBB39_980
.LBB39_960:
                                        ; implicit-def: $vgpr6
	s_branch .LBB39_969
.LBB39_961:
	s_mov_b64 s[12:13], -1
                                        ; implicit-def: $vgpr6
	s_branch .LBB39_966
.LBB39_962:
	s_mov_b64 s[12:13], -1
                                        ; implicit-def: $vgpr6
.LBB39_963:
	s_andn2_b64 vcc, exec, s[12:13]
	s_cbranch_vccnz .LBB39_965
; %bb.964:
	global_load_dword v6, v[2:3], off
.LBB39_965:
	s_mov_b64 s[12:13], 0
.LBB39_966:
	s_andn2_b64 vcc, exec, s[12:13]
	s_cbranch_vccnz .LBB39_968
; %bb.967:
	global_load_dword v1, v[2:3], off
	s_waitcnt vmcnt(0)
	v_cvt_f32_f16_e32 v6, v1
.LBB39_968:
	s_cbranch_execnz .LBB39_979
.LBB39_969:
	v_cmp_gt_i16_e32 vcc, 6, v4
	s_cbranch_vccnz .LBB39_972
; %bb.970:
	v_cmp_lt_i16_e32 vcc, 6, v4
	s_cbranch_vccz .LBB39_973
; %bb.971:
	global_load_dwordx2 v[6:7], v[2:3], off
	s_mov_b64 s[12:13], 0
	s_waitcnt vmcnt(0)
	v_cvt_f32_f64_e32 v6, v[6:7]
	s_branch .LBB39_974
.LBB39_972:
	s_mov_b64 s[12:13], -1
                                        ; implicit-def: $vgpr6
	s_branch .LBB39_977
.LBB39_973:
	s_mov_b64 s[12:13], -1
                                        ; implicit-def: $vgpr6
.LBB39_974:
	s_andn2_b64 vcc, exec, s[12:13]
	s_cbranch_vccnz .LBB39_976
; %bb.975:
	global_load_dword v6, v[2:3], off
.LBB39_976:
	s_mov_b64 s[12:13], 0
.LBB39_977:
	s_andn2_b64 vcc, exec, s[12:13]
	s_cbranch_vccnz .LBB39_979
; %bb.978:
	global_load_ushort v1, v[2:3], off
	s_waitcnt vmcnt(0)
	v_cvt_f32_f16_e32 v6, v1
.LBB39_979:
	s_cbranch_execnz .LBB39_998
.LBB39_980:
	v_cmp_gt_i16_e32 vcc, 2, v4
	s_cbranch_vccnz .LBB39_984
; %bb.981:
	v_cmp_gt_i16_e32 vcc, 3, v4
	s_cbranch_vccnz .LBB39_985
; %bb.982:
	v_cmp_lt_i16_e32 vcc, 3, v4
	s_cbranch_vccz .LBB39_986
; %bb.983:
	global_load_dwordx2 v[6:7], v[2:3], off
	s_mov_b64 s[12:13], 0
	s_waitcnt vmcnt(0)
	v_xor_b32_e32 v5, v6, v7
	v_ffbh_i32_e32 v1, v7
	v_ashrrev_i32_e32 v5, 31, v5
	v_add_u32_e32 v1, -1, v1
	v_add_u32_e32 v5, 32, v5
	v_min_u32_e32 v1, v1, v5
	v_lshlrev_b64 v[6:7], v1, v[6:7]
	v_min_u32_e32 v5, 1, v6
	v_or_b32_e32 v5, v7, v5
	v_cvt_f32_i32_e32 v5, v5
	v_sub_u32_e32 v1, 32, v1
	v_ldexp_f32 v6, v5, v1
	s_branch .LBB39_987
.LBB39_984:
                                        ; implicit-def: $vgpr6
	s_branch .LBB39_993
.LBB39_985:
	s_mov_b64 s[12:13], -1
                                        ; implicit-def: $vgpr6
	s_branch .LBB39_990
.LBB39_986:
	s_mov_b64 s[12:13], -1
                                        ; implicit-def: $vgpr6
.LBB39_987:
	s_andn2_b64 vcc, exec, s[12:13]
	s_cbranch_vccnz .LBB39_989
; %bb.988:
	global_load_dword v1, v[2:3], off
	s_waitcnt vmcnt(0)
	v_cvt_f32_i32_e32 v6, v1
.LBB39_989:
	s_mov_b64 s[12:13], 0
.LBB39_990:
	s_andn2_b64 vcc, exec, s[12:13]
	s_cbranch_vccnz .LBB39_992
; %bb.991:
	global_load_sshort v1, v[2:3], off
	s_waitcnt vmcnt(0)
	v_cvt_f32_i32_e32 v6, v1
.LBB39_992:
	s_cbranch_execnz .LBB39_998
.LBB39_993:
	v_cmp_lt_i16_e32 vcc, 0, v4
	s_cbranch_vccz .LBB39_995
; %bb.994:
	global_load_sbyte v1, v[2:3], off
	s_mov_b64 s[12:13], 0
	s_waitcnt vmcnt(0)
	v_cvt_f32_i32_e32 v6, v1
	s_branch .LBB39_996
.LBB39_995:
	s_mov_b64 s[12:13], -1
                                        ; implicit-def: $vgpr6
.LBB39_996:
	s_andn2_b64 vcc, exec, s[12:13]
	s_cbranch_vccnz .LBB39_998
; %bb.997:
	global_load_ubyte v1, v[2:3], off
	s_waitcnt vmcnt(0)
	v_cvt_f32_ubyte0_e32 v6, v1
.LBB39_998:
	s_or_b64 s[10:11], s[10:11], exec
.LBB39_999:
	s_or_b64 exec, exec, s[8:9]
	s_mov_b64 s[14:15], 0
	s_mov_b64 s[12:13], 0
                                        ; implicit-def: $vgpr1
                                        ; implicit-def: $vgpr4_vgpr5
                                        ; implicit-def: $vgpr2
	s_and_saveexec_b64 s[8:9], s[10:11]
	s_cbranch_execz .LBB39_1007
; %bb.1000:
	s_andn2_b64 vcc, exec, s[52:53]
	v_mov_b32_e32 v2, 0
	s_cbranch_vccnz .LBB39_1013
; %bb.1001:
	v_cmp_lt_i64_e64 s[10:11], s[50:51], 1
	s_and_b64 vcc, exec, s[10:11]
	v_mov_b32_e32 v2, 1.0
	s_cbranch_vccnz .LBB39_1013
; %bb.1002:
	s_cmp_lg_u64 s[50:51], 1
	s_cbranch_scc0 .LBB39_1010
; %bb.1003:
	s_andn2_b64 vcc, exec, s[0:1]
	v_mov_b32_e32 v2, 0x7fc00000
	s_cbranch_vccnz .LBB39_1006
; %bb.1004:
	s_mov_b64 s[0:1], 1
	s_waitcnt vmcnt(0)
	v_mov_b32_e32 v1, 1.0
	v_mov_b32_e32 v2, v6
.LBB39_1005:                            ; =>This Inner Loop Header: Depth=1
	s_flbit_i32_b32 s10, s1
	s_min_u32 s12, s10, 32
	s_lshl_b64 s[10:11], s[0:1], s12
	s_min_u32 s10, s10, 1
	s_or_b32 s10, s11, s10
	v_cvt_f32_u32_e32 v3, s10
	s_sub_i32 s12, 32, s12
	s_add_u32 s0, s0, 1
	s_addc_u32 s1, s1, 0
	v_ldexp_f32 v3, v3, s12
	v_mul_f32_e32 v3, v1, v3
	s_cmp_lg_u64 s[50:51], s[0:1]
	v_mov_b32_e32 v1, v2
	v_fma_f32 v2, v6, v2, -v3
	s_cbranch_scc1 .LBB39_1005
.LBB39_1006:
	s_mov_b64 s[0:1], 0
	s_branch .LBB39_1011
.LBB39_1007:
	s_or_b64 exec, exec, s[8:9]
	s_and_saveexec_b64 s[0:1], s[62:63]
	s_cbranch_execnz .LBB39_1090
.LBB39_1008:
	s_or_b64 exec, exec, s[0:1]
	s_and_saveexec_b64 s[0:1], s[14:15]
	s_xor_b64 s[0:1], exec, s[0:1]
	s_cbranch_execz .LBB39_1091
.LBB39_1009:
	v_cmp_neq_f32_e32 vcc, 0, v2
	v_cndmask_b32_e64 v0, 0, 1, vcc
	global_store_byte v[4:5], v0, off
	s_or_b64 exec, exec, s[0:1]
	s_and_saveexec_b64 s[0:1], s[12:13]
	s_xor_b64 s[0:1], exec, s[0:1]
	s_cbranch_execz .LBB39_1129
	s_branch .LBB39_1092
.LBB39_1010:
	s_mov_b64 s[0:1], -1
                                        ; implicit-def: $vgpr2
.LBB39_1011:
	s_andn2_b64 vcc, exec, s[0:1]
	s_cbranch_vccnz .LBB39_1013
; %bb.1012:
	s_waitcnt vmcnt(0)
	v_mov_b32_e32 v2, v6
.LBB39_1013:
	s_waitcnt vmcnt(0) lgkmcnt(0)
	v_mov_b32_e32 v1, s25
	v_add_co_u32_e32 v4, vcc, s24, v0
	v_mov_b32_e32 v0, 0xff
	v_addc_co_u32_e32 v5, vcc, 0, v1, vcc
	v_and_b32_e32 v1, s49, v0
	v_cmp_gt_i16_e32 vcc, 11, v1
	s_cbranch_vccnz .LBB39_1030
; %bb.1014:
	v_cmp_lt_i16_e32 vcc, 25, v1
	s_mov_b64 s[12:13], -1
	s_mov_b64 s[0:1], s[62:63]
	s_cbranch_vccz .LBB39_1048
; %bb.1015:
	v_cmp_lt_i16_e32 vcc, 28, v1
	s_mov_b64 s[10:11], -1
	s_mov_b64 s[0:1], s[62:63]
	s_cbranch_vccz .LBB39_1032
; %bb.1016:
	v_cmp_lt_i16_e32 vcc, 43, v1
	s_mov_b64 s[0:1], s[62:63]
	s_cbranch_vccz .LBB39_1027
; %bb.1017:
	v_cmp_lt_i16_e32 vcc, 45, v1
	s_mov_b64 s[0:1], s[62:63]
	s_cbranch_vccz .LBB39_1021
; %bb.1018:
	v_cmp_eq_u16_e32 vcc, 46, v1
	s_mov_b64 s[0:1], -1
	s_cbranch_vccz .LBB39_1020
; %bb.1019:
	v_bfe_u32 v0, v2, 16, 1
	s_movk_i32 s0, 0x7fff
	v_add3_u32 v0, v2, v0, s0
	v_lshrrev_b32_e32 v0, 16, v0
	v_mov_b32_e32 v3, 0x7fc0
	v_cmp_o_f32_e32 vcc, v2, v2
	v_cndmask_b32_e32 v0, v3, v0, vcc
	global_store_dword v[4:5], v0, off
	s_mov_b64 s[0:1], 0
.LBB39_1020:
	s_mov_b64 s[10:11], 0
.LBB39_1021:
	s_and_b64 vcc, exec, s[10:11]
	s_cbranch_vccz .LBB39_1026
; %bb.1022:
	v_cmp_eq_u16_e32 vcc, 44, v1
	s_mov_b64 s[0:1], -1
	s_cbranch_vccz .LBB39_1026
; %bb.1023:
	v_bfe_u32 v0, v2, 23, 8
	s_movk_i32 s0, 0xff
	v_cmp_ne_u32_e32 vcc, s0, v0
	v_mov_b32_e32 v3, 0xff
	s_and_saveexec_b64 s[10:11], vcc
; %bb.1024:
	s_mov_b32 s0, 0x3fffff
	v_and_b32_e32 v6, 0x400000, v2
	v_and_or_b32 v0, v2, s0, v0
	v_cmp_ne_u32_e32 vcc, 0, v6
	v_cmp_ne_u32_e64 s[0:1], 0, v0
	s_and_b64 s[0:1], vcc, s[0:1]
	v_lshrrev_b32_e32 v3, 23, v2
	v_cndmask_b32_e64 v0, 0, 1, s[0:1]
	v_add_u32_e32 v3, v3, v0
; %bb.1025:
	s_or_b64 exec, exec, s[10:11]
	s_mov_b64 s[0:1], 0
	global_store_byte v[4:5], v3, off
.LBB39_1026:
	s_mov_b64 s[10:11], 0
.LBB39_1027:
	s_and_b64 vcc, exec, s[10:11]
	s_cbranch_vccz .LBB39_1031
; %bb.1028:
	v_cmp_eq_u16_e32 vcc, 29, v1
	s_mov_b64 s[0:1], -1
	s_cbranch_vccz .LBB39_1031
; %bb.1029:
	v_trunc_f32_e32 v0, v2
	v_mul_f32_e32 v3, 0x2f800000, v0
	v_floor_f32_e32 v3, v3
	v_fmac_f32_e32 v0, 0xcf800000, v3
	v_cvt_u32_f32_e32 v7, v3
	v_cvt_u32_f32_e32 v6, v0
	s_mov_b64 s[0:1], 0
	s_mov_b64 s[10:11], 0
	global_store_dwordx2 v[4:5], v[6:7], off
	s_branch .LBB39_1032
.LBB39_1030:
	s_mov_b64 s[14:15], 0
	s_mov_b64 s[10:11], -1
	s_mov_b64 s[0:1], s[62:63]
	s_branch .LBB39_1089
.LBB39_1031:
	s_mov_b64 s[10:11], 0
.LBB39_1032:
	s_and_b64 vcc, exec, s[10:11]
	s_cbranch_vccz .LBB39_1047
; %bb.1033:
	v_cmp_gt_i16_e32 vcc, 27, v1
	s_mov_b64 s[10:11], -1
	s_cbranch_vccnz .LBB39_1039
; %bb.1034:
	v_cmp_lt_i16_e32 vcc, 27, v1
	s_cbranch_vccz .LBB39_1036
; %bb.1035:
	v_cvt_u32_f32_e32 v0, v2
	s_mov_b64 s[10:11], 0
	global_store_dword v[4:5], v0, off
.LBB39_1036:
	s_andn2_b64 vcc, exec, s[10:11]
	s_cbranch_vccnz .LBB39_1038
; %bb.1037:
	v_cvt_u32_f32_e32 v0, v2
	global_store_short v[4:5], v0, off
.LBB39_1038:
	s_mov_b64 s[10:11], 0
.LBB39_1039:
	s_andn2_b64 vcc, exec, s[10:11]
	s_cbranch_vccnz .LBB39_1047
; %bb.1040:
	v_and_b32_e32 v0, 0x7fffffff, v2
	s_mov_b32 s10, 0x43800000
	v_cmp_gt_u32_e32 vcc, s10, v0
	v_mov_b32_e32 v3, 0x80
	s_and_saveexec_b64 s[10:11], vcc
	s_cbranch_execz .LBB39_1046
; %bb.1041:
	s_mov_b32 s12, 0x3bffffff
	v_cmp_lt_u32_e32 vcc, s12, v0
	s_mov_b64 s[12:13], 0
                                        ; implicit-def: $vgpr0
	s_and_saveexec_b64 s[14:15], vcc
	s_xor_b64 s[14:15], exec, s[14:15]
	s_cbranch_execz .LBB39_1200
; %bb.1042:
	v_bfe_u32 v0, v2, 20, 1
	s_mov_b32 s16, 0x487ffff
	v_add3_u32 v0, v2, v0, s16
	s_mov_b64 s[12:13], exec
	v_lshrrev_b32_e32 v0, 20, v0
	s_or_saveexec_b64 s[14:15], s[14:15]
                                        ; implicit-def: $sgpr16
	s_xor_b64 exec, exec, s[14:15]
	s_cbranch_execnz .LBB39_1201
.LBB39_1043:
	s_or_b64 exec, exec, s[14:15]
	v_mov_b32_e32 v3, s16
	s_and_saveexec_b64 s[14:15], s[12:13]
.LBB39_1044:
	v_lshrrev_b32_e32 v3, 24, v2
	s_movk_i32 s12, 0x80
	v_and_or_b32 v3, v3, s12, v0
.LBB39_1045:
	s_or_b64 exec, exec, s[14:15]
.LBB39_1046:
	s_or_b64 exec, exec, s[10:11]
	global_store_byte v[4:5], v3, off
.LBB39_1047:
	s_mov_b64 s[12:13], 0
.LBB39_1048:
	s_mov_b64 s[10:11], 0
	s_and_b64 vcc, exec, s[12:13]
	s_cbranch_vccz .LBB39_1088
; %bb.1049:
	v_cmp_lt_i16_e32 vcc, 22, v1
	s_mov_b64 s[12:13], -1
	s_cbranch_vccz .LBB39_1081
; %bb.1050:
	v_cmp_gt_i16_e32 vcc, 24, v1
	s_cbranch_vccnz .LBB39_1070
; %bb.1051:
	v_cmp_lt_i16_e32 vcc, 24, v1
	s_cbranch_vccz .LBB39_1059
; %bb.1052:
	v_and_b32_e32 v0, 0x7fffffff, v2
	s_mov_b32 s12, 0x47800000
	v_cmp_gt_u32_e32 vcc, s12, v0
	v_mov_b32_e32 v3, 0x80
	s_and_saveexec_b64 s[12:13], vcc
	s_cbranch_execz .LBB39_1058
; %bb.1053:
	s_mov_b32 s14, 0x37ffffff
	v_cmp_lt_u32_e32 vcc, s14, v0
	s_mov_b64 s[14:15], 0
                                        ; implicit-def: $vgpr0
	s_and_saveexec_b64 s[16:17], vcc
	s_xor_b64 s[16:17], exec, s[16:17]
	s_cbranch_execz .LBB39_1335
; %bb.1054:
	v_bfe_u32 v0, v2, 21, 1
	s_mov_b32 s18, 0x88fffff
	v_add3_u32 v0, v2, v0, s18
	s_mov_b64 s[14:15], exec
	v_lshrrev_b32_e32 v0, 21, v0
	s_or_saveexec_b64 s[16:17], s[16:17]
                                        ; implicit-def: $sgpr18
	s_xor_b64 exec, exec, s[16:17]
	s_cbranch_execnz .LBB39_1336
.LBB39_1055:
	s_or_b64 exec, exec, s[16:17]
	v_mov_b32_e32 v3, s18
	s_and_saveexec_b64 s[16:17], s[14:15]
.LBB39_1056:
	v_lshrrev_b32_e32 v3, 24, v2
	s_movk_i32 s14, 0x80
	v_and_or_b32 v3, v3, s14, v0
.LBB39_1057:
	s_or_b64 exec, exec, s[16:17]
.LBB39_1058:
	s_or_b64 exec, exec, s[12:13]
	s_mov_b64 s[12:13], 0
	global_store_byte v[4:5], v3, off
.LBB39_1059:
	s_and_b64 vcc, exec, s[12:13]
	s_cbranch_vccz .LBB39_1069
; %bb.1060:
	v_and_b32_e32 v3, 0x7fffffff, v2
	s_mov_b32 s12, 0x43f00000
	v_cmp_gt_u32_e32 vcc, s12, v3
                                        ; implicit-def: $vgpr0
	s_and_saveexec_b64 s[12:13], vcc
	s_xor_b64 s[12:13], exec, s[12:13]
	s_cbranch_execz .LBB39_1066
; %bb.1061:
	s_mov_b32 s14, 0x3c7fffff
	v_cmp_lt_u32_e32 vcc, s14, v3
                                        ; implicit-def: $vgpr0
	s_and_saveexec_b64 s[14:15], vcc
	s_xor_b64 s[14:15], exec, s[14:15]
; %bb.1062:
	v_bfe_u32 v0, v2, 20, 1
	s_mov_b32 s16, 0x407ffff
	v_add3_u32 v0, v2, v0, s16
	v_lshrrev_b32_e32 v3, 20, v0
	v_and_b32_e32 v0, 0xff00000, v0
	s_mov_b32 s16, 0x7f00000
	v_mov_b32_e32 v6, 0x7e
	v_cmp_ne_u32_e32 vcc, s16, v0
	v_cndmask_b32_e32 v0, v6, v3, vcc
; %bb.1063:
	s_andn2_saveexec_b64 s[14:15], s[14:15]
; %bb.1064:
	s_mov_b32 s16, 0x46800000
	v_add_f32_e64 v0, |v2|, s16
; %bb.1065:
	s_or_b64 exec, exec, s[14:15]
                                        ; implicit-def: $vgpr3
.LBB39_1066:
	s_andn2_saveexec_b64 s[12:13], s[12:13]
; %bb.1067:
	s_mov_b32 s14, 0x7f800000
	v_mov_b32_e32 v0, 0x7e
	v_mov_b32_e32 v6, 0x7f
	v_cmp_lt_u32_e32 vcc, s14, v3
	v_cndmask_b32_e32 v0, v0, v6, vcc
; %bb.1068:
	s_or_b64 exec, exec, s[12:13]
	v_lshrrev_b32_e32 v3, 24, v2
	s_movk_i32 s12, 0x80
	v_and_or_b32 v0, v3, s12, v0
	global_store_byte v[4:5], v0, off
.LBB39_1069:
	s_mov_b64 s[12:13], 0
.LBB39_1070:
	s_andn2_b64 vcc, exec, s[12:13]
	s_cbranch_vccnz .LBB39_1080
; %bb.1071:
	v_and_b32_e32 v3, 0x7fffffff, v2
	s_mov_b32 s12, 0x47800000
	v_cmp_gt_u32_e32 vcc, s12, v3
                                        ; implicit-def: $vgpr0
	s_and_saveexec_b64 s[12:13], vcc
	s_xor_b64 s[12:13], exec, s[12:13]
	s_cbranch_execz .LBB39_1077
; %bb.1072:
	s_mov_b32 s14, 0x387fffff
	v_cmp_lt_u32_e32 vcc, s14, v3
                                        ; implicit-def: $vgpr0
	s_and_saveexec_b64 s[14:15], vcc
	s_xor_b64 s[14:15], exec, s[14:15]
; %bb.1073:
	v_bfe_u32 v0, v2, 21, 1
	s_mov_b32 s16, 0x80fffff
	v_add3_u32 v0, v2, v0, s16
	v_lshrrev_b32_e32 v0, 21, v0
; %bb.1074:
	s_andn2_saveexec_b64 s[14:15], s[14:15]
; %bb.1075:
	s_mov_b32 s16, 0x43000000
	v_add_f32_e64 v0, |v2|, s16
; %bb.1076:
	s_or_b64 exec, exec, s[14:15]
                                        ; implicit-def: $vgpr3
.LBB39_1077:
	s_andn2_saveexec_b64 s[12:13], s[12:13]
; %bb.1078:
	s_mov_b32 s14, 0x7f800000
	v_mov_b32_e32 v0, 0x7c
	v_mov_b32_e32 v6, 0x7f
	v_cmp_lt_u32_e32 vcc, s14, v3
	v_cndmask_b32_e32 v0, v0, v6, vcc
; %bb.1079:
	s_or_b64 exec, exec, s[12:13]
	v_lshrrev_b32_e32 v3, 24, v2
	s_movk_i32 s12, 0x80
	v_and_or_b32 v0, v3, s12, v0
	global_store_byte v[4:5], v0, off
.LBB39_1080:
	s_mov_b64 s[12:13], 0
.LBB39_1081:
	s_andn2_b64 vcc, exec, s[12:13]
	s_mov_b64 s[14:15], 0
	s_cbranch_vccnz .LBB39_1089
; %bb.1082:
	v_cmp_lt_i16_e32 vcc, 14, v1
	s_mov_b64 s[12:13], -1
	s_cbranch_vccz .LBB39_1086
; %bb.1083:
	v_cmp_eq_u16_e32 vcc, 15, v1
	s_mov_b64 s[0:1], -1
	s_cbranch_vccz .LBB39_1085
; %bb.1084:
	v_bfe_u32 v0, v2, 16, 1
	s_movk_i32 s0, 0x7fff
	v_add3_u32 v0, v2, v0, s0
	v_lshrrev_b32_e32 v0, 16, v0
	v_mov_b32_e32 v3, 0x7fc0
	v_cmp_o_f32_e32 vcc, v2, v2
	v_cndmask_b32_e32 v0, v3, v0, vcc
	global_store_short v[4:5], v0, off
	s_mov_b64 s[0:1], 0
.LBB39_1085:
	s_mov_b64 s[12:13], 0
.LBB39_1086:
	s_and_b64 vcc, exec, s[12:13]
	s_cbranch_vccz .LBB39_1089
; %bb.1087:
	v_cmp_ne_u16_e32 vcc, 11, v1
	s_andn2_b64 s[0:1], s[0:1], exec
	s_and_b64 s[12:13], vcc, exec
	s_mov_b64 s[14:15], -1
	s_or_b64 s[0:1], s[0:1], s[12:13]
	s_branch .LBB39_1089
.LBB39_1088:
	s_mov_b64 s[14:15], 0
.LBB39_1089:
	s_and_b64 s[12:13], s[10:11], exec
	s_andn2_b64 s[10:11], s[62:63], exec
	s_and_b64 s[0:1], s[0:1], exec
	s_and_b64 s[14:15], s[14:15], exec
	s_or_b64 s[62:63], s[10:11], s[0:1]
	s_or_b64 exec, exec, s[8:9]
	s_and_saveexec_b64 s[0:1], s[62:63]
	s_cbranch_execz .LBB39_1008
.LBB39_1090:
	s_or_b64 s[2:3], s[2:3], exec
	s_andn2_b64 s[14:15], s[14:15], exec
	s_trap 2
	s_or_b64 exec, exec, s[0:1]
	s_and_saveexec_b64 s[0:1], s[14:15]
	s_xor_b64 s[0:1], exec, s[0:1]
	s_cbranch_execnz .LBB39_1009
.LBB39_1091:
	s_or_b64 exec, exec, s[0:1]
	s_and_saveexec_b64 s[0:1], s[12:13]
	s_xor_b64 s[0:1], exec, s[0:1]
	s_cbranch_execz .LBB39_1129
.LBB39_1092:
	s_waitcnt vmcnt(0)
	v_cmp_gt_i16_e32 vcc, 5, v1
	s_mov_b64 s[8:9], -1
	s_cbranch_vccnz .LBB39_1113
; %bb.1093:
	v_cmp_gt_i16_e32 vcc, 8, v1
	s_cbranch_vccnz .LBB39_1103
; %bb.1094:
	v_cmp_gt_i16_e32 vcc, 9, v1
	s_cbranch_vccnz .LBB39_1100
; %bb.1095:
	v_cmp_lt_i16_e32 vcc, 9, v1
	s_cbranch_vccz .LBB39_1097
; %bb.1096:
	v_mov_b32_e32 v8, 0
	v_cvt_f64_f32_e32 v[6:7], v2
	v_mov_b32_e32 v9, v8
	s_mov_b64 s[8:9], 0
	global_store_dwordx4 v[4:5], v[6:9], off
.LBB39_1097:
	s_andn2_b64 vcc, exec, s[8:9]
	s_cbranch_vccnz .LBB39_1099
; %bb.1098:
	v_mov_b32_e32 v3, 0
	global_store_dwordx2 v[4:5], v[2:3], off
.LBB39_1099:
	s_mov_b64 s[8:9], 0
.LBB39_1100:
	s_andn2_b64 vcc, exec, s[8:9]
	s_cbranch_vccnz .LBB39_1102
; %bb.1101:
	v_cvt_f16_f32_e32 v0, v2
	global_store_dword v[4:5], v0, off
.LBB39_1102:
	s_mov_b64 s[8:9], 0
.LBB39_1103:
	s_andn2_b64 vcc, exec, s[8:9]
	s_cbranch_vccnz .LBB39_1112
; %bb.1104:
	v_cmp_gt_i16_e32 vcc, 6, v1
	s_mov_b64 s[8:9], -1
	s_cbranch_vccnz .LBB39_1110
; %bb.1105:
	v_cmp_lt_i16_e32 vcc, 6, v1
	s_cbranch_vccz .LBB39_1107
; %bb.1106:
	v_cvt_f64_f32_e32 v[6:7], v2
	s_mov_b64 s[8:9], 0
	global_store_dwordx2 v[4:5], v[6:7], off
.LBB39_1107:
	s_andn2_b64 vcc, exec, s[8:9]
	s_cbranch_vccnz .LBB39_1109
; %bb.1108:
	global_store_dword v[4:5], v2, off
.LBB39_1109:
	s_mov_b64 s[8:9], 0
.LBB39_1110:
	s_andn2_b64 vcc, exec, s[8:9]
	s_cbranch_vccnz .LBB39_1112
; %bb.1111:
	v_cvt_f16_f32_e32 v0, v2
	global_store_short v[4:5], v0, off
.LBB39_1112:
	s_mov_b64 s[8:9], 0
.LBB39_1113:
	s_andn2_b64 vcc, exec, s[8:9]
	s_cbranch_vccnz .LBB39_1129
; %bb.1114:
	v_cmp_gt_i16_e32 vcc, 2, v1
	s_mov_b64 s[8:9], -1
	s_cbranch_vccnz .LBB39_1124
; %bb.1115:
	v_cmp_gt_i16_e32 vcc, 3, v1
	s_cbranch_vccnz .LBB39_1121
; %bb.1116:
	v_cmp_lt_i16_e32 vcc, 3, v1
	s_cbranch_vccz .LBB39_1118
; %bb.1117:
	v_trunc_f32_e32 v0, v2
	s_mov_b32 s8, 0x2f800000
	v_mul_f32_e64 v3, |v0|, s8
	v_floor_f32_e32 v3, v3
	s_mov_b32 s8, 0xcf800000
	v_cvt_u32_f32_e32 v6, v3
	v_fma_f32 v3, v3, s8, |v0|
	v_cvt_u32_f32_e32 v3, v3
	v_ashrrev_i32_e32 v0, 31, v0
	v_xor_b32_e32 v7, v6, v0
	s_mov_b64 s[8:9], 0
	v_xor_b32_e32 v3, v3, v0
	v_sub_co_u32_e32 v6, vcc, v3, v0
	v_subb_co_u32_e32 v7, vcc, v7, v0, vcc
	global_store_dwordx2 v[4:5], v[6:7], off
.LBB39_1118:
	s_andn2_b64 vcc, exec, s[8:9]
	s_cbranch_vccnz .LBB39_1120
; %bb.1119:
	v_cvt_i32_f32_e32 v0, v2
	global_store_dword v[4:5], v0, off
.LBB39_1120:
	s_mov_b64 s[8:9], 0
.LBB39_1121:
	s_andn2_b64 vcc, exec, s[8:9]
	s_cbranch_vccnz .LBB39_1123
; %bb.1122:
	v_cvt_i32_f32_e32 v0, v2
	global_store_short v[4:5], v0, off
.LBB39_1123:
	s_mov_b64 s[8:9], 0
.LBB39_1124:
	s_andn2_b64 vcc, exec, s[8:9]
	s_cbranch_vccnz .LBB39_1129
; %bb.1125:
	v_cmp_lt_i16_e32 vcc, 0, v1
	s_mov_b64 s[8:9], -1
	s_cbranch_vccz .LBB39_1127
; %bb.1126:
	v_cvt_i32_f32_e32 v0, v2
	s_mov_b64 s[8:9], 0
	global_store_byte v[4:5], v0, off
.LBB39_1127:
	s_andn2_b64 vcc, exec, s[8:9]
	s_cbranch_vccnz .LBB39_1129
; %bb.1128:
	v_trunc_f32_e32 v0, v2
	s_mov_b32 s8, 0x2f800000
	v_mul_f32_e64 v1, |v0|, s8
	v_floor_f32_e32 v1, v1
	s_mov_b32 s8, 0xcf800000
	v_fma_f32 v1, v1, s8, |v0|
	v_cvt_u32_f32_e32 v1, v1
	v_ashrrev_i32_e32 v0, 31, v0
	v_xor_b32_e32 v1, v1, v0
	v_sub_u32_e32 v0, v1, v0
	global_store_byte v[4:5], v0, off
.LBB39_1129:
	s_or_b64 exec, exec, s[0:1]
	s_and_b64 s[28:29], s[2:3], exec
                                        ; implicit-def: $vgpr16
                                        ; implicit-def: $vgpr13
.LBB39_1130:
	s_or_saveexec_b64 s[30:31], s[46:47]
	s_mov_b64 s[0:1], 0
                                        ; implicit-def: $vgpr0_vgpr1
                                        ; implicit-def: $sgpr16
                                        ; implicit-def: $vgpr12
	s_xor_b64 exec, exec, s[30:31]
	s_cbranch_execz .LBB39_1739
; %bb.1131:
	v_cndmask_b32_e64 v0, 0, 1, s[44:45]
	v_cmp_ne_u32_e64 s[0:1], 1, v0
	s_andn2_b64 vcc, exec, s[44:45]
	s_cbranch_vccnz .LBB39_1138
; %bb.1132:
	s_mov_b32 s2, 0
	s_cmp_lg_u32 s33, 0
	v_mov_b32_e32 v8, 0
	s_waitcnt vmcnt(0)
	v_mov_b32_e32 v6, 0
	s_cbranch_scc0 .LBB39_1137
; %bb.1133:
	s_waitcnt lgkmcnt(0)
	s_min_u32 s38, s82, 15
	s_add_i32 s38, s38, 1
	s_cmp_eq_u32 s82, 2
	s_cbranch_scc1 .LBB39_1139
; %bb.1134:
	s_add_u32 s6, s34, 0xc4
	s_addc_u32 s7, s35, 0
	s_and_b32 s2, s38, 28
	s_mov_b32 s3, 0
	v_mov_b32_e32 v6, 0
	s_mov_b64 s[36:37], s[34:35]
	v_mov_b32_e32 v0, v13
	v_mov_b32_e32 v8, 0
.LBB39_1135:                            ; =>This Inner Loop Header: Depth=1
	s_load_dwordx8 s[16:23], s[36:37], 0x4
	s_load_dwordx4 s[24:27], s[36:37], 0x24
	s_load_dwordx8 s[8:15], s[6:7], 0x0
	s_add_u32 s36, s36, 48
	s_addc_u32 s37, s37, 0
	s_waitcnt lgkmcnt(0)
	v_mul_hi_u32 v1, s17, v0
	v_add_u32_e32 v1, v0, v1
	v_lshrrev_b32_e32 v1, s18, v1
	v_mul_lo_u32 v2, v1, s16
	v_mul_hi_u32 v3, s20, v1
	v_sub_u32_e32 v0, v0, v2
	v_add_u32_e32 v2, v1, v3
	v_lshrrev_b32_e32 v2, s21, v2
	v_mul_lo_u32 v4, v2, s19
	v_mul_hi_u32 v5, s23, v2
	v_sub_u32_e32 v1, v1, v4
	v_add_u32_e32 v4, v2, v5
	v_mul_lo_u32 v3, v0, s9
	v_mul_lo_u32 v0, v0, s8
	v_mul_lo_u32 v5, v1, s11
	v_mul_lo_u32 v1, v1, s10
	v_lshrrev_b32_e32 v4, s24, v4
	v_add3_u32 v1, v0, v6, v1
	v_add3_u32 v3, v3, v8, v5
	v_mul_lo_u32 v0, v4, s22
	v_mul_hi_u32 v5, s26, v4
	v_sub_u32_e32 v0, v2, v0
	v_add_u32_e32 v2, v4, v5
	v_mul_lo_u32 v5, v0, s12
	v_mul_lo_u32 v6, v0, s13
	v_lshrrev_b32_e32 v0, s27, v2
	s_add_i32 s3, s3, 4
	v_mul_lo_u32 v2, v0, s25
	s_add_u32 s6, s6, 32
	v_sub_u32_e32 v2, v4, v2
	s_addc_u32 s7, s7, 0
	v_mul_lo_u32 v4, v2, s14
	v_mul_lo_u32 v2, v2, s15
	s_cmp_lg_u32 s2, s3
	v_add3_u32 v8, v6, v3, v2
	v_add3_u32 v6, v5, v1, v4
	s_cbranch_scc1 .LBB39_1135
; %bb.1136:
	v_mov_b32_e32 v7, v8
	s_and_b32 s8, s38, 3
	s_cmp_eq_u32 s8, 0
	s_cbranch_scc0 .LBB39_1140
.LBB39_1137:
	s_cbranch_execz .LBB39_1143
	s_branch .LBB39_1145
.LBB39_1138:
                                        ; implicit-def: $vgpr8
                                        ; implicit-def: $vgpr6
	s_branch .LBB39_1143
.LBB39_1139:
	s_mov_b32 s3, s2
	v_pk_mov_b32 v[6:7], s[2:3], s[2:3] op_sel:[0,1]
                                        ; implicit-def: $vgpr8
	v_mov_b32_e32 v0, v13
	s_and_b32 s8, s38, 3
	s_cmp_eq_u32 s8, 0
	s_cbranch_scc1 .LBB39_1137
.LBB39_1140:
	s_lshl_b32 s3, s2, 3
	s_add_u32 s3, s3, s34
	s_addc_u32 s7, 0, s35
	s_add_u32 s6, s3, 0xc4
	s_addc_u32 s7, s7, 0
	s_mul_i32 s2, s2, 12
	s_add_u32 s2, s34, s2
	s_addc_u32 s3, 0, s35
.LBB39_1141:                            ; =>This Inner Loop Header: Depth=1
	s_load_dwordx2 s[10:11], s[2:3], 0x4
	s_load_dword s9, s[2:3], 0xc
	s_load_dwordx2 s[12:13], s[6:7], 0x0
	s_add_u32 s2, s2, 12
	s_addc_u32 s3, s3, 0
	s_waitcnt lgkmcnt(0)
	v_mul_hi_u32 v1, s11, v0
	v_add_u32_e32 v1, v0, v1
	v_lshrrev_b32_e32 v1, s9, v1
	v_mul_lo_u32 v3, v1, s10
	v_mov_b32_e32 v2, v7
	s_add_u32 s6, s6, 8
	v_sub_u32_e32 v4, v0, v3
	s_addc_u32 s7, s7, 0
	s_add_i32 s8, s8, -1
	v_mad_u64_u32 v[2:3], s[10:11], v4, s13, v[2:3]
	v_mad_u64_u32 v[6:7], s[10:11], v4, s12, v[6:7]
	s_cmp_lg_u32 s8, 0
	v_mov_b32_e32 v0, v1
	v_mov_b32_e32 v7, v2
	s_cbranch_scc1 .LBB39_1141
; %bb.1142:
	v_mov_b32_e32 v8, v7
	s_cbranch_execnz .LBB39_1145
.LBB39_1143:
	s_load_dwordx4 s[8:11], s[34:35], 0x4
	s_load_dwordx2 s[2:3], s[34:35], 0xc4
	s_cmp_lt_u32 s33, 2
	s_waitcnt lgkmcnt(0)
	v_mul_hi_u32 v0, s9, v13
	v_add_u32_e32 v0, v13, v0
	v_lshrrev_b32_e32 v0, s10, v0
	s_waitcnt vmcnt(0)
	v_mul_lo_u32 v1, v0, s8
	v_sub_u32_e32 v1, v13, v1
	v_mul_lo_u32 v8, v1, s3
	v_mul_lo_u32 v6, v1, s2
	s_cbranch_scc1 .LBB39_1145
; %bb.1144:
	s_load_dwordx4 s[8:11], s[34:35], 0x10
	s_load_dwordx2 s[2:3], s[34:35], 0xcc
	s_waitcnt lgkmcnt(0)
	v_mul_hi_u32 v1, s9, v0
	v_add_u32_e32 v1, v0, v1
	v_lshrrev_b32_e32 v1, s10, v1
	v_mul_lo_u32 v1, v1, s8
	v_sub_u32_e32 v0, v0, v1
	v_mad_u64_u32 v[6:7], s[6:7], v0, s2, v[6:7]
	v_mad_u64_u32 v[8:9], s[2:3], v0, s3, v[8:9]
.LBB39_1145:
	s_and_b64 vcc, exec, s[0:1]
	v_add_u32_e32 v0, 0x80, v13
	s_cbranch_vccnz .LBB39_1152
; %bb.1146:
	s_mov_b32 s2, 0
	s_cmp_lg_u32 s33, 0
	v_mov_b32_e32 v10, 0
	v_mov_b32_e32 v4, 0
	s_cbranch_scc0 .LBB39_1151
; %bb.1147:
	s_waitcnt lgkmcnt(0)
	s_min_u32 s38, s82, 15
	s_add_i32 s38, s38, 1
	s_cmp_eq_u32 s82, 2
	s_cbranch_scc1 .LBB39_1153
; %bb.1148:
	s_add_u32 s6, s34, 0xc4
	s_addc_u32 s7, s35, 0
	s_and_b32 s2, s38, 28
	s_mov_b32 s3, 0
	v_mov_b32_e32 v4, 0
	s_mov_b64 s[36:37], s[34:35]
	s_waitcnt vmcnt(0)
	v_mov_b32_e32 v1, v0
	v_mov_b32_e32 v10, 0
.LBB39_1149:                            ; =>This Inner Loop Header: Depth=1
	s_load_dwordx8 s[16:23], s[36:37], 0x4
	s_load_dwordx4 s[24:27], s[36:37], 0x24
	s_load_dwordx8 s[8:15], s[6:7], 0x0
	s_add_u32 s36, s36, 48
	s_addc_u32 s37, s37, 0
	s_waitcnt lgkmcnt(0)
	v_mul_hi_u32 v2, s17, v1
	v_add_u32_e32 v2, v1, v2
	v_lshrrev_b32_e32 v2, s18, v2
	v_mul_lo_u32 v3, v2, s16
	v_mul_hi_u32 v5, s20, v2
	v_sub_u32_e32 v1, v1, v3
	v_add_u32_e32 v3, v2, v5
	v_lshrrev_b32_e32 v3, s21, v3
	v_mul_lo_u32 v7, v3, s19
	v_mul_hi_u32 v9, s23, v3
	v_sub_u32_e32 v2, v2, v7
	v_add_u32_e32 v7, v3, v9
	v_mul_lo_u32 v5, v1, s9
	v_mul_lo_u32 v1, v1, s8
	;; [unrolled: 1-line block ×4, first 2 shown]
	v_lshrrev_b32_e32 v7, s24, v7
	v_add3_u32 v2, v1, v4, v2
	v_add3_u32 v4, v5, v10, v9
	v_mul_lo_u32 v1, v7, s22
	v_mul_hi_u32 v5, s26, v7
	v_sub_u32_e32 v1, v3, v1
	v_add_u32_e32 v3, v7, v5
	v_mul_lo_u32 v5, v1, s12
	v_mul_lo_u32 v9, v1, s13
	v_lshrrev_b32_e32 v1, s27, v3
	s_add_i32 s3, s3, 4
	v_mul_lo_u32 v3, v1, s25
	s_add_u32 s6, s6, 32
	v_sub_u32_e32 v3, v7, v3
	s_addc_u32 s7, s7, 0
	v_mul_lo_u32 v7, v3, s14
	v_mul_lo_u32 v3, v3, s15
	s_cmp_lg_u32 s2, s3
	v_add3_u32 v10, v9, v4, v3
	v_add3_u32 v4, v5, v2, v7
	s_cbranch_scc1 .LBB39_1149
; %bb.1150:
	v_mov_b32_e32 v5, v10
	s_and_b32 s8, s38, 3
	s_cmp_eq_u32 s8, 0
	s_cbranch_scc0 .LBB39_1154
.LBB39_1151:
	s_cbranch_execz .LBB39_1157
	s_branch .LBB39_1159
.LBB39_1152:
                                        ; implicit-def: $vgpr10
                                        ; implicit-def: $vgpr4
	s_branch .LBB39_1157
.LBB39_1153:
	s_mov_b32 s3, s2
	v_pk_mov_b32 v[4:5], s[2:3], s[2:3] op_sel:[0,1]
                                        ; implicit-def: $vgpr10
	s_waitcnt vmcnt(0)
	v_mov_b32_e32 v1, v0
	s_and_b32 s8, s38, 3
	s_cmp_eq_u32 s8, 0
	s_cbranch_scc1 .LBB39_1151
.LBB39_1154:
	s_lshl_b32 s3, s2, 3
	s_add_u32 s3, s3, s34
	s_addc_u32 s7, 0, s35
	s_add_u32 s6, s3, 0xc4
	s_addc_u32 s7, s7, 0
	s_mul_i32 s2, s2, 12
	s_add_u32 s2, s34, s2
	s_addc_u32 s3, 0, s35
.LBB39_1155:                            ; =>This Inner Loop Header: Depth=1
	s_load_dwordx2 s[10:11], s[2:3], 0x4
	s_load_dword s9, s[2:3], 0xc
	s_load_dwordx2 s[12:13], s[6:7], 0x0
	s_add_u32 s2, s2, 12
	v_mov_b32_e32 v2, v5
	s_waitcnt lgkmcnt(0)
	v_mul_hi_u32 v3, s11, v1
	v_add_u32_e32 v3, v1, v3
	v_lshrrev_b32_e32 v3, s9, v3
	s_addc_u32 s3, s3, 0
	v_mul_lo_u32 v5, v3, s10
	s_add_u32 s6, s6, 8
	v_sub_u32_e32 v5, v1, v5
	s_addc_u32 s7, s7, 0
	s_add_i32 s8, s8, -1
	v_mov_b32_e32 v1, v3
	v_mad_u64_u32 v[2:3], s[10:11], v5, s13, v[2:3]
	v_mad_u64_u32 v[4:5], s[10:11], v5, s12, v[4:5]
	s_cmp_lg_u32 s8, 0
	v_mov_b32_e32 v5, v2
	s_cbranch_scc1 .LBB39_1155
; %bb.1156:
	v_mov_b32_e32 v10, v5
	s_cbranch_execnz .LBB39_1159
.LBB39_1157:
	s_load_dwordx4 s[8:11], s[34:35], 0x4
	s_load_dwordx2 s[2:3], s[34:35], 0xc4
	s_cmp_lt_u32 s33, 2
	s_waitcnt vmcnt(0) lgkmcnt(0)
	v_mul_hi_u32 v1, s9, v0
	v_add_u32_e32 v1, v0, v1
	v_lshrrev_b32_e32 v1, s10, v1
	v_mul_lo_u32 v2, v1, s8
	v_sub_u32_e32 v0, v0, v2
	v_mul_lo_u32 v10, v0, s3
	v_mul_lo_u32 v4, v0, s2
	s_cbranch_scc1 .LBB39_1159
; %bb.1158:
	s_load_dwordx4 s[8:11], s[34:35], 0x10
	s_load_dwordx2 s[2:3], s[34:35], 0xcc
	s_waitcnt lgkmcnt(0)
	v_mul_hi_u32 v0, s9, v1
	v_add_u32_e32 v0, v1, v0
	v_lshrrev_b32_e32 v0, s10, v0
	v_mul_lo_u32 v0, v0, s8
	v_sub_u32_e32 v0, v1, v0
	v_mad_u64_u32 v[4:5], s[6:7], v0, s2, v[4:5]
	v_mad_u64_u32 v[10:11], s[2:3], v0, s3, v[10:11]
.LBB39_1159:
	s_and_b64 vcc, exec, s[0:1]
	v_add_u32_e32 v0, 0x100, v13
	s_cbranch_vccnz .LBB39_1166
; %bb.1160:
	s_mov_b32 s2, 0
	s_cmp_lg_u32 s33, 0
	v_mov_b32_e32 v14, 0
	v_mov_b32_e32 v2, 0
	s_cbranch_scc0 .LBB39_1165
; %bb.1161:
	s_waitcnt lgkmcnt(0)
	s_min_u32 s38, s82, 15
	s_add_i32 s38, s38, 1
	s_cmp_eq_u32 s82, 2
	s_cbranch_scc1 .LBB39_1167
; %bb.1162:
	s_add_u32 s6, s34, 0xc4
	s_addc_u32 s7, s35, 0
	s_and_b32 s2, s38, 28
	s_mov_b32 s3, 0
	v_mov_b32_e32 v2, 0
	s_mov_b64 s[36:37], s[34:35]
	s_waitcnt vmcnt(0)
	v_mov_b32_e32 v1, v0
	v_mov_b32_e32 v14, 0
.LBB39_1163:                            ; =>This Inner Loop Header: Depth=1
	s_load_dwordx8 s[16:23], s[36:37], 0x4
	s_load_dwordx4 s[24:27], s[36:37], 0x24
	s_load_dwordx8 s[8:15], s[6:7], 0x0
	s_add_u32 s36, s36, 48
	s_addc_u32 s37, s37, 0
	s_waitcnt lgkmcnt(0)
	v_mul_hi_u32 v3, s17, v1
	v_add_u32_e32 v3, v1, v3
	v_lshrrev_b32_e32 v3, s18, v3
	v_mul_lo_u32 v5, v3, s16
	v_mul_hi_u32 v7, s20, v3
	v_sub_u32_e32 v1, v1, v5
	v_add_u32_e32 v5, v3, v7
	v_lshrrev_b32_e32 v5, s21, v5
	v_mul_lo_u32 v9, v5, s19
	v_mul_hi_u32 v11, s23, v5
	v_sub_u32_e32 v3, v3, v9
	v_add_u32_e32 v9, v5, v11
	v_mul_lo_u32 v7, v1, s9
	v_mul_lo_u32 v1, v1, s8
	v_mul_lo_u32 v11, v3, s11
	v_mul_lo_u32 v3, v3, s10
	v_lshrrev_b32_e32 v9, s24, v9
	v_add3_u32 v2, v1, v2, v3
	v_add3_u32 v3, v7, v14, v11
	v_mul_lo_u32 v1, v9, s22
	v_mul_hi_u32 v7, s26, v9
	v_sub_u32_e32 v1, v5, v1
	v_add_u32_e32 v5, v9, v7
	v_mul_lo_u32 v7, v1, s12
	v_mul_lo_u32 v11, v1, s13
	v_lshrrev_b32_e32 v1, s27, v5
	s_add_i32 s3, s3, 4
	v_mul_lo_u32 v5, v1, s25
	s_add_u32 s6, s6, 32
	v_sub_u32_e32 v5, v9, v5
	s_addc_u32 s7, s7, 0
	v_mul_lo_u32 v9, v5, s14
	v_mul_lo_u32 v5, v5, s15
	s_cmp_lg_u32 s2, s3
	v_add3_u32 v14, v11, v3, v5
	v_add3_u32 v2, v7, v2, v9
	s_cbranch_scc1 .LBB39_1163
; %bb.1164:
	v_mov_b32_e32 v3, v14
	s_and_b32 s8, s38, 3
	s_cmp_eq_u32 s8, 0
	s_cbranch_scc0 .LBB39_1168
.LBB39_1165:
	s_cbranch_execz .LBB39_1171
	s_branch .LBB39_1173
.LBB39_1166:
                                        ; implicit-def: $vgpr14
                                        ; implicit-def: $vgpr2
	s_branch .LBB39_1171
.LBB39_1167:
	s_mov_b32 s3, s2
	v_pk_mov_b32 v[2:3], s[2:3], s[2:3] op_sel:[0,1]
                                        ; implicit-def: $vgpr14
	s_waitcnt vmcnt(0)
	v_mov_b32_e32 v1, v0
	s_and_b32 s8, s38, 3
	s_cmp_eq_u32 s8, 0
	s_cbranch_scc1 .LBB39_1165
.LBB39_1168:
	s_lshl_b32 s3, s2, 3
	s_add_u32 s3, s3, s34
	s_addc_u32 s7, 0, s35
	s_add_u32 s6, s3, 0xc4
	s_addc_u32 s7, s7, 0
	s_mul_i32 s2, s2, 12
	s_add_u32 s2, s34, s2
	s_addc_u32 s3, 0, s35
.LBB39_1169:                            ; =>This Inner Loop Header: Depth=1
	s_load_dwordx2 s[10:11], s[2:3], 0x4
	s_load_dword s9, s[2:3], 0xc
	s_load_dwordx2 s[12:13], s[6:7], 0x0
	v_mov_b32_e32 v12, v3
	s_add_u32 s2, s2, 12
	s_waitcnt lgkmcnt(0)
	v_mul_hi_u32 v3, s11, v1
	v_add_u32_e32 v3, v1, v3
	v_lshrrev_b32_e32 v3, s9, v3
	s_addc_u32 s3, s3, 0
	v_mul_lo_u32 v5, v3, s10
	s_add_u32 s6, s6, 8
	v_sub_u32_e32 v5, v1, v5
	s_addc_u32 s7, s7, 0
	s_add_i32 s8, s8, -1
	v_mov_b32_e32 v1, v3
	v_mad_u64_u32 v[12:13], s[10:11], v5, s13, v[12:13]
	v_mad_u64_u32 v[2:3], s[10:11], v5, s12, v[2:3]
	s_cmp_lg_u32 s8, 0
	v_mov_b32_e32 v3, v12
	s_cbranch_scc1 .LBB39_1169
; %bb.1170:
	v_mov_b32_e32 v14, v3
	s_cbranch_execnz .LBB39_1173
.LBB39_1171:
	s_load_dwordx4 s[8:11], s[34:35], 0x4
	s_load_dwordx2 s[2:3], s[34:35], 0xc4
	s_cmp_lt_u32 s33, 2
	s_waitcnt vmcnt(0) lgkmcnt(0)
	v_mul_hi_u32 v1, s9, v0
	v_add_u32_e32 v1, v0, v1
	v_lshrrev_b32_e32 v1, s10, v1
	v_mul_lo_u32 v2, v1, s8
	v_sub_u32_e32 v0, v0, v2
	v_mul_lo_u32 v14, v0, s3
	v_mul_lo_u32 v2, v0, s2
	s_cbranch_scc1 .LBB39_1173
; %bb.1172:
	s_load_dwordx4 s[8:11], s[34:35], 0x10
	s_load_dwordx2 s[2:3], s[34:35], 0xcc
	s_waitcnt lgkmcnt(0)
	v_mul_hi_u32 v0, s9, v1
	v_add_u32_e32 v0, v1, v0
	v_lshrrev_b32_e32 v0, s10, v0
	v_mul_lo_u32 v0, v0, s8
	v_sub_u32_e32 v0, v1, v0
	v_mad_u64_u32 v[2:3], s[6:7], v0, s2, v[2:3]
	v_mad_u64_u32 v[14:15], s[2:3], v0, s3, v[14:15]
.LBB39_1173:
	s_and_b64 vcc, exec, s[0:1]
	s_cbranch_vccnz .LBB39_1180
; %bb.1174:
	s_mov_b32 s6, 0
	s_cmp_lg_u32 s33, 0
	v_mov_b32_e32 v12, 0
	v_mov_b32_e32 v0, 0
	s_cbranch_scc0 .LBB39_1179
; %bb.1175:
	s_waitcnt lgkmcnt(0)
	s_min_u32 s36, s82, 15
	s_add_i32 s36, s36, 1
	s_cmp_eq_u32 s82, 2
	s_cbranch_scc1 .LBB39_1181
; %bb.1176:
	s_add_u32 s24, s34, 0xc4
	s_addc_u32 s25, s35, 0
	s_and_b32 s6, s36, 28
	s_mov_b32 s7, 0
	v_mov_b32_e32 v0, 0
	s_mov_b64 s[26:27], s[34:35]
	v_mov_b32_e32 v3, v16
	v_mov_b32_e32 v12, 0
.LBB39_1177:                            ; =>This Inner Loop Header: Depth=1
	s_load_dwordx8 s[16:23], s[26:27], 0x4
	s_load_dwordx4 s[0:3], s[26:27], 0x24
	s_load_dwordx8 s[8:15], s[24:25], 0x0
	s_add_u32 s26, s26, 48
	s_addc_u32 s27, s27, 0
	s_waitcnt vmcnt(0) lgkmcnt(0)
	v_mul_hi_u32 v1, s17, v3
	v_add_u32_e32 v1, v3, v1
	v_lshrrev_b32_e32 v1, s18, v1
	v_mul_lo_u32 v5, v1, s16
	v_mul_hi_u32 v7, s20, v1
	v_sub_u32_e32 v3, v3, v5
	v_add_u32_e32 v5, v1, v7
	v_lshrrev_b32_e32 v5, s21, v5
	v_mul_lo_u32 v9, v5, s19
	v_mul_hi_u32 v11, s23, v5
	v_sub_u32_e32 v1, v1, v9
	v_add_u32_e32 v9, v5, v11
	v_mul_lo_u32 v7, v3, s9
	v_mul_lo_u32 v3, v3, s8
	;; [unrolled: 1-line block ×4, first 2 shown]
	v_lshrrev_b32_e32 v9, s0, v9
	v_add3_u32 v0, v3, v0, v1
	v_add3_u32 v1, v7, v12, v11
	v_mul_lo_u32 v3, v9, s22
	v_mul_hi_u32 v7, s2, v9
	v_sub_u32_e32 v3, v5, v3
	v_add_u32_e32 v5, v9, v7
	v_mul_lo_u32 v7, v3, s12
	v_mul_lo_u32 v11, v3, s13
	v_lshrrev_b32_e32 v3, s3, v5
	s_add_i32 s7, s7, 4
	v_mul_lo_u32 v5, v3, s1
	s_add_u32 s24, s24, 32
	v_sub_u32_e32 v5, v9, v5
	s_addc_u32 s25, s25, 0
	v_mul_lo_u32 v9, v5, s14
	v_mul_lo_u32 v5, v5, s15
	s_cmp_lg_u32 s6, s7
	v_add3_u32 v12, v11, v1, v5
	v_add3_u32 v0, v7, v0, v9
	s_cbranch_scc1 .LBB39_1177
; %bb.1178:
	v_mov_b32_e32 v1, v12
	s_and_b32 s7, s36, 3
	s_cmp_eq_u32 s7, 0
	s_cbranch_scc0 .LBB39_1182
.LBB39_1179:
	s_cbranch_execz .LBB39_1185
	s_branch .LBB39_1187
.LBB39_1180:
                                        ; implicit-def: $vgpr12
                                        ; implicit-def: $vgpr0
	s_branch .LBB39_1185
.LBB39_1181:
	s_mov_b32 s7, s6
	s_waitcnt vmcnt(0)
	v_pk_mov_b32 v[0:1], s[6:7], s[6:7] op_sel:[0,1]
                                        ; implicit-def: $vgpr12
	v_mov_b32_e32 v3, v16
	s_and_b32 s7, s36, 3
	s_cmp_eq_u32 s7, 0
	s_cbranch_scc1 .LBB39_1179
.LBB39_1182:
	s_lshl_b32 s0, s6, 3
	s_add_u32 s0, s0, s34
	s_addc_u32 s1, 0, s35
	s_add_u32 s0, s0, 0xc4
	s_addc_u32 s1, s1, 0
	s_mul_i32 s2, s6, 12
	s_add_u32 s2, s34, s2
	s_addc_u32 s3, 0, s35
.LBB39_1183:                            ; =>This Inner Loop Header: Depth=1
	s_load_dwordx2 s[8:9], s[2:3], 0x4
	s_load_dword s6, s[2:3], 0xc
	s_load_dwordx2 s[10:11], s[0:1], 0x0
	v_mov_b32_e32 v12, v1
	s_add_u32 s2, s2, 12
	s_waitcnt lgkmcnt(0)
	v_mul_hi_u32 v1, s9, v3
	v_add_u32_e32 v1, v3, v1
	v_lshrrev_b32_e32 v1, s6, v1
	s_addc_u32 s3, s3, 0
	v_mul_lo_u32 v5, v1, s8
	s_add_u32 s0, s0, 8
	v_sub_u32_e32 v5, v3, v5
	s_addc_u32 s1, s1, 0
	s_add_i32 s7, s7, -1
	v_mov_b32_e32 v3, v1
	v_mad_u64_u32 v[12:13], s[8:9], v5, s11, v[12:13]
	v_mad_u64_u32 v[0:1], s[8:9], v5, s10, v[0:1]
	s_cmp_lg_u32 s7, 0
	v_mov_b32_e32 v1, v12
	s_cbranch_scc1 .LBB39_1183
; %bb.1184:
	v_mov_b32_e32 v12, v1
	s_cbranch_execnz .LBB39_1187
.LBB39_1185:
	s_load_dwordx4 s[0:3], s[34:35], 0x4
	s_load_dwordx2 s[6:7], s[34:35], 0xc4
	s_cmp_lt_u32 s33, 2
	s_waitcnt lgkmcnt(0)
	v_mul_hi_u32 v0, s1, v16
	v_add_u32_e32 v0, v16, v0
	s_waitcnt vmcnt(0)
	v_lshrrev_b32_e32 v1, s2, v0
	v_mul_lo_u32 v0, v1, s0
	v_sub_u32_e32 v0, v16, v0
	v_mul_lo_u32 v12, v0, s7
	v_mul_lo_u32 v0, v0, s6
	s_cbranch_scc1 .LBB39_1187
; %bb.1186:
	s_load_dwordx4 s[0:3], s[34:35], 0x10
	s_load_dwordx2 s[6:7], s[34:35], 0xcc
	s_waitcnt lgkmcnt(0)
	v_mul_hi_u32 v3, s1, v1
	v_add_u32_e32 v3, v1, v3
	v_lshrrev_b32_e32 v3, s2, v3
	v_mul_lo_u32 v3, v3, s0
	v_sub_u32_e32 v3, v1, v3
	v_mad_u64_u32 v[0:1], s[0:1], v3, s6, v[0:1]
	v_mad_u64_u32 v[12:13], s[0:1], v3, s7, v[12:13]
.LBB39_1187:
	s_load_dword s0, s[4:5], 0x168
	s_load_dwordx4 s[8:11], s[34:35], 0x148
	s_waitcnt lgkmcnt(0)
	s_lshr_b32 s20, s0, 8
	s_waitcnt vmcnt(0)
	v_mov_b32_e32 v1, s11
	v_add_co_u32_e32 v8, vcc, s10, v8
	v_addc_co_u32_e32 v9, vcc, 0, v1, vcc
	v_mov_b32_e32 v1, 11
	v_cmp_lt_i16_sdwa s[0:1], s20, v1 src0_sel:BYTE_0 src1_sel:DWORD
	s_and_b64 vcc, exec, s[0:1]
	s_cbranch_vccnz .LBB39_1194
; %bb.1188:
	v_mov_b32_e32 v1, 25
	v_cmp_gt_i16_sdwa s[0:1], s20, v1 src0_sel:BYTE_0 src1_sel:DWORD
	s_mov_b64 s[4:5], 0
	s_and_b64 vcc, exec, s[0:1]
	s_cbranch_vccz .LBB39_1196
; %bb.1189:
	v_mov_b32_e32 v1, 28
	v_cmp_gt_i16_sdwa s[0:1], s20, v1 src0_sel:BYTE_0 src1_sel:DWORD
	s_and_b64 vcc, exec, s[0:1]
	s_cbranch_vccz .LBB39_1197
; %bb.1190:
	v_mov_b32_e32 v1, 43
	v_cmp_gt_i16_sdwa s[0:1], s20, v1 src0_sel:BYTE_0 src1_sel:DWORD
	;; [unrolled: 5-line block ×3, first 2 shown]
	s_and_b64 vcc, exec, s[0:1]
	s_cbranch_vccz .LBB39_1199
; %bb.1192:
	v_mov_b32_e32 v1, 46
	v_cmp_eq_u16_sdwa s[0:1], s20, v1 src0_sel:BYTE_0 src1_sel:DWORD
	s_mov_b64 s[2:3], 0
	s_and_b64 vcc, exec, s[0:1]
	s_cbranch_vccz .LBB39_1202
; %bb.1193:
	global_load_dword v1, v[8:9], off
	s_mov_b64 s[0:1], 0
	s_mov_b64 s[6:7], -1
	s_waitcnt vmcnt(0)
	v_lshlrev_b32_e32 v1, 16, v1
	s_branch .LBB39_1203
.LBB39_1194:
	s_mov_b64 s[6:7], 0
                                        ; implicit-def: $vgpr1
	s_mov_b64 s[2:3], s[28:29]
	s_cbranch_execnz .LBB39_1266
.LBB39_1195:
	s_andn2_b64 vcc, exec, s[6:7]
	s_cbranch_vccz .LBB39_1311
	s_branch .LBB39_1736
.LBB39_1196:
	s_mov_b64 s[6:7], 0
	s_mov_b64 s[0:1], 0
                                        ; implicit-def: $vgpr1
	s_cbranch_execnz .LBB39_1231
	s_branch .LBB39_1262
.LBB39_1197:
	s_mov_b64 s[2:3], -1
	s_mov_b64 s[6:7], 0
	s_mov_b64 s[0:1], 0
                                        ; implicit-def: $vgpr1
	s_branch .LBB39_1212
.LBB39_1198:
	s_mov_b64 s[6:7], 0
	s_mov_b64 s[0:1], 0
                                        ; implicit-def: $vgpr1
	s_cbranch_execnz .LBB39_1208
	s_branch .LBB39_1211
.LBB39_1199:
	s_mov_b64 s[2:3], -1
	s_mov_b64 s[6:7], 0
	s_mov_b64 s[0:1], 0
                                        ; implicit-def: $vgpr1
	s_branch .LBB39_1203
.LBB39_1200:
	s_or_saveexec_b64 s[14:15], s[14:15]
                                        ; implicit-def: $sgpr16
	s_xor_b64 exec, exec, s[14:15]
	s_cbranch_execz .LBB39_1043
.LBB39_1201:
	s_mov_b32 s16, 0x46000000
	v_add_f32_e64 v0, |v2|, s16
	v_and_b32_e32 v0, 0xff, v0
	v_cmp_ne_u32_e32 vcc, 0, v0
	s_andn2_b64 s[12:13], s[12:13], exec
	s_and_b64 s[18:19], vcc, exec
	s_mov_b32 s16, 0
	s_or_b64 s[12:13], s[12:13], s[18:19]
	s_or_b64 exec, exec, s[14:15]
	v_mov_b32_e32 v3, s16
	s_and_saveexec_b64 s[14:15], s[12:13]
	s_cbranch_execnz .LBB39_1044
	s_branch .LBB39_1045
.LBB39_1202:
	s_mov_b64 s[0:1], -1
                                        ; implicit-def: $vgpr1
	s_mov_b64 s[6:7], 0
.LBB39_1203:
	s_and_b64 vcc, exec, s[2:3]
	s_cbranch_vccz .LBB39_1206
; %bb.1204:
	v_mov_b32_e32 v1, 44
	v_cmp_eq_u16_sdwa s[0:1], s20, v1 src0_sel:BYTE_0 src1_sel:DWORD
	s_and_b64 vcc, exec, s[0:1]
	s_cbranch_vccz .LBB39_1207
; %bb.1205:
	global_load_ubyte v1, v[8:9], off
	s_movk_i32 s2, 0xff
	v_mov_b32_e32 v3, 0x7f800001
	v_mov_b32_e32 v5, 0x400000
	s_mov_b64 s[0:1], 0
	s_mov_b64 s[6:7], -1
	s_waitcnt vmcnt(0)
	v_lshlrev_b32_e32 v7, 23, v1
	v_cmp_ne_u32_e32 vcc, s2, v1
	v_cndmask_b32_e32 v3, v3, v7, vcc
	v_cmp_ne_u32_e32 vcc, 0, v1
	v_cndmask_b32_e32 v1, v5, v3, vcc
.LBB39_1206:
	s_branch .LBB39_1211
.LBB39_1207:
	s_mov_b64 s[0:1], -1
                                        ; implicit-def: $vgpr1
	s_branch .LBB39_1211
.LBB39_1208:
	v_mov_b32_e32 v1, 29
	v_cmp_eq_u16_sdwa s[0:1], s20, v1 src0_sel:BYTE_0 src1_sel:DWORD
	s_and_b64 vcc, exec, s[0:1]
	s_cbranch_vccz .LBB39_1210
; %bb.1209:
	global_load_dwordx2 v[16:17], v[8:9], off
	s_mov_b64 s[0:1], 0
	s_mov_b64 s[6:7], -1
	s_mov_b64 s[2:3], 0
	s_waitcnt vmcnt(0)
	v_ffbh_u32_e32 v1, v17
	v_min_u32_e32 v1, 32, v1
	v_lshlrev_b64 v[16:17], v1, v[16:17]
	v_min_u32_e32 v3, 1, v16
	v_or_b32_e32 v3, v17, v3
	v_cvt_f32_u32_e32 v3, v3
	v_sub_u32_e32 v1, 32, v1
	v_ldexp_f32 v1, v3, v1
	s_branch .LBB39_1212
.LBB39_1210:
	s_mov_b64 s[0:1], -1
                                        ; implicit-def: $vgpr1
.LBB39_1211:
	s_mov_b64 s[2:3], 0
.LBB39_1212:
	s_and_b64 vcc, exec, s[2:3]
	s_cbranch_vccz .LBB39_1230
; %bb.1213:
	v_mov_b32_e32 v1, 27
	v_cmp_lt_i16_sdwa s[2:3], s20, v1 src0_sel:BYTE_0 src1_sel:DWORD
	s_and_b64 vcc, exec, s[2:3]
	s_cbranch_vccnz .LBB39_1216
; %bb.1214:
	v_cmp_gt_i16_sdwa s[2:3], s20, v1 src0_sel:BYTE_0 src1_sel:DWORD
	s_and_b64 vcc, exec, s[2:3]
	s_cbranch_vccz .LBB39_1217
; %bb.1215:
	global_load_dword v1, v[8:9], off
	s_mov_b64 s[2:3], 0
	s_waitcnt vmcnt(0)
	v_cvt_f32_u32_e32 v1, v1
	s_branch .LBB39_1218
.LBB39_1216:
	s_mov_b64 s[2:3], -1
                                        ; implicit-def: $vgpr1
	s_branch .LBB39_1221
.LBB39_1217:
	s_mov_b64 s[2:3], -1
                                        ; implicit-def: $vgpr1
.LBB39_1218:
	s_andn2_b64 vcc, exec, s[2:3]
	s_cbranch_vccnz .LBB39_1220
; %bb.1219:
	global_load_ushort v1, v[8:9], off
	s_waitcnt vmcnt(0)
	v_cvt_f32_u32_e32 v1, v1
.LBB39_1220:
	s_mov_b64 s[2:3], 0
.LBB39_1221:
	s_andn2_b64 vcc, exec, s[2:3]
	s_cbranch_vccnz .LBB39_1229
; %bb.1222:
	global_load_ubyte v3, v[8:9], off
	s_movk_i32 s2, 0x7f
                                        ; implicit-def: $sgpr14
	s_waitcnt vmcnt(0)
	v_cmp_lt_i16_e32 vcc, s2, v3
	s_mov_b64 s[2:3], 0
	s_and_saveexec_b64 s[6:7], vcc
	s_xor_b64 s[6:7], exec, s[6:7]
	s_cbranch_execz .LBB39_1242
; %bb.1223:
	s_movk_i32 s2, 0x80
	v_cmp_eq_u16_e32 vcc, s2, v3
	s_mov_b64 s[2:3], -1
                                        ; implicit-def: $sgpr14
	s_and_saveexec_b64 s[12:13], vcc
; %bb.1224:
	s_mov_b32 s14, 0x7f800001
	s_xor_b64 s[2:3], exec, -1
; %bb.1225:
	s_or_b64 exec, exec, s[12:13]
	s_and_b64 s[2:3], s[2:3], exec
	s_or_saveexec_b64 s[6:7], s[6:7]
	v_mov_b32_e32 v1, s14
	s_xor_b64 exec, exec, s[6:7]
	s_cbranch_execnz .LBB39_1243
.LBB39_1226:
	s_or_b64 exec, exec, s[6:7]
	s_and_saveexec_b64 s[6:7], s[2:3]
	s_cbranch_execz .LBB39_1228
.LBB39_1227:
	v_lshlrev_b32_e32 v1, 24, v3
	v_and_b32_e32 v3, 0xffff, v3
	v_and_b32_e32 v5, 7, v3
	v_ffbh_u32_e32 v11, v5
	v_min_u32_e32 v11, 32, v11
	v_subrev_u32_e32 v13, 28, v11
	v_bfe_u32 v7, v3, 3, 4
	v_lshlrev_b32_e32 v3, v13, v3
	v_sub_u32_e32 v11, 29, v11
	v_and_b32_e32 v3, 7, v3
	v_cmp_eq_u32_e32 vcc, 0, v7
	v_cndmask_b32_e32 v7, v7, v11, vcc
	v_cndmask_b32_e32 v3, v5, v3, vcc
	v_mov_b32_e32 v5, 0x3b800000
	v_lshlrev_b32_e32 v3, 20, v3
	v_and_b32_e32 v1, 0x80000000, v1
	v_lshl_add_u32 v5, v7, 23, v5
	v_or3_b32 v1, v1, v5, v3
.LBB39_1228:
	s_or_b64 exec, exec, s[6:7]
.LBB39_1229:
	s_mov_b64 s[6:7], -1
.LBB39_1230:
	s_branch .LBB39_1262
.LBB39_1231:
	v_mov_b32_e32 v1, 22
	v_cmp_gt_i16_sdwa s[2:3], s20, v1 src0_sel:BYTE_0 src1_sel:DWORD
	s_and_b64 vcc, exec, s[2:3]
	s_cbranch_vccz .LBB39_1241
; %bb.1232:
	v_mov_b32_e32 v1, 24
	v_cmp_lt_i16_sdwa s[2:3], s20, v1 src0_sel:BYTE_0 src1_sel:DWORD
	s_and_b64 vcc, exec, s[2:3]
	s_cbranch_vccnz .LBB39_1244
; %bb.1233:
	v_cmp_gt_i16_sdwa s[2:3], s20, v1 src0_sel:BYTE_0 src1_sel:DWORD
	s_and_b64 vcc, exec, s[2:3]
	s_cbranch_vccz .LBB39_1245
; %bb.1234:
	global_load_ubyte v3, v[8:9], off
	s_movk_i32 s2, 0x7f
                                        ; implicit-def: $sgpr12
	s_waitcnt vmcnt(0)
	v_cmp_lt_i16_e32 vcc, s2, v3
	s_mov_b64 s[2:3], 0
	s_and_saveexec_b64 s[4:5], vcc
	s_xor_b64 s[4:5], exec, s[4:5]
	s_cbranch_execz .LBB39_1256
; %bb.1235:
	s_movk_i32 s2, 0x80
	v_cmp_eq_u16_e32 vcc, s2, v3
	s_mov_b64 s[2:3], -1
                                        ; implicit-def: $sgpr12
	s_and_saveexec_b64 s[6:7], vcc
; %bb.1236:
	s_mov_b32 s12, 0x7f800001
	s_xor_b64 s[2:3], exec, -1
; %bb.1237:
	s_or_b64 exec, exec, s[6:7]
	s_and_b64 s[2:3], s[2:3], exec
	s_or_saveexec_b64 s[4:5], s[4:5]
	v_mov_b32_e32 v1, s12
	s_xor_b64 exec, exec, s[4:5]
	s_cbranch_execnz .LBB39_1257
.LBB39_1238:
	s_or_b64 exec, exec, s[4:5]
	s_and_saveexec_b64 s[4:5], s[2:3]
	s_cbranch_execz .LBB39_1240
.LBB39_1239:
	v_lshlrev_b32_e32 v1, 24, v3
	v_and_b32_e32 v3, 0xffff, v3
	v_and_b32_e32 v5, 3, v3
	v_ffbh_u32_e32 v11, v5
	v_min_u32_e32 v11, 32, v11
	v_subrev_u32_e32 v13, 29, v11
	v_bfe_u32 v7, v3, 2, 5
	v_lshlrev_b32_e32 v3, v13, v3
	v_sub_u32_e32 v11, 30, v11
	v_and_b32_e32 v3, 3, v3
	v_cmp_eq_u32_e32 vcc, 0, v7
	v_cndmask_b32_e32 v7, v7, v11, vcc
	v_cndmask_b32_e32 v3, v5, v3, vcc
	v_mov_b32_e32 v5, 0x37800000
	v_lshlrev_b32_e32 v3, 21, v3
	v_and_b32_e32 v1, 0x80000000, v1
	v_lshl_add_u32 v5, v7, 23, v5
	v_or3_b32 v1, v1, v5, v3
.LBB39_1240:
	s_or_b64 exec, exec, s[4:5]
	s_mov_b64 s[2:3], 0
	s_branch .LBB39_1246
.LBB39_1241:
                                        ; implicit-def: $vgpr1
	s_mov_b64 s[4:5], 0
	s_branch .LBB39_1252
.LBB39_1242:
	s_or_saveexec_b64 s[6:7], s[6:7]
	v_mov_b32_e32 v1, s14
	s_xor_b64 exec, exec, s[6:7]
	s_cbranch_execz .LBB39_1226
.LBB39_1243:
	v_cmp_ne_u16_e32 vcc, 0, v3
	s_andn2_b64 s[2:3], s[2:3], exec
	s_and_b64 s[12:13], vcc, exec
	v_mov_b32_e32 v1, 0
	s_or_b64 s[2:3], s[2:3], s[12:13]
	s_or_b64 exec, exec, s[6:7]
	s_and_saveexec_b64 s[6:7], s[2:3]
	s_cbranch_execnz .LBB39_1227
	s_branch .LBB39_1228
.LBB39_1244:
	s_mov_b64 s[2:3], -1
                                        ; implicit-def: $vgpr1
	s_branch .LBB39_1249
.LBB39_1245:
	s_mov_b64 s[2:3], -1
                                        ; implicit-def: $vgpr1
.LBB39_1246:
	s_and_b64 vcc, exec, s[2:3]
	s_cbranch_vccz .LBB39_1248
; %bb.1247:
	global_load_ubyte v1, v[8:9], off
	s_mov_b32 s2, 0x7f800000
	s_waitcnt vmcnt(0)
	v_lshlrev_b32_e32 v1, 24, v1
	v_and_b32_e32 v3, 0x7f000000, v1
	v_ffbh_u32_e32 v5, v3
	v_min_u32_e32 v5, 32, v5
	v_sub_u32_e64 v5, v5, 4 clamp
	v_lshlrev_b32_e32 v11, v5, v3
	v_lshlrev_b32_e32 v5, 23, v5
	v_lshrrev_b32_e32 v11, 4, v11
	v_add_u32_e32 v7, 0x1000000, v3
	v_sub_u32_e32 v5, v11, v5
	v_ashrrev_i32_e32 v7, 8, v7
	v_add_u32_e32 v5, 0x3c000000, v5
	v_and_or_b32 v5, v7, s2, v5
	v_cmp_ne_u32_e32 vcc, 0, v3
	v_cndmask_b32_e32 v3, 0, v5, vcc
	s_brev_b32 s2, 1
	v_and_or_b32 v1, v1, s2, v3
.LBB39_1248:
	s_mov_b64 s[2:3], 0
.LBB39_1249:
	s_andn2_b64 vcc, exec, s[2:3]
	s_cbranch_vccnz .LBB39_1251
; %bb.1250:
	global_load_ubyte v1, v[8:9], off
	s_movk_i32 s2, 0x7f00
	s_brev_b32 s3, 16
	s_waitcnt vmcnt(0)
	v_lshlrev_b16_e32 v3, 8, v1
	v_lshlrev_b32_e32 v1, 25, v1
	v_lshrrev_b32_e32 v5, 4, v1
	v_and_or_b32 v7, v3, s2, 0.5
	v_or_b32_e32 v5, 0x70000000, v5
	v_add_f32_e32 v7, -0.5, v7
	v_mul_f32_e32 v5, 0x7800000, v5
	v_cmp_gt_u32_e32 vcc, s3, v1
	v_bfe_i32 v3, v3, 0, 16
	v_cndmask_b32_e32 v1, v5, v7, vcc
	s_brev_b32 s2, 1
	v_and_or_b32 v1, v3, s2, v1
.LBB39_1251:
	s_mov_b64 s[6:7], -1
	s_mov_b64 s[4:5], 0
	s_cbranch_execnz .LBB39_1262
.LBB39_1252:
	v_mov_b32_e32 v1, 14
	v_cmp_gt_i16_sdwa s[2:3], s20, v1 src0_sel:BYTE_0 src1_sel:DWORD
	s_and_b64 vcc, exec, s[2:3]
	s_cbranch_vccz .LBB39_1255
; %bb.1253:
	v_mov_b32_e32 v1, 15
	v_cmp_eq_u16_sdwa s[0:1], s20, v1 src0_sel:BYTE_0 src1_sel:DWORD
	s_and_b64 vcc, exec, s[0:1]
	s_cbranch_vccz .LBB39_1258
; %bb.1254:
	global_load_ushort v1, v[8:9], off
	s_mov_b64 s[0:1], 0
	s_mov_b64 s[6:7], -1
	s_waitcnt vmcnt(0)
	v_lshlrev_b32_e32 v1, 16, v1
	s_branch .LBB39_1259
.LBB39_1255:
	s_mov_b64 s[2:3], -1
                                        ; implicit-def: $vgpr1
	s_branch .LBB39_1260
.LBB39_1256:
	s_or_saveexec_b64 s[4:5], s[4:5]
	v_mov_b32_e32 v1, s12
	s_xor_b64 exec, exec, s[4:5]
	s_cbranch_execz .LBB39_1238
.LBB39_1257:
	v_cmp_ne_u16_e32 vcc, 0, v3
	s_andn2_b64 s[2:3], s[2:3], exec
	s_and_b64 s[6:7], vcc, exec
	v_mov_b32_e32 v1, 0
	s_or_b64 s[2:3], s[2:3], s[6:7]
	s_or_b64 exec, exec, s[4:5]
	s_and_saveexec_b64 s[4:5], s[2:3]
	s_cbranch_execnz .LBB39_1239
	s_branch .LBB39_1240
.LBB39_1258:
	s_mov_b64 s[0:1], -1
                                        ; implicit-def: $vgpr1
.LBB39_1259:
	s_mov_b64 s[2:3], 0
.LBB39_1260:
	s_and_b64 vcc, exec, s[2:3]
	s_cbranch_vccz .LBB39_1262
; %bb.1261:
	v_mov_b32_e32 v1, 11
	v_cmp_ne_u16_sdwa s[0:1], s20, v1 src0_sel:BYTE_0 src1_sel:DWORD
	s_mov_b64 s[4:5], -1
                                        ; implicit-def: $vgpr1
.LBB39_1262:
	s_and_b64 vcc, exec, s[0:1]
	s_mov_b64 s[2:3], s[28:29]
	s_cbranch_vccnz .LBB39_1333
; %bb.1263:
	s_andn2_b64 vcc, exec, s[4:5]
	s_cbranch_vccnz .LBB39_1265
.LBB39_1264:
	global_load_ubyte v1, v[8:9], off
	s_mov_b64 s[6:7], -1
	s_waitcnt vmcnt(0)
	v_cmp_ne_u16_e32 vcc, 0, v1
	v_cndmask_b32_e64 v1, 0, 1.0, vcc
.LBB39_1265:
	s_branch .LBB39_1195
.LBB39_1266:
	v_mov_b32_e32 v1, 5
	v_cmp_lt_i16_sdwa s[0:1], s20, v1 src0_sel:BYTE_0 src1_sel:DWORD
	s_and_b64 vcc, exec, s[0:1]
	s_cbranch_vccnz .LBB39_1271
; %bb.1267:
	v_mov_b32_e32 v1, 8
	v_cmp_lt_i16_sdwa s[0:1], s20, v1 src0_sel:BYTE_0 src1_sel:DWORD
	s_and_b64 vcc, exec, s[0:1]
	s_cbranch_vccnz .LBB39_1272
; %bb.1268:
	;; [unrolled: 5-line block ×3, first 2 shown]
	v_cmp_gt_i16_sdwa s[0:1], s20, v1 src0_sel:BYTE_0 src1_sel:DWORD
	s_and_b64 vcc, exec, s[0:1]
	s_cbranch_vccz .LBB39_1274
; %bb.1270:
	global_load_dwordx2 v[16:17], v[8:9], off
	s_mov_b64 s[0:1], 0
	s_waitcnt vmcnt(0)
	v_cvt_f32_f64_e32 v1, v[16:17]
	s_branch .LBB39_1275
.LBB39_1271:
                                        ; implicit-def: $vgpr1
	s_branch .LBB39_1292
.LBB39_1272:
                                        ; implicit-def: $vgpr1
	s_branch .LBB39_1281
.LBB39_1273:
	s_mov_b64 s[0:1], -1
                                        ; implicit-def: $vgpr1
	s_branch .LBB39_1278
.LBB39_1274:
	s_mov_b64 s[0:1], -1
                                        ; implicit-def: $vgpr1
.LBB39_1275:
	s_andn2_b64 vcc, exec, s[0:1]
	s_cbranch_vccnz .LBB39_1277
; %bb.1276:
	global_load_dword v1, v[8:9], off
.LBB39_1277:
	s_mov_b64 s[0:1], 0
.LBB39_1278:
	s_andn2_b64 vcc, exec, s[0:1]
	s_cbranch_vccnz .LBB39_1280
; %bb.1279:
	global_load_dword v1, v[8:9], off
	s_waitcnt vmcnt(0)
	v_cvt_f32_f16_e32 v1, v1
.LBB39_1280:
	s_cbranch_execnz .LBB39_1291
.LBB39_1281:
	s_waitcnt vmcnt(0)
	v_mov_b32_e32 v1, 6
	v_cmp_lt_i16_sdwa s[0:1], s20, v1 src0_sel:BYTE_0 src1_sel:DWORD
	s_and_b64 vcc, exec, s[0:1]
	s_cbranch_vccnz .LBB39_1284
; %bb.1282:
	v_cmp_gt_i16_sdwa s[0:1], s20, v1 src0_sel:BYTE_0 src1_sel:DWORD
	s_and_b64 vcc, exec, s[0:1]
	s_cbranch_vccz .LBB39_1285
; %bb.1283:
	global_load_dwordx2 v[16:17], v[8:9], off
	s_mov_b64 s[0:1], 0
	s_waitcnt vmcnt(0)
	v_cvt_f32_f64_e32 v1, v[16:17]
	s_branch .LBB39_1286
.LBB39_1284:
	s_mov_b64 s[0:1], -1
                                        ; implicit-def: $vgpr1
	s_branch .LBB39_1289
.LBB39_1285:
	s_mov_b64 s[0:1], -1
                                        ; implicit-def: $vgpr1
.LBB39_1286:
	s_andn2_b64 vcc, exec, s[0:1]
	s_cbranch_vccnz .LBB39_1288
; %bb.1287:
	global_load_dword v1, v[8:9], off
.LBB39_1288:
	s_mov_b64 s[0:1], 0
.LBB39_1289:
	s_andn2_b64 vcc, exec, s[0:1]
	s_cbranch_vccnz .LBB39_1291
; %bb.1290:
	global_load_ushort v1, v[8:9], off
	s_waitcnt vmcnt(0)
	v_cvt_f32_f16_e32 v1, v1
.LBB39_1291:
	s_cbranch_execnz .LBB39_1310
.LBB39_1292:
	s_waitcnt vmcnt(0)
	v_mov_b32_e32 v1, 2
	v_cmp_lt_i16_sdwa s[0:1], s20, v1 src0_sel:BYTE_0 src1_sel:DWORD
	s_and_b64 vcc, exec, s[0:1]
	s_cbranch_vccnz .LBB39_1296
; %bb.1293:
	v_mov_b32_e32 v1, 3
	v_cmp_lt_i16_sdwa s[0:1], s20, v1 src0_sel:BYTE_0 src1_sel:DWORD
	s_and_b64 vcc, exec, s[0:1]
	s_cbranch_vccnz .LBB39_1297
; %bb.1294:
	v_cmp_gt_i16_sdwa s[0:1], s20, v1 src0_sel:BYTE_0 src1_sel:DWORD
	s_and_b64 vcc, exec, s[0:1]
	s_cbranch_vccz .LBB39_1298
; %bb.1295:
	global_load_dwordx2 v[16:17], v[8:9], off
	s_mov_b64 s[0:1], 0
	s_waitcnt vmcnt(0)
	v_xor_b32_e32 v3, v16, v17
	v_ffbh_i32_e32 v1, v17
	v_ashrrev_i32_e32 v3, 31, v3
	v_add_u32_e32 v1, -1, v1
	v_add_u32_e32 v3, 32, v3
	v_min_u32_e32 v1, v1, v3
	v_lshlrev_b64 v[16:17], v1, v[16:17]
	v_min_u32_e32 v3, 1, v16
	v_or_b32_e32 v3, v17, v3
	v_cvt_f32_i32_e32 v3, v3
	v_sub_u32_e32 v1, 32, v1
	v_ldexp_f32 v1, v3, v1
	s_branch .LBB39_1299
.LBB39_1296:
                                        ; implicit-def: $vgpr1
	s_branch .LBB39_1305
.LBB39_1297:
	s_mov_b64 s[0:1], -1
                                        ; implicit-def: $vgpr1
	s_branch .LBB39_1302
.LBB39_1298:
	s_mov_b64 s[0:1], -1
                                        ; implicit-def: $vgpr1
.LBB39_1299:
	s_andn2_b64 vcc, exec, s[0:1]
	s_cbranch_vccnz .LBB39_1301
; %bb.1300:
	global_load_dword v1, v[8:9], off
	s_waitcnt vmcnt(0)
	v_cvt_f32_i32_e32 v1, v1
.LBB39_1301:
	s_mov_b64 s[0:1], 0
.LBB39_1302:
	s_andn2_b64 vcc, exec, s[0:1]
	s_cbranch_vccnz .LBB39_1304
; %bb.1303:
	global_load_sshort v1, v[8:9], off
	s_waitcnt vmcnt(0)
	v_cvt_f32_i32_e32 v1, v1
.LBB39_1304:
	s_cbranch_execnz .LBB39_1310
.LBB39_1305:
	v_mov_b32_e32 v1, 0
	v_cmp_gt_i16_sdwa s[0:1], s20, v1 src0_sel:BYTE_0 src1_sel:DWORD
	s_and_b64 vcc, exec, s[0:1]
	s_cbranch_vccz .LBB39_1307
; %bb.1306:
	global_load_sbyte v1, v[8:9], off
	s_mov_b64 s[0:1], 0
	s_waitcnt vmcnt(0)
	v_cvt_f32_i32_e32 v1, v1
	s_branch .LBB39_1308
.LBB39_1307:
	s_mov_b64 s[0:1], -1
                                        ; implicit-def: $vgpr1
.LBB39_1308:
	s_andn2_b64 vcc, exec, s[0:1]
	s_cbranch_vccnz .LBB39_1310
; %bb.1309:
	global_load_ubyte v1, v[8:9], off
	s_waitcnt vmcnt(0)
	v_cvt_f32_ubyte0_e32 v1, v1
.LBB39_1310:
.LBB39_1311:
	s_load_dword s0, s[34:35], 0x15c
	s_mov_b32 s1, 0x2f800000
	s_mov_b32 s4, 0xcf800000
	v_mov_b32_e32 v8, 0
	s_waitcnt lgkmcnt(0)
	v_trunc_f32_e32 v3, s0
	v_mul_f32_e64 v5, |v3|, s1
	v_floor_f32_e32 v5, v5
	v_readfirstlane_b32 s0, v3
	v_fma_f32 v3, v5, s4, |v3|
	v_cvt_u32_f32_e32 v7, v5
	v_cvt_u32_f32_e32 v3, v3
	s_ashr_i32 s0, s0, 31
	s_mov_b32 s1, s0
	v_readfirstlane_b32 s5, v7
	v_readfirstlane_b32 s4, v3
	s_xor_b64 s[4:5], s[4:5], s[0:1]
	s_sub_u32 s4, s4, s0
	s_subb_u32 s5, s5, s0
	v_cmp_lt_i64_e64 s[0:1], s[4:5], 0
	v_cmp_gt_i64_e64 s[6:7], s[4:5], -1
	s_and_b64 vcc, exec, s[0:1]
	s_cbranch_vccnz .LBB39_1321
; %bb.1312:
	v_cmp_lt_i64_e64 s[0:1], s[4:5], 1
	s_and_b64 vcc, exec, s[0:1]
	v_mov_b32_e32 v8, 1.0
	s_cbranch_vccnz .LBB39_1321
; %bb.1313:
	s_cmp_lg_u64 s[4:5], 1
	s_cbranch_scc0 .LBB39_1318
; %bb.1314:
	v_mov_b32_e32 v8, 0x80
	v_mov_b32_e32 v9, 0
	v_cmp_gt_u64_e32 vcc, s[4:5], v[8:9]
	v_mov_b32_e32 v8, 0x7fc00000
	s_cbranch_vccnz .LBB39_1317
; %bb.1315:
	s_mov_b64 s[0:1], 1
	v_mov_b32_e32 v3, 1.0
	s_waitcnt vmcnt(0)
	v_mov_b32_e32 v8, v1
.LBB39_1316:                            ; =>This Inner Loop Header: Depth=1
	s_flbit_i32_b32 s12, s1
	s_min_u32 s14, s12, 32
	s_lshl_b64 s[12:13], s[0:1], s14
	s_min_u32 s12, s12, 1
	s_or_b32 s12, s13, s12
	v_cvt_f32_u32_e32 v7, s12
	s_sub_i32 s14, 32, s14
	s_add_u32 s0, s0, 1
	v_mov_b32_e32 v5, v8
	v_ldexp_f32 v7, v7, s14
	s_addc_u32 s1, s1, 0
	v_mul_f32_e32 v7, v3, v7
	s_cmp_lg_u64 s[4:5], s[0:1]
	v_mov_b32_e32 v3, v8
	v_fma_f32 v8, v1, v5, -v7
	s_cbranch_scc1 .LBB39_1316
.LBB39_1317:
	s_mov_b64 s[0:1], 0
	s_branch .LBB39_1319
.LBB39_1318:
	s_mov_b64 s[0:1], -1
                                        ; implicit-def: $vgpr8
.LBB39_1319:
	s_andn2_b64 vcc, exec, s[0:1]
	s_cbranch_vccnz .LBB39_1321
; %bb.1320:
	s_waitcnt vmcnt(0)
	v_mov_b32_e32 v8, v1
.LBB39_1321:
	s_waitcnt vmcnt(0)
	v_mov_b32_e32 v1, s11
	v_add_co_u32_e32 v10, vcc, s10, v10
	v_addc_co_u32_e32 v11, vcc, 0, v1, vcc
	v_mov_b32_e32 v1, 11
	v_cmp_lt_i16_sdwa s[0:1], s20, v1 src0_sel:BYTE_0 src1_sel:DWORD
	s_and_b64 vcc, exec, s[0:1]
	s_cbranch_vccnz .LBB39_1328
; %bb.1322:
	v_mov_b32_e32 v1, 25
	v_cmp_gt_i16_sdwa s[0:1], s20, v1 src0_sel:BYTE_0 src1_sel:DWORD
	s_mov_b64 s[12:13], 0
	s_and_b64 vcc, exec, s[0:1]
	s_cbranch_vccz .LBB39_1330
; %bb.1323:
	v_mov_b32_e32 v1, 28
	v_cmp_gt_i16_sdwa s[0:1], s20, v1 src0_sel:BYTE_0 src1_sel:DWORD
	s_and_b64 vcc, exec, s[0:1]
	s_cbranch_vccz .LBB39_1331
; %bb.1324:
	v_mov_b32_e32 v1, 43
	v_cmp_gt_i16_sdwa s[0:1], s20, v1 src0_sel:BYTE_0 src1_sel:DWORD
	;; [unrolled: 5-line block ×3, first 2 shown]
	s_and_b64 vcc, exec, s[0:1]
	s_cbranch_vccz .LBB39_1334
; %bb.1326:
	v_mov_b32_e32 v1, 46
	v_cmp_eq_u16_sdwa s[0:1], s20, v1 src0_sel:BYTE_0 src1_sel:DWORD
	s_mov_b64 s[16:17], 0
	s_and_b64 vcc, exec, s[0:1]
	s_cbranch_vccz .LBB39_1337
; %bb.1327:
	global_load_dword v1, v[10:11], off
	s_mov_b64 s[0:1], 0
	s_mov_b64 s[14:15], -1
	s_waitcnt vmcnt(0)
	v_lshlrev_b32_e32 v1, 16, v1
	s_branch .LBB39_1338
.LBB39_1328:
	s_mov_b64 s[14:15], 0
                                        ; implicit-def: $vgpr1
	s_cbranch_execnz .LBB39_1403
.LBB39_1329:
	s_andn2_b64 vcc, exec, s[14:15]
	s_cbranch_vccnz .LBB39_1736
	s_branch .LBB39_1450
.LBB39_1330:
	s_mov_b64 s[14:15], 0
	s_mov_b64 s[0:1], 0
                                        ; implicit-def: $vgpr1
	s_cbranch_execnz .LBB39_1367
	s_branch .LBB39_1399
.LBB39_1331:
	s_mov_b64 s[16:17], -1
	s_mov_b64 s[14:15], 0
	s_mov_b64 s[0:1], 0
                                        ; implicit-def: $vgpr1
	s_branch .LBB39_1348
.LBB39_1332:
	s_mov_b64 s[16:17], -1
	s_mov_b64 s[14:15], 0
	s_mov_b64 s[0:1], 0
                                        ; implicit-def: $vgpr1
	s_branch .LBB39_1343
.LBB39_1333:
	s_or_b64 s[2:3], s[28:29], exec
	s_trap 2
                                        ; implicit-def: $vgpr1
	s_cbranch_execz .LBB39_1264
	s_branch .LBB39_1265
.LBB39_1334:
	s_mov_b64 s[16:17], -1
	s_mov_b64 s[14:15], 0
	s_mov_b64 s[0:1], 0
                                        ; implicit-def: $vgpr1
	s_branch .LBB39_1338
.LBB39_1335:
	s_or_saveexec_b64 s[16:17], s[16:17]
                                        ; implicit-def: $sgpr18
	s_xor_b64 exec, exec, s[16:17]
	s_cbranch_execz .LBB39_1055
.LBB39_1336:
	s_mov_b32 s18, 0x42800000
	v_add_f32_e64 v0, |v2|, s18
	v_and_b32_e32 v0, 0xff, v0
	v_cmp_ne_u32_e32 vcc, 0, v0
	s_andn2_b64 s[14:15], s[14:15], exec
	s_and_b64 s[20:21], vcc, exec
	s_mov_b32 s18, 0
	s_or_b64 s[14:15], s[14:15], s[20:21]
	s_or_b64 exec, exec, s[16:17]
	v_mov_b32_e32 v3, s18
	s_and_saveexec_b64 s[16:17], s[14:15]
	s_cbranch_execnz .LBB39_1056
	s_branch .LBB39_1057
.LBB39_1337:
	s_mov_b64 s[0:1], -1
                                        ; implicit-def: $vgpr1
	s_mov_b64 s[14:15], 0
.LBB39_1338:
	s_and_b64 vcc, exec, s[16:17]
	s_cbranch_vccz .LBB39_1342
; %bb.1339:
	v_mov_b32_e32 v1, 44
	v_cmp_eq_u16_sdwa s[0:1], s20, v1 src0_sel:BYTE_0 src1_sel:DWORD
	s_and_b64 vcc, exec, s[0:1]
	s_cbranch_vccz .LBB39_1341
; %bb.1340:
	global_load_ubyte v1, v[10:11], off
	s_movk_i32 s14, 0xff
	v_mov_b32_e32 v3, 0x7f800001
	v_mov_b32_e32 v5, 0x400000
	s_mov_b64 s[0:1], 0
	s_waitcnt vmcnt(0)
	v_lshlrev_b32_e32 v7, 23, v1
	v_cmp_ne_u32_e32 vcc, s14, v1
	v_cndmask_b32_e32 v3, v3, v7, vcc
	v_cmp_ne_u32_e32 vcc, 0, v1
	v_cndmask_b32_e32 v1, v5, v3, vcc
	s_mov_b64 s[14:15], -1
	s_branch .LBB39_1342
.LBB39_1341:
	s_mov_b64 s[0:1], -1
                                        ; implicit-def: $vgpr1
.LBB39_1342:
	s_mov_b64 s[16:17], 0
.LBB39_1343:
	s_and_b64 vcc, exec, s[16:17]
	s_cbranch_vccz .LBB39_1347
; %bb.1344:
	v_mov_b32_e32 v1, 29
	v_cmp_eq_u16_sdwa s[0:1], s20, v1 src0_sel:BYTE_0 src1_sel:DWORD
	s_and_b64 vcc, exec, s[0:1]
	s_cbranch_vccz .LBB39_1346
; %bb.1345:
	global_load_dwordx2 v[16:17], v[10:11], off
	s_mov_b64 s[0:1], 0
	s_mov_b64 s[14:15], -1
	s_mov_b64 s[16:17], 0
	s_waitcnt vmcnt(0)
	v_ffbh_u32_e32 v1, v17
	v_min_u32_e32 v1, 32, v1
	v_lshlrev_b64 v[16:17], v1, v[16:17]
	v_min_u32_e32 v3, 1, v16
	v_or_b32_e32 v3, v17, v3
	v_cvt_f32_u32_e32 v3, v3
	v_sub_u32_e32 v1, 32, v1
	v_ldexp_f32 v1, v3, v1
	s_branch .LBB39_1348
.LBB39_1346:
	s_mov_b64 s[0:1], -1
                                        ; implicit-def: $vgpr1
.LBB39_1347:
	s_mov_b64 s[16:17], 0
.LBB39_1348:
	s_and_b64 vcc, exec, s[16:17]
	s_cbranch_vccz .LBB39_1366
; %bb.1349:
	v_mov_b32_e32 v1, 27
	v_cmp_lt_i16_sdwa s[14:15], s20, v1 src0_sel:BYTE_0 src1_sel:DWORD
	s_and_b64 vcc, exec, s[14:15]
	s_cbranch_vccnz .LBB39_1352
; %bb.1350:
	v_cmp_gt_i16_sdwa s[14:15], s20, v1 src0_sel:BYTE_0 src1_sel:DWORD
	s_and_b64 vcc, exec, s[14:15]
	s_cbranch_vccz .LBB39_1353
; %bb.1351:
	global_load_dword v1, v[10:11], off
	s_mov_b64 s[14:15], 0
	s_waitcnt vmcnt(0)
	v_cvt_f32_u32_e32 v1, v1
	s_branch .LBB39_1354
.LBB39_1352:
	s_mov_b64 s[14:15], -1
                                        ; implicit-def: $vgpr1
	s_branch .LBB39_1357
.LBB39_1353:
	s_mov_b64 s[14:15], -1
                                        ; implicit-def: $vgpr1
.LBB39_1354:
	s_andn2_b64 vcc, exec, s[14:15]
	s_cbranch_vccnz .LBB39_1356
; %bb.1355:
	global_load_ushort v1, v[10:11], off
	s_waitcnt vmcnt(0)
	v_cvt_f32_u32_e32 v1, v1
.LBB39_1356:
	s_mov_b64 s[14:15], 0
.LBB39_1357:
	s_andn2_b64 vcc, exec, s[14:15]
	s_cbranch_vccnz .LBB39_1365
; %bb.1358:
	global_load_ubyte v3, v[10:11], off
	s_movk_i32 s14, 0x7f
                                        ; implicit-def: $sgpr21
	s_waitcnt vmcnt(0)
	v_cmp_lt_i16_e32 vcc, s14, v3
	s_mov_b64 s[14:15], 0
	s_and_saveexec_b64 s[16:17], vcc
	s_xor_b64 s[16:17], exec, s[16:17]
	s_cbranch_execz .LBB39_1378
; %bb.1359:
	s_movk_i32 s14, 0x80
	v_cmp_eq_u16_e32 vcc, s14, v3
	s_mov_b64 s[14:15], -1
                                        ; implicit-def: $sgpr21
	s_and_saveexec_b64 s[18:19], vcc
; %bb.1360:
	s_mov_b32 s21, 0x7f800001
	s_xor_b64 s[14:15], exec, -1
; %bb.1361:
	s_or_b64 exec, exec, s[18:19]
	s_and_b64 s[14:15], s[14:15], exec
	s_or_saveexec_b64 s[16:17], s[16:17]
	v_mov_b32_e32 v1, s21
	s_xor_b64 exec, exec, s[16:17]
	s_cbranch_execnz .LBB39_1379
.LBB39_1362:
	s_or_b64 exec, exec, s[16:17]
	s_and_saveexec_b64 s[16:17], s[14:15]
	s_cbranch_execz .LBB39_1364
.LBB39_1363:
	v_lshlrev_b32_e32 v1, 24, v3
	v_and_b32_e32 v3, 0xffff, v3
	v_and_b32_e32 v5, 7, v3
	v_ffbh_u32_e32 v9, v5
	v_min_u32_e32 v9, 32, v9
	v_subrev_u32_e32 v13, 28, v9
	v_bfe_u32 v7, v3, 3, 4
	v_lshlrev_b32_e32 v3, v13, v3
	v_sub_u32_e32 v9, 29, v9
	v_and_b32_e32 v3, 7, v3
	v_cmp_eq_u32_e32 vcc, 0, v7
	v_cndmask_b32_e32 v7, v7, v9, vcc
	v_cndmask_b32_e32 v3, v5, v3, vcc
	v_mov_b32_e32 v5, 0x3b800000
	v_lshlrev_b32_e32 v3, 20, v3
	v_and_b32_e32 v1, 0x80000000, v1
	v_lshl_add_u32 v5, v7, 23, v5
	v_or3_b32 v1, v1, v5, v3
.LBB39_1364:
	s_or_b64 exec, exec, s[16:17]
.LBB39_1365:
	s_mov_b64 s[14:15], -1
.LBB39_1366:
	s_branch .LBB39_1399
.LBB39_1367:
	v_mov_b32_e32 v1, 22
	v_cmp_gt_i16_sdwa s[12:13], s20, v1 src0_sel:BYTE_0 src1_sel:DWORD
	s_and_b64 vcc, exec, s[12:13]
	s_cbranch_vccz .LBB39_1377
; %bb.1368:
	v_mov_b32_e32 v1, 24
	v_cmp_lt_i16_sdwa s[12:13], s20, v1 src0_sel:BYTE_0 src1_sel:DWORD
	s_and_b64 vcc, exec, s[12:13]
	s_cbranch_vccnz .LBB39_1380
; %bb.1369:
	v_cmp_gt_i16_sdwa s[12:13], s20, v1 src0_sel:BYTE_0 src1_sel:DWORD
	s_and_b64 vcc, exec, s[12:13]
	s_cbranch_vccz .LBB39_1381
; %bb.1370:
	global_load_ubyte v3, v[10:11], off
	s_movk_i32 s12, 0x7f
                                        ; implicit-def: $sgpr18
	s_waitcnt vmcnt(0)
	v_cmp_lt_i16_e32 vcc, s12, v3
	s_mov_b64 s[12:13], 0
	s_and_saveexec_b64 s[14:15], vcc
	s_xor_b64 s[14:15], exec, s[14:15]
	s_cbranch_execz .LBB39_1393
; %bb.1371:
	s_movk_i32 s12, 0x80
	v_cmp_eq_u16_e32 vcc, s12, v3
	s_mov_b64 s[12:13], -1
                                        ; implicit-def: $sgpr18
	s_and_saveexec_b64 s[16:17], vcc
; %bb.1372:
	s_mov_b32 s18, 0x7f800001
	s_xor_b64 s[12:13], exec, -1
; %bb.1373:
	s_or_b64 exec, exec, s[16:17]
	s_and_b64 s[12:13], s[12:13], exec
	s_or_saveexec_b64 s[14:15], s[14:15]
	v_mov_b32_e32 v1, s18
	s_xor_b64 exec, exec, s[14:15]
	s_cbranch_execnz .LBB39_1394
.LBB39_1374:
	s_or_b64 exec, exec, s[14:15]
	s_and_saveexec_b64 s[14:15], s[12:13]
	s_cbranch_execz .LBB39_1376
.LBB39_1375:
	v_lshlrev_b32_e32 v1, 24, v3
	v_and_b32_e32 v3, 0xffff, v3
	v_and_b32_e32 v5, 3, v3
	v_ffbh_u32_e32 v9, v5
	v_min_u32_e32 v9, 32, v9
	v_subrev_u32_e32 v13, 29, v9
	v_bfe_u32 v7, v3, 2, 5
	v_lshlrev_b32_e32 v3, v13, v3
	v_sub_u32_e32 v9, 30, v9
	v_and_b32_e32 v3, 3, v3
	v_cmp_eq_u32_e32 vcc, 0, v7
	v_cndmask_b32_e32 v7, v7, v9, vcc
	v_cndmask_b32_e32 v3, v5, v3, vcc
	v_mov_b32_e32 v5, 0x37800000
	v_lshlrev_b32_e32 v3, 21, v3
	v_and_b32_e32 v1, 0x80000000, v1
	v_lshl_add_u32 v5, v7, 23, v5
	v_or3_b32 v1, v1, v5, v3
.LBB39_1376:
	s_or_b64 exec, exec, s[14:15]
	s_mov_b64 s[12:13], 0
	s_branch .LBB39_1382
.LBB39_1377:
	s_mov_b64 s[12:13], -1
                                        ; implicit-def: $vgpr1
	s_branch .LBB39_1388
.LBB39_1378:
	s_or_saveexec_b64 s[16:17], s[16:17]
	v_mov_b32_e32 v1, s21
	s_xor_b64 exec, exec, s[16:17]
	s_cbranch_execz .LBB39_1362
.LBB39_1379:
	v_cmp_ne_u16_e32 vcc, 0, v3
	s_andn2_b64 s[14:15], s[14:15], exec
	s_and_b64 s[18:19], vcc, exec
	v_mov_b32_e32 v1, 0
	s_or_b64 s[14:15], s[14:15], s[18:19]
	s_or_b64 exec, exec, s[16:17]
	s_and_saveexec_b64 s[16:17], s[14:15]
	s_cbranch_execnz .LBB39_1363
	s_branch .LBB39_1364
.LBB39_1380:
	s_mov_b64 s[12:13], -1
                                        ; implicit-def: $vgpr1
	s_branch .LBB39_1385
.LBB39_1381:
	s_mov_b64 s[12:13], -1
                                        ; implicit-def: $vgpr1
.LBB39_1382:
	s_and_b64 vcc, exec, s[12:13]
	s_cbranch_vccz .LBB39_1384
; %bb.1383:
	global_load_ubyte v1, v[10:11], off
	s_mov_b32 s12, 0x7f800000
	s_waitcnt vmcnt(0)
	v_lshlrev_b32_e32 v1, 24, v1
	v_and_b32_e32 v3, 0x7f000000, v1
	v_ffbh_u32_e32 v5, v3
	v_min_u32_e32 v5, 32, v5
	v_sub_u32_e64 v5, v5, 4 clamp
	v_lshlrev_b32_e32 v9, v5, v3
	v_lshlrev_b32_e32 v5, 23, v5
	v_lshrrev_b32_e32 v9, 4, v9
	v_add_u32_e32 v7, 0x1000000, v3
	v_sub_u32_e32 v5, v9, v5
	v_ashrrev_i32_e32 v7, 8, v7
	v_add_u32_e32 v5, 0x3c000000, v5
	v_and_or_b32 v5, v7, s12, v5
	v_cmp_ne_u32_e32 vcc, 0, v3
	v_cndmask_b32_e32 v3, 0, v5, vcc
	s_brev_b32 s12, 1
	v_and_or_b32 v1, v1, s12, v3
.LBB39_1384:
	s_mov_b64 s[12:13], 0
.LBB39_1385:
	s_andn2_b64 vcc, exec, s[12:13]
	s_cbranch_vccnz .LBB39_1387
; %bb.1386:
	global_load_ubyte v1, v[10:11], off
	s_movk_i32 s12, 0x7f00
	s_brev_b32 s13, 16
	s_waitcnt vmcnt(0)
	v_lshlrev_b16_e32 v3, 8, v1
	v_lshlrev_b32_e32 v1, 25, v1
	v_lshrrev_b32_e32 v5, 4, v1
	v_and_or_b32 v7, v3, s12, 0.5
	v_or_b32_e32 v5, 0x70000000, v5
	v_add_f32_e32 v7, -0.5, v7
	v_mul_f32_e32 v5, 0x7800000, v5
	v_cmp_gt_u32_e32 vcc, s13, v1
	v_bfe_i32 v3, v3, 0, 16
	v_cndmask_b32_e32 v1, v5, v7, vcc
	s_brev_b32 s12, 1
	v_and_or_b32 v1, v3, s12, v1
.LBB39_1387:
	s_mov_b64 s[12:13], 0
	s_mov_b64 s[14:15], -1
.LBB39_1388:
	s_andn2_b64 vcc, exec, s[12:13]
	s_mov_b64 s[12:13], 0
	s_cbranch_vccnz .LBB39_1399
; %bb.1389:
	v_mov_b32_e32 v1, 14
	v_cmp_gt_i16_sdwa s[12:13], s20, v1 src0_sel:BYTE_0 src1_sel:DWORD
	s_and_b64 vcc, exec, s[12:13]
	s_cbranch_vccz .LBB39_1392
; %bb.1390:
	v_mov_b32_e32 v1, 15
	v_cmp_eq_u16_sdwa s[0:1], s20, v1 src0_sel:BYTE_0 src1_sel:DWORD
	s_and_b64 vcc, exec, s[0:1]
	s_cbranch_vccz .LBB39_1395
; %bb.1391:
	global_load_ushort v1, v[10:11], off
	s_mov_b64 s[0:1], 0
	s_mov_b64 s[14:15], -1
	s_waitcnt vmcnt(0)
	v_lshlrev_b32_e32 v1, 16, v1
	s_branch .LBB39_1396
.LBB39_1392:
	s_mov_b64 s[16:17], -1
                                        ; implicit-def: $vgpr1
	s_branch .LBB39_1397
.LBB39_1393:
	s_or_saveexec_b64 s[14:15], s[14:15]
	v_mov_b32_e32 v1, s18
	s_xor_b64 exec, exec, s[14:15]
	s_cbranch_execz .LBB39_1374
.LBB39_1394:
	v_cmp_ne_u16_e32 vcc, 0, v3
	s_andn2_b64 s[12:13], s[12:13], exec
	s_and_b64 s[16:17], vcc, exec
	v_mov_b32_e32 v1, 0
	s_or_b64 s[12:13], s[12:13], s[16:17]
	s_or_b64 exec, exec, s[14:15]
	s_and_saveexec_b64 s[14:15], s[12:13]
	s_cbranch_execnz .LBB39_1375
	s_branch .LBB39_1376
.LBB39_1395:
	s_mov_b64 s[0:1], -1
                                        ; implicit-def: $vgpr1
.LBB39_1396:
	s_mov_b64 s[16:17], 0
.LBB39_1397:
	s_mov_b64 s[12:13], 0
	s_and_b64 vcc, exec, s[16:17]
	s_cbranch_vccz .LBB39_1399
; %bb.1398:
	v_mov_b32_e32 v1, 11
	v_cmp_ne_u16_sdwa s[0:1], s20, v1 src0_sel:BYTE_0 src1_sel:DWORD
	s_mov_b64 s[12:13], -1
                                        ; implicit-def: $vgpr1
.LBB39_1399:
	s_and_b64 vcc, exec, s[0:1]
	s_cbranch_vccnz .LBB39_1472
; %bb.1400:
	s_andn2_b64 vcc, exec, s[12:13]
	s_cbranch_vccnz .LBB39_1402
.LBB39_1401:
	global_load_ubyte v1, v[10:11], off
	s_mov_b64 s[14:15], -1
	s_waitcnt vmcnt(0)
	v_cmp_ne_u16_e32 vcc, 0, v1
	v_cndmask_b32_e64 v1, 0, 1.0, vcc
.LBB39_1402:
	s_branch .LBB39_1329
.LBB39_1403:
	v_mov_b32_e32 v1, 5
	v_cmp_lt_i16_sdwa s[0:1], s20, v1 src0_sel:BYTE_0 src1_sel:DWORD
	s_and_b64 vcc, exec, s[0:1]
	s_cbranch_vccnz .LBB39_1408
; %bb.1404:
	v_mov_b32_e32 v1, 8
	v_cmp_lt_i16_sdwa s[0:1], s20, v1 src0_sel:BYTE_0 src1_sel:DWORD
	s_and_b64 vcc, exec, s[0:1]
	s_cbranch_vccnz .LBB39_1409
; %bb.1405:
	;; [unrolled: 5-line block ×3, first 2 shown]
	v_cmp_gt_i16_sdwa s[0:1], s20, v1 src0_sel:BYTE_0 src1_sel:DWORD
	s_and_b64 vcc, exec, s[0:1]
	s_cbranch_vccz .LBB39_1411
; %bb.1407:
	global_load_dwordx2 v[16:17], v[10:11], off
	s_mov_b64 s[0:1], 0
	s_waitcnt vmcnt(0)
	v_cvt_f32_f64_e32 v1, v[16:17]
	s_branch .LBB39_1412
.LBB39_1408:
                                        ; implicit-def: $vgpr1
	s_branch .LBB39_1430
.LBB39_1409:
	s_mov_b64 s[0:1], -1
                                        ; implicit-def: $vgpr1
	s_branch .LBB39_1418
.LBB39_1410:
	s_mov_b64 s[0:1], -1
                                        ; implicit-def: $vgpr1
	s_branch .LBB39_1415
.LBB39_1411:
	s_mov_b64 s[0:1], -1
                                        ; implicit-def: $vgpr1
.LBB39_1412:
	s_andn2_b64 vcc, exec, s[0:1]
	s_cbranch_vccnz .LBB39_1414
; %bb.1413:
	global_load_dword v1, v[10:11], off
.LBB39_1414:
	s_mov_b64 s[0:1], 0
.LBB39_1415:
	s_andn2_b64 vcc, exec, s[0:1]
	s_cbranch_vccnz .LBB39_1417
; %bb.1416:
	global_load_dword v1, v[10:11], off
	s_waitcnt vmcnt(0)
	v_cvt_f32_f16_e32 v1, v1
.LBB39_1417:
	s_mov_b64 s[0:1], 0
.LBB39_1418:
	s_andn2_b64 vcc, exec, s[0:1]
	s_cbranch_vccnz .LBB39_1429
; %bb.1419:
	s_waitcnt vmcnt(0)
	v_mov_b32_e32 v1, 6
	v_cmp_lt_i16_sdwa s[0:1], s20, v1 src0_sel:BYTE_0 src1_sel:DWORD
	s_and_b64 vcc, exec, s[0:1]
	s_cbranch_vccnz .LBB39_1422
; %bb.1420:
	v_cmp_gt_i16_sdwa s[0:1], s20, v1 src0_sel:BYTE_0 src1_sel:DWORD
	s_and_b64 vcc, exec, s[0:1]
	s_cbranch_vccz .LBB39_1423
; %bb.1421:
	global_load_dwordx2 v[16:17], v[10:11], off
	s_mov_b64 s[0:1], 0
	s_waitcnt vmcnt(0)
	v_cvt_f32_f64_e32 v1, v[16:17]
	s_branch .LBB39_1424
.LBB39_1422:
	s_mov_b64 s[0:1], -1
                                        ; implicit-def: $vgpr1
	s_branch .LBB39_1427
.LBB39_1423:
	s_mov_b64 s[0:1], -1
                                        ; implicit-def: $vgpr1
.LBB39_1424:
	s_andn2_b64 vcc, exec, s[0:1]
	s_cbranch_vccnz .LBB39_1426
; %bb.1425:
	global_load_dword v1, v[10:11], off
.LBB39_1426:
	s_mov_b64 s[0:1], 0
.LBB39_1427:
	s_andn2_b64 vcc, exec, s[0:1]
	s_cbranch_vccnz .LBB39_1429
; %bb.1428:
	global_load_ushort v1, v[10:11], off
	s_waitcnt vmcnt(0)
	v_cvt_f32_f16_e32 v1, v1
.LBB39_1429:
	s_cbranch_execnz .LBB39_1449
.LBB39_1430:
	s_waitcnt vmcnt(0)
	v_mov_b32_e32 v1, 2
	v_cmp_lt_i16_sdwa s[0:1], s20, v1 src0_sel:BYTE_0 src1_sel:DWORD
	s_and_b64 vcc, exec, s[0:1]
	s_cbranch_vccnz .LBB39_1434
; %bb.1431:
	v_mov_b32_e32 v1, 3
	v_cmp_lt_i16_sdwa s[0:1], s20, v1 src0_sel:BYTE_0 src1_sel:DWORD
	s_and_b64 vcc, exec, s[0:1]
	s_cbranch_vccnz .LBB39_1435
; %bb.1432:
	v_cmp_gt_i16_sdwa s[0:1], s20, v1 src0_sel:BYTE_0 src1_sel:DWORD
	s_and_b64 vcc, exec, s[0:1]
	s_cbranch_vccz .LBB39_1436
; %bb.1433:
	global_load_dwordx2 v[16:17], v[10:11], off
	s_mov_b64 s[0:1], 0
	s_waitcnt vmcnt(0)
	v_xor_b32_e32 v3, v16, v17
	v_ffbh_i32_e32 v1, v17
	v_ashrrev_i32_e32 v3, 31, v3
	v_add_u32_e32 v1, -1, v1
	v_add_u32_e32 v3, 32, v3
	v_min_u32_e32 v1, v1, v3
	v_lshlrev_b64 v[16:17], v1, v[16:17]
	v_min_u32_e32 v3, 1, v16
	v_or_b32_e32 v3, v17, v3
	v_cvt_f32_i32_e32 v3, v3
	v_sub_u32_e32 v1, 32, v1
	v_ldexp_f32 v1, v3, v1
	s_branch .LBB39_1437
.LBB39_1434:
	s_mov_b64 s[0:1], -1
                                        ; implicit-def: $vgpr1
	s_branch .LBB39_1443
.LBB39_1435:
	s_mov_b64 s[0:1], -1
                                        ; implicit-def: $vgpr1
	s_branch .LBB39_1440
.LBB39_1436:
	s_mov_b64 s[0:1], -1
                                        ; implicit-def: $vgpr1
.LBB39_1437:
	s_andn2_b64 vcc, exec, s[0:1]
	s_cbranch_vccnz .LBB39_1439
; %bb.1438:
	global_load_dword v1, v[10:11], off
	s_waitcnt vmcnt(0)
	v_cvt_f32_i32_e32 v1, v1
.LBB39_1439:
	s_mov_b64 s[0:1], 0
.LBB39_1440:
	s_andn2_b64 vcc, exec, s[0:1]
	s_cbranch_vccnz .LBB39_1442
; %bb.1441:
	global_load_sshort v1, v[10:11], off
	s_waitcnt vmcnt(0)
	v_cvt_f32_i32_e32 v1, v1
.LBB39_1442:
	s_mov_b64 s[0:1], 0
.LBB39_1443:
	s_andn2_b64 vcc, exec, s[0:1]
	s_cbranch_vccnz .LBB39_1449
; %bb.1444:
	v_mov_b32_e32 v1, 0
	v_cmp_gt_i16_sdwa s[0:1], s20, v1 src0_sel:BYTE_0 src1_sel:DWORD
	s_and_b64 vcc, exec, s[0:1]
	s_cbranch_vccz .LBB39_1446
; %bb.1445:
	global_load_sbyte v1, v[10:11], off
	s_mov_b64 s[0:1], 0
	s_waitcnt vmcnt(0)
	v_cvt_f32_i32_e32 v1, v1
	s_branch .LBB39_1447
.LBB39_1446:
	s_mov_b64 s[0:1], -1
                                        ; implicit-def: $vgpr1
.LBB39_1447:
	s_andn2_b64 vcc, exec, s[0:1]
	s_cbranch_vccnz .LBB39_1449
; %bb.1448:
	global_load_ubyte v1, v[10:11], off
	s_waitcnt vmcnt(0)
	v_cvt_f32_ubyte0_e32 v1, v1
.LBB39_1449:
.LBB39_1450:
	v_cndmask_b32_e64 v3, 0, 1, s[6:7]
	v_cmp_ne_u32_e64 s[0:1], 1, v3
	s_andn2_b64 vcc, exec, s[6:7]
	v_mov_b32_e32 v10, 0
	s_cbranch_vccnz .LBB39_1460
; %bb.1451:
	v_cmp_lt_i64_e64 s[6:7], s[4:5], 1
	s_and_b64 vcc, exec, s[6:7]
	v_mov_b32_e32 v10, 1.0
	s_cbranch_vccnz .LBB39_1460
; %bb.1452:
	s_cmp_lg_u64 s[4:5], 1
	s_cbranch_scc0 .LBB39_1457
; %bb.1453:
	v_mov_b32_e32 v10, 0x80
	v_mov_b32_e32 v11, 0
	v_cmp_gt_u64_e32 vcc, s[4:5], v[10:11]
	v_mov_b32_e32 v10, 0x7fc00000
	s_cbranch_vccnz .LBB39_1456
; %bb.1454:
	s_mov_b64 s[6:7], 1
	v_mov_b32_e32 v3, 1.0
	s_waitcnt vmcnt(0)
	v_mov_b32_e32 v10, v1
.LBB39_1455:                            ; =>This Inner Loop Header: Depth=1
	s_flbit_i32_b32 s12, s7
	s_min_u32 s14, s12, 32
	s_lshl_b64 s[12:13], s[6:7], s14
	s_min_u32 s12, s12, 1
	s_or_b32 s12, s13, s12
	v_cvt_f32_u32_e32 v7, s12
	s_sub_i32 s14, 32, s14
	s_add_u32 s6, s6, 1
	v_mov_b32_e32 v5, v10
	v_ldexp_f32 v7, v7, s14
	s_addc_u32 s7, s7, 0
	v_mul_f32_e32 v7, v3, v7
	s_cmp_lg_u64 s[4:5], s[6:7]
	v_mov_b32_e32 v3, v10
	v_fma_f32 v10, v1, v5, -v7
	s_cbranch_scc1 .LBB39_1455
.LBB39_1456:
	s_mov_b64 s[6:7], 0
	s_branch .LBB39_1458
.LBB39_1457:
	s_mov_b64 s[6:7], -1
                                        ; implicit-def: $vgpr10
.LBB39_1458:
	s_andn2_b64 vcc, exec, s[6:7]
	s_cbranch_vccnz .LBB39_1460
; %bb.1459:
	s_waitcnt vmcnt(0)
	v_mov_b32_e32 v10, v1
.LBB39_1460:
	s_waitcnt vmcnt(0)
	v_mov_b32_e32 v1, s11
	v_add_co_u32_e32 v14, vcc, s10, v14
	v_addc_co_u32_e32 v15, vcc, 0, v1, vcc
	v_mov_b32_e32 v1, 11
	v_cmp_lt_i16_sdwa s[6:7], s20, v1 src0_sel:BYTE_0 src1_sel:DWORD
	s_and_b64 vcc, exec, s[6:7]
	s_cbranch_vccnz .LBB39_1467
; %bb.1461:
	v_mov_b32_e32 v1, 25
	v_cmp_gt_i16_sdwa s[6:7], s20, v1 src0_sel:BYTE_0 src1_sel:DWORD
	s_mov_b64 s[12:13], 0
	s_and_b64 vcc, exec, s[6:7]
	s_cbranch_vccz .LBB39_1469
; %bb.1462:
	v_mov_b32_e32 v1, 28
	v_cmp_gt_i16_sdwa s[6:7], s20, v1 src0_sel:BYTE_0 src1_sel:DWORD
	s_and_b64 vcc, exec, s[6:7]
	s_cbranch_vccz .LBB39_1470
; %bb.1463:
	v_mov_b32_e32 v1, 43
	v_cmp_gt_i16_sdwa s[6:7], s20, v1 src0_sel:BYTE_0 src1_sel:DWORD
	;; [unrolled: 5-line block ×3, first 2 shown]
	s_and_b64 vcc, exec, s[6:7]
	s_cbranch_vccz .LBB39_1473
; %bb.1465:
	v_mov_b32_e32 v1, 46
	v_cmp_eq_u16_sdwa s[6:7], s20, v1 src0_sel:BYTE_0 src1_sel:DWORD
	s_mov_b64 s[16:17], 0
	s_and_b64 vcc, exec, s[6:7]
	s_cbranch_vccz .LBB39_1474
; %bb.1466:
	global_load_dword v1, v[14:15], off
	s_mov_b64 s[6:7], 0
	s_mov_b64 s[14:15], -1
	s_waitcnt vmcnt(0)
	v_lshlrev_b32_e32 v1, 16, v1
	s_branch .LBB39_1475
.LBB39_1467:
	s_mov_b64 s[14:15], 0
                                        ; implicit-def: $vgpr1
	s_cbranch_execnz .LBB39_1541
.LBB39_1468:
	s_andn2_b64 vcc, exec, s[14:15]
	s_cbranch_vccnz .LBB39_1736
	s_branch .LBB39_1589
.LBB39_1469:
	s_mov_b64 s[16:17], -1
	s_mov_b64 s[14:15], 0
	s_mov_b64 s[6:7], 0
                                        ; implicit-def: $vgpr1
	s_branch .LBB39_1504
.LBB39_1470:
	s_mov_b64 s[16:17], -1
	s_mov_b64 s[14:15], 0
	s_mov_b64 s[6:7], 0
                                        ; implicit-def: $vgpr1
	s_branch .LBB39_1485
.LBB39_1471:
	s_mov_b64 s[16:17], -1
	s_mov_b64 s[14:15], 0
	s_mov_b64 s[6:7], 0
                                        ; implicit-def: $vgpr1
	s_branch .LBB39_1480
.LBB39_1472:
	s_trap 2
	s_or_b64 s[2:3], s[2:3], exec
                                        ; implicit-def: $vgpr1
	s_cbranch_execz .LBB39_1401
	s_branch .LBB39_1402
.LBB39_1473:
	s_mov_b64 s[16:17], -1
	s_mov_b64 s[14:15], 0
	s_mov_b64 s[6:7], 0
                                        ; implicit-def: $vgpr1
	s_branch .LBB39_1475
.LBB39_1474:
	s_mov_b64 s[6:7], -1
                                        ; implicit-def: $vgpr1
	s_mov_b64 s[14:15], 0
.LBB39_1475:
	s_and_b64 vcc, exec, s[16:17]
	s_cbranch_vccz .LBB39_1479
; %bb.1476:
	v_mov_b32_e32 v1, 44
	v_cmp_eq_u16_sdwa s[6:7], s20, v1 src0_sel:BYTE_0 src1_sel:DWORD
	s_and_b64 vcc, exec, s[6:7]
	s_cbranch_vccz .LBB39_1478
; %bb.1477:
	global_load_ubyte v1, v[14:15], off
	s_movk_i32 s14, 0xff
	v_mov_b32_e32 v3, 0x7f800001
	v_mov_b32_e32 v5, 0x400000
	s_mov_b64 s[6:7], 0
	s_waitcnt vmcnt(0)
	v_lshlrev_b32_e32 v7, 23, v1
	v_cmp_ne_u32_e32 vcc, s14, v1
	v_cndmask_b32_e32 v3, v3, v7, vcc
	v_cmp_ne_u32_e32 vcc, 0, v1
	v_cndmask_b32_e32 v1, v5, v3, vcc
	s_mov_b64 s[14:15], -1
	s_branch .LBB39_1479
.LBB39_1478:
	s_mov_b64 s[6:7], -1
                                        ; implicit-def: $vgpr1
.LBB39_1479:
	s_mov_b64 s[16:17], 0
.LBB39_1480:
	s_and_b64 vcc, exec, s[16:17]
	s_cbranch_vccz .LBB39_1484
; %bb.1481:
	v_mov_b32_e32 v1, 29
	v_cmp_eq_u16_sdwa s[6:7], s20, v1 src0_sel:BYTE_0 src1_sel:DWORD
	s_and_b64 vcc, exec, s[6:7]
	s_cbranch_vccz .LBB39_1483
; %bb.1482:
	global_load_dwordx2 v[16:17], v[14:15], off
	s_mov_b64 s[6:7], 0
	s_mov_b64 s[14:15], -1
	s_mov_b64 s[16:17], 0
	s_waitcnt vmcnt(0)
	v_ffbh_u32_e32 v1, v17
	v_min_u32_e32 v1, 32, v1
	v_lshlrev_b64 v[16:17], v1, v[16:17]
	v_min_u32_e32 v3, 1, v16
	v_or_b32_e32 v3, v17, v3
	v_cvt_f32_u32_e32 v3, v3
	v_sub_u32_e32 v1, 32, v1
	v_ldexp_f32 v1, v3, v1
	s_branch .LBB39_1485
.LBB39_1483:
	s_mov_b64 s[6:7], -1
                                        ; implicit-def: $vgpr1
.LBB39_1484:
	s_mov_b64 s[16:17], 0
.LBB39_1485:
	s_and_b64 vcc, exec, s[16:17]
	s_cbranch_vccz .LBB39_1503
; %bb.1486:
	v_mov_b32_e32 v1, 27
	v_cmp_lt_i16_sdwa s[14:15], s20, v1 src0_sel:BYTE_0 src1_sel:DWORD
	s_and_b64 vcc, exec, s[14:15]
	s_cbranch_vccnz .LBB39_1489
; %bb.1487:
	v_cmp_gt_i16_sdwa s[14:15], s20, v1 src0_sel:BYTE_0 src1_sel:DWORD
	s_and_b64 vcc, exec, s[14:15]
	s_cbranch_vccz .LBB39_1490
; %bb.1488:
	global_load_dword v1, v[14:15], off
	s_mov_b64 s[14:15], 0
	s_waitcnt vmcnt(0)
	v_cvt_f32_u32_e32 v1, v1
	s_branch .LBB39_1491
.LBB39_1489:
	s_mov_b64 s[14:15], -1
                                        ; implicit-def: $vgpr1
	s_branch .LBB39_1494
.LBB39_1490:
	s_mov_b64 s[14:15], -1
                                        ; implicit-def: $vgpr1
.LBB39_1491:
	s_andn2_b64 vcc, exec, s[14:15]
	s_cbranch_vccnz .LBB39_1493
; %bb.1492:
	global_load_ushort v1, v[14:15], off
	s_waitcnt vmcnt(0)
	v_cvt_f32_u32_e32 v1, v1
.LBB39_1493:
	s_mov_b64 s[14:15], 0
.LBB39_1494:
	s_andn2_b64 vcc, exec, s[14:15]
	s_cbranch_vccnz .LBB39_1502
; %bb.1495:
	global_load_ubyte v3, v[14:15], off
	s_movk_i32 s14, 0x7f
                                        ; implicit-def: $sgpr21
	s_waitcnt vmcnt(0)
	v_cmp_lt_i16_e32 vcc, s14, v3
	s_mov_b64 s[14:15], 0
	s_and_saveexec_b64 s[16:17], vcc
	s_xor_b64 s[16:17], exec, s[16:17]
	s_cbranch_execz .LBB39_1516
; %bb.1496:
	s_movk_i32 s14, 0x80
	v_cmp_eq_u16_e32 vcc, s14, v3
	s_mov_b64 s[14:15], -1
                                        ; implicit-def: $sgpr21
	s_and_saveexec_b64 s[18:19], vcc
; %bb.1497:
	s_mov_b32 s21, 0x7f800001
	s_xor_b64 s[14:15], exec, -1
; %bb.1498:
	s_or_b64 exec, exec, s[18:19]
	s_and_b64 s[14:15], s[14:15], exec
	s_or_saveexec_b64 s[16:17], s[16:17]
	v_mov_b32_e32 v1, s21
	s_xor_b64 exec, exec, s[16:17]
	s_cbranch_execnz .LBB39_1517
.LBB39_1499:
	s_or_b64 exec, exec, s[16:17]
	s_and_saveexec_b64 s[16:17], s[14:15]
	s_cbranch_execz .LBB39_1501
.LBB39_1500:
	v_lshlrev_b32_e32 v1, 24, v3
	v_and_b32_e32 v3, 0xffff, v3
	v_and_b32_e32 v5, 7, v3
	v_ffbh_u32_e32 v9, v5
	v_min_u32_e32 v9, 32, v9
	v_subrev_u32_e32 v11, 28, v9
	v_bfe_u32 v7, v3, 3, 4
	v_lshlrev_b32_e32 v3, v11, v3
	v_sub_u32_e32 v9, 29, v9
	v_and_b32_e32 v3, 7, v3
	v_cmp_eq_u32_e32 vcc, 0, v7
	v_cndmask_b32_e32 v7, v7, v9, vcc
	v_cndmask_b32_e32 v3, v5, v3, vcc
	v_mov_b32_e32 v5, 0x3b800000
	v_lshlrev_b32_e32 v3, 20, v3
	v_and_b32_e32 v1, 0x80000000, v1
	v_lshl_add_u32 v5, v7, 23, v5
	v_or3_b32 v1, v1, v5, v3
.LBB39_1501:
	s_or_b64 exec, exec, s[16:17]
.LBB39_1502:
	s_mov_b64 s[14:15], -1
.LBB39_1503:
	s_mov_b64 s[16:17], 0
.LBB39_1504:
	s_and_b64 vcc, exec, s[16:17]
	s_cbranch_vccz .LBB39_1537
; %bb.1505:
	v_mov_b32_e32 v1, 22
	v_cmp_gt_i16_sdwa s[12:13], s20, v1 src0_sel:BYTE_0 src1_sel:DWORD
	s_and_b64 vcc, exec, s[12:13]
	s_cbranch_vccz .LBB39_1515
; %bb.1506:
	v_mov_b32_e32 v1, 24
	v_cmp_lt_i16_sdwa s[12:13], s20, v1 src0_sel:BYTE_0 src1_sel:DWORD
	s_and_b64 vcc, exec, s[12:13]
	s_cbranch_vccnz .LBB39_1518
; %bb.1507:
	v_cmp_gt_i16_sdwa s[12:13], s20, v1 src0_sel:BYTE_0 src1_sel:DWORD
	s_and_b64 vcc, exec, s[12:13]
	s_cbranch_vccz .LBB39_1519
; %bb.1508:
	global_load_ubyte v3, v[14:15], off
	s_movk_i32 s12, 0x7f
                                        ; implicit-def: $sgpr18
	s_waitcnt vmcnt(0)
	v_cmp_lt_i16_e32 vcc, s12, v3
	s_mov_b64 s[12:13], 0
	s_and_saveexec_b64 s[14:15], vcc
	s_xor_b64 s[14:15], exec, s[14:15]
	s_cbranch_execz .LBB39_1531
; %bb.1509:
	s_movk_i32 s12, 0x80
	v_cmp_eq_u16_e32 vcc, s12, v3
	s_mov_b64 s[12:13], -1
                                        ; implicit-def: $sgpr18
	s_and_saveexec_b64 s[16:17], vcc
; %bb.1510:
	s_mov_b32 s18, 0x7f800001
	s_xor_b64 s[12:13], exec, -1
; %bb.1511:
	s_or_b64 exec, exec, s[16:17]
	s_and_b64 s[12:13], s[12:13], exec
	s_or_saveexec_b64 s[14:15], s[14:15]
	v_mov_b32_e32 v1, s18
	s_xor_b64 exec, exec, s[14:15]
	s_cbranch_execnz .LBB39_1532
.LBB39_1512:
	s_or_b64 exec, exec, s[14:15]
	s_and_saveexec_b64 s[14:15], s[12:13]
	s_cbranch_execz .LBB39_1514
.LBB39_1513:
	v_lshlrev_b32_e32 v1, 24, v3
	v_and_b32_e32 v3, 0xffff, v3
	v_and_b32_e32 v5, 3, v3
	v_ffbh_u32_e32 v9, v5
	v_min_u32_e32 v9, 32, v9
	v_subrev_u32_e32 v11, 29, v9
	v_bfe_u32 v7, v3, 2, 5
	v_lshlrev_b32_e32 v3, v11, v3
	v_sub_u32_e32 v9, 30, v9
	v_and_b32_e32 v3, 3, v3
	v_cmp_eq_u32_e32 vcc, 0, v7
	v_cndmask_b32_e32 v7, v7, v9, vcc
	v_cndmask_b32_e32 v3, v5, v3, vcc
	v_mov_b32_e32 v5, 0x37800000
	v_lshlrev_b32_e32 v3, 21, v3
	v_and_b32_e32 v1, 0x80000000, v1
	v_lshl_add_u32 v5, v7, 23, v5
	v_or3_b32 v1, v1, v5, v3
.LBB39_1514:
	s_or_b64 exec, exec, s[14:15]
	s_mov_b64 s[12:13], 0
	s_branch .LBB39_1520
.LBB39_1515:
	s_mov_b64 s[12:13], -1
                                        ; implicit-def: $vgpr1
	s_branch .LBB39_1526
.LBB39_1516:
	s_or_saveexec_b64 s[16:17], s[16:17]
	v_mov_b32_e32 v1, s21
	s_xor_b64 exec, exec, s[16:17]
	s_cbranch_execz .LBB39_1499
.LBB39_1517:
	v_cmp_ne_u16_e32 vcc, 0, v3
	s_andn2_b64 s[14:15], s[14:15], exec
	s_and_b64 s[18:19], vcc, exec
	v_mov_b32_e32 v1, 0
	s_or_b64 s[14:15], s[14:15], s[18:19]
	s_or_b64 exec, exec, s[16:17]
	s_and_saveexec_b64 s[16:17], s[14:15]
	s_cbranch_execnz .LBB39_1500
	s_branch .LBB39_1501
.LBB39_1518:
	s_mov_b64 s[12:13], -1
                                        ; implicit-def: $vgpr1
	s_branch .LBB39_1523
.LBB39_1519:
	s_mov_b64 s[12:13], -1
                                        ; implicit-def: $vgpr1
.LBB39_1520:
	s_and_b64 vcc, exec, s[12:13]
	s_cbranch_vccz .LBB39_1522
; %bb.1521:
	global_load_ubyte v1, v[14:15], off
	s_mov_b32 s12, 0x7f800000
	s_waitcnt vmcnt(0)
	v_lshlrev_b32_e32 v1, 24, v1
	v_and_b32_e32 v3, 0x7f000000, v1
	v_ffbh_u32_e32 v5, v3
	v_min_u32_e32 v5, 32, v5
	v_sub_u32_e64 v5, v5, 4 clamp
	v_lshlrev_b32_e32 v9, v5, v3
	v_lshlrev_b32_e32 v5, 23, v5
	v_lshrrev_b32_e32 v9, 4, v9
	v_add_u32_e32 v7, 0x1000000, v3
	v_sub_u32_e32 v5, v9, v5
	v_ashrrev_i32_e32 v7, 8, v7
	v_add_u32_e32 v5, 0x3c000000, v5
	v_and_or_b32 v5, v7, s12, v5
	v_cmp_ne_u32_e32 vcc, 0, v3
	v_cndmask_b32_e32 v3, 0, v5, vcc
	s_brev_b32 s12, 1
	v_and_or_b32 v1, v1, s12, v3
.LBB39_1522:
	s_mov_b64 s[12:13], 0
.LBB39_1523:
	s_andn2_b64 vcc, exec, s[12:13]
	s_cbranch_vccnz .LBB39_1525
; %bb.1524:
	global_load_ubyte v1, v[14:15], off
	s_movk_i32 s12, 0x7f00
	s_brev_b32 s13, 16
	s_waitcnt vmcnt(0)
	v_lshlrev_b16_e32 v3, 8, v1
	v_lshlrev_b32_e32 v1, 25, v1
	v_lshrrev_b32_e32 v5, 4, v1
	v_and_or_b32 v7, v3, s12, 0.5
	v_or_b32_e32 v5, 0x70000000, v5
	v_add_f32_e32 v7, -0.5, v7
	v_mul_f32_e32 v5, 0x7800000, v5
	v_cmp_gt_u32_e32 vcc, s13, v1
	v_bfe_i32 v3, v3, 0, 16
	v_cndmask_b32_e32 v1, v5, v7, vcc
	s_brev_b32 s12, 1
	v_and_or_b32 v1, v3, s12, v1
.LBB39_1525:
	s_mov_b64 s[12:13], 0
	s_mov_b64 s[14:15], -1
.LBB39_1526:
	s_andn2_b64 vcc, exec, s[12:13]
	s_mov_b64 s[12:13], 0
	s_cbranch_vccnz .LBB39_1537
; %bb.1527:
	v_mov_b32_e32 v1, 14
	v_cmp_gt_i16_sdwa s[12:13], s20, v1 src0_sel:BYTE_0 src1_sel:DWORD
	s_and_b64 vcc, exec, s[12:13]
	s_cbranch_vccz .LBB39_1530
; %bb.1528:
	v_mov_b32_e32 v1, 15
	v_cmp_eq_u16_sdwa s[6:7], s20, v1 src0_sel:BYTE_0 src1_sel:DWORD
	s_and_b64 vcc, exec, s[6:7]
	s_cbranch_vccz .LBB39_1533
; %bb.1529:
	global_load_ushort v1, v[14:15], off
	s_mov_b64 s[6:7], 0
	s_mov_b64 s[14:15], -1
	s_waitcnt vmcnt(0)
	v_lshlrev_b32_e32 v1, 16, v1
	s_branch .LBB39_1534
.LBB39_1530:
	s_mov_b64 s[16:17], -1
                                        ; implicit-def: $vgpr1
	s_branch .LBB39_1535
.LBB39_1531:
	s_or_saveexec_b64 s[14:15], s[14:15]
	v_mov_b32_e32 v1, s18
	s_xor_b64 exec, exec, s[14:15]
	s_cbranch_execz .LBB39_1512
.LBB39_1532:
	v_cmp_ne_u16_e32 vcc, 0, v3
	s_andn2_b64 s[12:13], s[12:13], exec
	s_and_b64 s[16:17], vcc, exec
	v_mov_b32_e32 v1, 0
	s_or_b64 s[12:13], s[12:13], s[16:17]
	s_or_b64 exec, exec, s[14:15]
	s_and_saveexec_b64 s[14:15], s[12:13]
	s_cbranch_execnz .LBB39_1513
	s_branch .LBB39_1514
.LBB39_1533:
	s_mov_b64 s[6:7], -1
                                        ; implicit-def: $vgpr1
.LBB39_1534:
	s_mov_b64 s[16:17], 0
.LBB39_1535:
	s_mov_b64 s[12:13], 0
	s_and_b64 vcc, exec, s[16:17]
	s_cbranch_vccz .LBB39_1537
; %bb.1536:
	v_mov_b32_e32 v1, 11
	v_cmp_ne_u16_sdwa s[6:7], s20, v1 src0_sel:BYTE_0 src1_sel:DWORD
	s_mov_b64 s[12:13], -1
                                        ; implicit-def: $vgpr1
.LBB39_1537:
	s_and_b64 vcc, exec, s[6:7]
	s_cbranch_vccnz .LBB39_1610
; %bb.1538:
	s_andn2_b64 vcc, exec, s[12:13]
	s_cbranch_vccnz .LBB39_1540
.LBB39_1539:
	global_load_ubyte v1, v[14:15], off
	s_mov_b64 s[14:15], -1
	s_waitcnt vmcnt(0)
	v_cmp_ne_u16_e32 vcc, 0, v1
	v_cndmask_b32_e64 v1, 0, 1.0, vcc
.LBB39_1540:
	s_branch .LBB39_1468
.LBB39_1541:
	v_mov_b32_e32 v1, 5
	v_cmp_lt_i16_sdwa s[6:7], s20, v1 src0_sel:BYTE_0 src1_sel:DWORD
	s_and_b64 vcc, exec, s[6:7]
	s_cbranch_vccnz .LBB39_1546
; %bb.1542:
	v_mov_b32_e32 v1, 8
	v_cmp_lt_i16_sdwa s[6:7], s20, v1 src0_sel:BYTE_0 src1_sel:DWORD
	s_and_b64 vcc, exec, s[6:7]
	s_cbranch_vccnz .LBB39_1547
; %bb.1543:
	;; [unrolled: 5-line block ×3, first 2 shown]
	v_cmp_gt_i16_sdwa s[6:7], s20, v1 src0_sel:BYTE_0 src1_sel:DWORD
	s_and_b64 vcc, exec, s[6:7]
	s_cbranch_vccz .LBB39_1549
; %bb.1545:
	global_load_dwordx2 v[16:17], v[14:15], off
	s_mov_b64 s[6:7], 0
	s_waitcnt vmcnt(0)
	v_cvt_f32_f64_e32 v1, v[16:17]
	s_branch .LBB39_1550
.LBB39_1546:
	s_mov_b64 s[6:7], -1
                                        ; implicit-def: $vgpr1
	s_branch .LBB39_1568
.LBB39_1547:
	s_mov_b64 s[6:7], -1
                                        ; implicit-def: $vgpr1
	s_branch .LBB39_1556
.LBB39_1548:
	s_mov_b64 s[6:7], -1
                                        ; implicit-def: $vgpr1
	s_branch .LBB39_1553
.LBB39_1549:
	s_mov_b64 s[6:7], -1
                                        ; implicit-def: $vgpr1
.LBB39_1550:
	s_andn2_b64 vcc, exec, s[6:7]
	s_cbranch_vccnz .LBB39_1552
; %bb.1551:
	global_load_dword v1, v[14:15], off
.LBB39_1552:
	s_mov_b64 s[6:7], 0
.LBB39_1553:
	s_andn2_b64 vcc, exec, s[6:7]
	s_cbranch_vccnz .LBB39_1555
; %bb.1554:
	global_load_dword v1, v[14:15], off
	s_waitcnt vmcnt(0)
	v_cvt_f32_f16_e32 v1, v1
.LBB39_1555:
	s_mov_b64 s[6:7], 0
.LBB39_1556:
	s_andn2_b64 vcc, exec, s[6:7]
	s_cbranch_vccnz .LBB39_1567
; %bb.1557:
	s_waitcnt vmcnt(0)
	v_mov_b32_e32 v1, 6
	v_cmp_lt_i16_sdwa s[6:7], s20, v1 src0_sel:BYTE_0 src1_sel:DWORD
	s_and_b64 vcc, exec, s[6:7]
	s_cbranch_vccnz .LBB39_1560
; %bb.1558:
	v_cmp_gt_i16_sdwa s[6:7], s20, v1 src0_sel:BYTE_0 src1_sel:DWORD
	s_and_b64 vcc, exec, s[6:7]
	s_cbranch_vccz .LBB39_1561
; %bb.1559:
	global_load_dwordx2 v[16:17], v[14:15], off
	s_mov_b64 s[6:7], 0
	s_waitcnt vmcnt(0)
	v_cvt_f32_f64_e32 v1, v[16:17]
	s_branch .LBB39_1562
.LBB39_1560:
	s_mov_b64 s[6:7], -1
                                        ; implicit-def: $vgpr1
	s_branch .LBB39_1565
.LBB39_1561:
	s_mov_b64 s[6:7], -1
                                        ; implicit-def: $vgpr1
.LBB39_1562:
	s_andn2_b64 vcc, exec, s[6:7]
	s_cbranch_vccnz .LBB39_1564
; %bb.1563:
	global_load_dword v1, v[14:15], off
.LBB39_1564:
	s_mov_b64 s[6:7], 0
.LBB39_1565:
	s_andn2_b64 vcc, exec, s[6:7]
	s_cbranch_vccnz .LBB39_1567
; %bb.1566:
	global_load_ushort v1, v[14:15], off
	s_waitcnt vmcnt(0)
	v_cvt_f32_f16_e32 v1, v1
.LBB39_1567:
	s_mov_b64 s[6:7], 0
.LBB39_1568:
	s_andn2_b64 vcc, exec, s[6:7]
	s_cbranch_vccnz .LBB39_1588
; %bb.1569:
	s_waitcnt vmcnt(0)
	v_mov_b32_e32 v1, 2
	v_cmp_lt_i16_sdwa s[6:7], s20, v1 src0_sel:BYTE_0 src1_sel:DWORD
	s_and_b64 vcc, exec, s[6:7]
	s_cbranch_vccnz .LBB39_1573
; %bb.1570:
	v_mov_b32_e32 v1, 3
	v_cmp_lt_i16_sdwa s[6:7], s20, v1 src0_sel:BYTE_0 src1_sel:DWORD
	s_and_b64 vcc, exec, s[6:7]
	s_cbranch_vccnz .LBB39_1574
; %bb.1571:
	v_cmp_gt_i16_sdwa s[6:7], s20, v1 src0_sel:BYTE_0 src1_sel:DWORD
	s_and_b64 vcc, exec, s[6:7]
	s_cbranch_vccz .LBB39_1575
; %bb.1572:
	global_load_dwordx2 v[16:17], v[14:15], off
	s_mov_b64 s[6:7], 0
	s_waitcnt vmcnt(0)
	v_xor_b32_e32 v3, v16, v17
	v_ffbh_i32_e32 v1, v17
	v_ashrrev_i32_e32 v3, 31, v3
	v_add_u32_e32 v1, -1, v1
	v_add_u32_e32 v3, 32, v3
	v_min_u32_e32 v1, v1, v3
	v_lshlrev_b64 v[16:17], v1, v[16:17]
	v_min_u32_e32 v3, 1, v16
	v_or_b32_e32 v3, v17, v3
	v_cvt_f32_i32_e32 v3, v3
	v_sub_u32_e32 v1, 32, v1
	v_ldexp_f32 v1, v3, v1
	s_branch .LBB39_1576
.LBB39_1573:
	s_mov_b64 s[6:7], -1
                                        ; implicit-def: $vgpr1
	s_branch .LBB39_1582
.LBB39_1574:
	s_mov_b64 s[6:7], -1
                                        ; implicit-def: $vgpr1
	s_branch .LBB39_1579
.LBB39_1575:
	s_mov_b64 s[6:7], -1
                                        ; implicit-def: $vgpr1
.LBB39_1576:
	s_andn2_b64 vcc, exec, s[6:7]
	s_cbranch_vccnz .LBB39_1578
; %bb.1577:
	global_load_dword v1, v[14:15], off
	s_waitcnt vmcnt(0)
	v_cvt_f32_i32_e32 v1, v1
.LBB39_1578:
	s_mov_b64 s[6:7], 0
.LBB39_1579:
	s_andn2_b64 vcc, exec, s[6:7]
	s_cbranch_vccnz .LBB39_1581
; %bb.1580:
	global_load_sshort v1, v[14:15], off
	s_waitcnt vmcnt(0)
	v_cvt_f32_i32_e32 v1, v1
.LBB39_1581:
	s_mov_b64 s[6:7], 0
.LBB39_1582:
	s_andn2_b64 vcc, exec, s[6:7]
	s_cbranch_vccnz .LBB39_1588
; %bb.1583:
	v_mov_b32_e32 v1, 0
	v_cmp_gt_i16_sdwa s[6:7], s20, v1 src0_sel:BYTE_0 src1_sel:DWORD
	s_and_b64 vcc, exec, s[6:7]
	s_cbranch_vccz .LBB39_1585
; %bb.1584:
	global_load_sbyte v1, v[14:15], off
	s_mov_b64 s[6:7], 0
	s_waitcnt vmcnt(0)
	v_cvt_f32_i32_e32 v1, v1
	s_branch .LBB39_1586
.LBB39_1585:
	s_mov_b64 s[6:7], -1
                                        ; implicit-def: $vgpr1
.LBB39_1586:
	s_andn2_b64 vcc, exec, s[6:7]
	s_cbranch_vccnz .LBB39_1588
; %bb.1587:
	global_load_ubyte v1, v[14:15], off
	s_waitcnt vmcnt(0)
	v_cvt_f32_ubyte0_e32 v1, v1
.LBB39_1588:
.LBB39_1589:
	s_and_b64 vcc, exec, s[0:1]
	v_mov_b32_e32 v14, 0
	s_cbranch_vccnz .LBB39_1599
; %bb.1590:
	v_cmp_lt_i64_e64 s[6:7], s[4:5], 1
	s_and_b64 vcc, exec, s[6:7]
	v_mov_b32_e32 v14, 1.0
	s_cbranch_vccnz .LBB39_1599
; %bb.1591:
	s_cmp_lg_u64 s[4:5], 1
	s_cbranch_scc0 .LBB39_1596
; %bb.1592:
	v_mov_b32_e32 v14, 0x80
	v_mov_b32_e32 v15, 0
	v_cmp_gt_u64_e32 vcc, s[4:5], v[14:15]
	v_mov_b32_e32 v14, 0x7fc00000
	s_cbranch_vccnz .LBB39_1595
; %bb.1593:
	s_mov_b64 s[6:7], 1
	v_mov_b32_e32 v3, 1.0
	s_waitcnt vmcnt(0)
	v_mov_b32_e32 v14, v1
.LBB39_1594:                            ; =>This Inner Loop Header: Depth=1
	s_flbit_i32_b32 s12, s7
	s_min_u32 s14, s12, 32
	s_lshl_b64 s[12:13], s[6:7], s14
	s_min_u32 s12, s12, 1
	s_or_b32 s12, s13, s12
	v_cvt_f32_u32_e32 v7, s12
	s_sub_i32 s14, 32, s14
	s_add_u32 s6, s6, 1
	v_mov_b32_e32 v5, v14
	v_ldexp_f32 v7, v7, s14
	s_addc_u32 s7, s7, 0
	v_mul_f32_e32 v7, v3, v7
	s_cmp_lg_u64 s[4:5], s[6:7]
	v_mov_b32_e32 v3, v14
	v_fma_f32 v14, v1, v5, -v7
	s_cbranch_scc1 .LBB39_1594
.LBB39_1595:
	s_mov_b64 s[6:7], 0
	s_branch .LBB39_1597
.LBB39_1596:
	s_mov_b64 s[6:7], -1
                                        ; implicit-def: $vgpr14
.LBB39_1597:
	s_andn2_b64 vcc, exec, s[6:7]
	s_cbranch_vccnz .LBB39_1599
; %bb.1598:
	s_waitcnt vmcnt(0)
	v_mov_b32_e32 v14, v1
.LBB39_1599:
	s_waitcnt vmcnt(0)
	v_mov_b32_e32 v1, s11
	v_add_co_u32_e32 v12, vcc, s10, v12
	v_addc_co_u32_e32 v13, vcc, 0, v1, vcc
	v_mov_b32_e32 v1, 11
	v_cmp_lt_i16_sdwa s[6:7], s20, v1 src0_sel:BYTE_0 src1_sel:DWORD
	s_and_b64 vcc, exec, s[6:7]
	s_cbranch_vccnz .LBB39_1606
; %bb.1600:
	v_mov_b32_e32 v1, 25
	v_cmp_gt_i16_sdwa s[6:7], s20, v1 src0_sel:BYTE_0 src1_sel:DWORD
	s_mov_b64 s[10:11], 0
	s_and_b64 vcc, exec, s[6:7]
	s_cbranch_vccz .LBB39_1607
; %bb.1601:
	v_mov_b32_e32 v1, 28
	v_cmp_gt_i16_sdwa s[6:7], s20, v1 src0_sel:BYTE_0 src1_sel:DWORD
	s_and_b64 vcc, exec, s[6:7]
	s_cbranch_vccz .LBB39_1608
; %bb.1602:
	v_mov_b32_e32 v1, 43
	v_cmp_gt_i16_sdwa s[6:7], s20, v1 src0_sel:BYTE_0 src1_sel:DWORD
	;; [unrolled: 5-line block ×3, first 2 shown]
	s_and_b64 vcc, exec, s[6:7]
	s_cbranch_vccz .LBB39_1611
; %bb.1604:
	v_mov_b32_e32 v1, 46
	v_cmp_eq_u16_sdwa s[6:7], s20, v1 src0_sel:BYTE_0 src1_sel:DWORD
	s_mov_b64 s[14:15], 0
	s_and_b64 vcc, exec, s[6:7]
	s_cbranch_vccz .LBB39_1612
; %bb.1605:
	global_load_dword v1, v[12:13], off
	s_mov_b64 s[6:7], 0
	s_mov_b64 s[12:13], -1
	s_waitcnt vmcnt(0)
	v_lshlrev_b32_e32 v1, 16, v1
	s_branch .LBB39_1613
.LBB39_1606:
	s_mov_b64 s[6:7], -1
	s_mov_b64 s[12:13], 0
                                        ; implicit-def: $vgpr1
	s_branch .LBB39_1679
.LBB39_1607:
	s_mov_b64 s[14:15], -1
	s_mov_b64 s[12:13], 0
	s_mov_b64 s[6:7], 0
                                        ; implicit-def: $vgpr1
	s_branch .LBB39_1642
.LBB39_1608:
	s_mov_b64 s[14:15], -1
	s_mov_b64 s[12:13], 0
	s_mov_b64 s[6:7], 0
                                        ; implicit-def: $vgpr1
	s_branch .LBB39_1623
.LBB39_1609:
	s_mov_b64 s[14:15], -1
	s_mov_b64 s[12:13], 0
	s_mov_b64 s[6:7], 0
                                        ; implicit-def: $vgpr1
	s_branch .LBB39_1618
.LBB39_1610:
	s_trap 2
	s_or_b64 s[2:3], s[2:3], exec
                                        ; implicit-def: $vgpr1
	s_cbranch_execz .LBB39_1539
	s_branch .LBB39_1540
.LBB39_1611:
	s_mov_b64 s[14:15], -1
	s_mov_b64 s[12:13], 0
	s_mov_b64 s[6:7], 0
                                        ; implicit-def: $vgpr1
	s_branch .LBB39_1613
.LBB39_1612:
	s_mov_b64 s[6:7], -1
                                        ; implicit-def: $vgpr1
	s_mov_b64 s[12:13], 0
.LBB39_1613:
	s_and_b64 vcc, exec, s[14:15]
	s_cbranch_vccz .LBB39_1617
; %bb.1614:
	v_mov_b32_e32 v1, 44
	v_cmp_eq_u16_sdwa s[6:7], s20, v1 src0_sel:BYTE_0 src1_sel:DWORD
	s_and_b64 vcc, exec, s[6:7]
	s_cbranch_vccz .LBB39_1616
; %bb.1615:
	global_load_ubyte v1, v[12:13], off
	s_movk_i32 s12, 0xff
	v_mov_b32_e32 v3, 0x7f800001
	v_mov_b32_e32 v5, 0x400000
	s_mov_b64 s[6:7], 0
	s_waitcnt vmcnt(0)
	v_lshlrev_b32_e32 v7, 23, v1
	v_cmp_ne_u32_e32 vcc, s12, v1
	v_cndmask_b32_e32 v3, v3, v7, vcc
	v_cmp_ne_u32_e32 vcc, 0, v1
	v_cndmask_b32_e32 v1, v5, v3, vcc
	s_mov_b64 s[12:13], -1
	s_branch .LBB39_1617
.LBB39_1616:
	s_mov_b64 s[6:7], -1
                                        ; implicit-def: $vgpr1
.LBB39_1617:
	s_mov_b64 s[14:15], 0
.LBB39_1618:
	s_and_b64 vcc, exec, s[14:15]
	s_cbranch_vccz .LBB39_1622
; %bb.1619:
	v_mov_b32_e32 v1, 29
	v_cmp_eq_u16_sdwa s[6:7], s20, v1 src0_sel:BYTE_0 src1_sel:DWORD
	s_and_b64 vcc, exec, s[6:7]
	s_cbranch_vccz .LBB39_1621
; %bb.1620:
	global_load_dwordx2 v[16:17], v[12:13], off
	s_mov_b64 s[6:7], 0
	s_mov_b64 s[12:13], -1
	s_mov_b64 s[14:15], 0
	s_waitcnt vmcnt(0)
	v_ffbh_u32_e32 v1, v17
	v_min_u32_e32 v1, 32, v1
	v_lshlrev_b64 v[16:17], v1, v[16:17]
	v_min_u32_e32 v3, 1, v16
	v_or_b32_e32 v3, v17, v3
	v_cvt_f32_u32_e32 v3, v3
	v_sub_u32_e32 v1, 32, v1
	v_ldexp_f32 v1, v3, v1
	s_branch .LBB39_1623
.LBB39_1621:
	s_mov_b64 s[6:7], -1
                                        ; implicit-def: $vgpr1
.LBB39_1622:
	s_mov_b64 s[14:15], 0
.LBB39_1623:
	s_and_b64 vcc, exec, s[14:15]
	s_cbranch_vccz .LBB39_1641
; %bb.1624:
	v_mov_b32_e32 v1, 27
	v_cmp_lt_i16_sdwa s[12:13], s20, v1 src0_sel:BYTE_0 src1_sel:DWORD
	s_and_b64 vcc, exec, s[12:13]
	s_cbranch_vccnz .LBB39_1627
; %bb.1625:
	v_cmp_gt_i16_sdwa s[12:13], s20, v1 src0_sel:BYTE_0 src1_sel:DWORD
	s_and_b64 vcc, exec, s[12:13]
	s_cbranch_vccz .LBB39_1628
; %bb.1626:
	global_load_dword v1, v[12:13], off
	s_mov_b64 s[12:13], 0
	s_waitcnt vmcnt(0)
	v_cvt_f32_u32_e32 v1, v1
	s_branch .LBB39_1629
.LBB39_1627:
	s_mov_b64 s[12:13], -1
                                        ; implicit-def: $vgpr1
	s_branch .LBB39_1632
.LBB39_1628:
	s_mov_b64 s[12:13], -1
                                        ; implicit-def: $vgpr1
.LBB39_1629:
	s_andn2_b64 vcc, exec, s[12:13]
	s_cbranch_vccnz .LBB39_1631
; %bb.1630:
	global_load_ushort v1, v[12:13], off
	s_waitcnt vmcnt(0)
	v_cvt_f32_u32_e32 v1, v1
.LBB39_1631:
	s_mov_b64 s[12:13], 0
.LBB39_1632:
	s_andn2_b64 vcc, exec, s[12:13]
	s_cbranch_vccnz .LBB39_1640
; %bb.1633:
	global_load_ubyte v3, v[12:13], off
	s_movk_i32 s12, 0x7f
                                        ; implicit-def: $sgpr18
	s_waitcnt vmcnt(0)
	v_cmp_lt_i16_e32 vcc, s12, v3
	s_mov_b64 s[12:13], 0
	s_and_saveexec_b64 s[14:15], vcc
	s_xor_b64 s[14:15], exec, s[14:15]
	s_cbranch_execz .LBB39_1654
; %bb.1634:
	s_movk_i32 s12, 0x80
	v_cmp_eq_u16_e32 vcc, s12, v3
	s_mov_b64 s[12:13], -1
                                        ; implicit-def: $sgpr18
	s_and_saveexec_b64 s[16:17], vcc
; %bb.1635:
	s_mov_b32 s18, 0x7f800001
	s_xor_b64 s[12:13], exec, -1
; %bb.1636:
	s_or_b64 exec, exec, s[16:17]
	s_and_b64 s[12:13], s[12:13], exec
	s_or_saveexec_b64 s[14:15], s[14:15]
	v_mov_b32_e32 v1, s18
	s_xor_b64 exec, exec, s[14:15]
	s_cbranch_execnz .LBB39_1655
.LBB39_1637:
	s_or_b64 exec, exec, s[14:15]
	s_and_saveexec_b64 s[14:15], s[12:13]
	s_cbranch_execz .LBB39_1639
.LBB39_1638:
	v_lshlrev_b32_e32 v1, 24, v3
	v_and_b32_e32 v3, 0xffff, v3
	v_and_b32_e32 v5, 7, v3
	v_ffbh_u32_e32 v9, v5
	v_min_u32_e32 v9, 32, v9
	v_subrev_u32_e32 v11, 28, v9
	v_bfe_u32 v7, v3, 3, 4
	v_lshlrev_b32_e32 v3, v11, v3
	v_sub_u32_e32 v9, 29, v9
	v_and_b32_e32 v3, 7, v3
	v_cmp_eq_u32_e32 vcc, 0, v7
	v_cndmask_b32_e32 v7, v7, v9, vcc
	v_cndmask_b32_e32 v3, v5, v3, vcc
	v_mov_b32_e32 v5, 0x3b800000
	v_lshlrev_b32_e32 v3, 20, v3
	v_and_b32_e32 v1, 0x80000000, v1
	v_lshl_add_u32 v5, v7, 23, v5
	v_or3_b32 v1, v1, v5, v3
.LBB39_1639:
	s_or_b64 exec, exec, s[14:15]
.LBB39_1640:
	s_mov_b64 s[12:13], -1
.LBB39_1641:
	s_mov_b64 s[14:15], 0
.LBB39_1642:
	s_and_b64 vcc, exec, s[14:15]
	s_cbranch_vccz .LBB39_1675
; %bb.1643:
	v_mov_b32_e32 v1, 22
	v_cmp_gt_i16_sdwa s[10:11], s20, v1 src0_sel:BYTE_0 src1_sel:DWORD
	s_and_b64 vcc, exec, s[10:11]
	s_cbranch_vccz .LBB39_1653
; %bb.1644:
	v_mov_b32_e32 v1, 24
	v_cmp_lt_i16_sdwa s[10:11], s20, v1 src0_sel:BYTE_0 src1_sel:DWORD
	s_and_b64 vcc, exec, s[10:11]
	s_cbranch_vccnz .LBB39_1656
; %bb.1645:
	v_cmp_gt_i16_sdwa s[10:11], s20, v1 src0_sel:BYTE_0 src1_sel:DWORD
	s_and_b64 vcc, exec, s[10:11]
	s_cbranch_vccz .LBB39_1657
; %bb.1646:
	global_load_ubyte v3, v[12:13], off
	s_movk_i32 s10, 0x7f
                                        ; implicit-def: $sgpr16
	s_waitcnt vmcnt(0)
	v_cmp_lt_i16_e32 vcc, s10, v3
	s_mov_b64 s[10:11], 0
	s_and_saveexec_b64 s[12:13], vcc
	s_xor_b64 s[12:13], exec, s[12:13]
	s_cbranch_execz .LBB39_1669
; %bb.1647:
	s_movk_i32 s10, 0x80
	v_cmp_eq_u16_e32 vcc, s10, v3
	s_mov_b64 s[10:11], -1
                                        ; implicit-def: $sgpr16
	s_and_saveexec_b64 s[14:15], vcc
; %bb.1648:
	s_mov_b32 s16, 0x7f800001
	s_xor_b64 s[10:11], exec, -1
; %bb.1649:
	s_or_b64 exec, exec, s[14:15]
	s_and_b64 s[10:11], s[10:11], exec
	s_or_saveexec_b64 s[12:13], s[12:13]
	v_mov_b32_e32 v1, s16
	s_xor_b64 exec, exec, s[12:13]
	s_cbranch_execnz .LBB39_1670
.LBB39_1650:
	s_or_b64 exec, exec, s[12:13]
	s_and_saveexec_b64 s[12:13], s[10:11]
	s_cbranch_execz .LBB39_1652
.LBB39_1651:
	v_lshlrev_b32_e32 v1, 24, v3
	v_and_b32_e32 v3, 0xffff, v3
	v_and_b32_e32 v5, 3, v3
	v_ffbh_u32_e32 v9, v5
	v_min_u32_e32 v9, 32, v9
	v_subrev_u32_e32 v11, 29, v9
	v_bfe_u32 v7, v3, 2, 5
	v_lshlrev_b32_e32 v3, v11, v3
	v_sub_u32_e32 v9, 30, v9
	v_and_b32_e32 v3, 3, v3
	v_cmp_eq_u32_e32 vcc, 0, v7
	v_cndmask_b32_e32 v7, v7, v9, vcc
	v_cndmask_b32_e32 v3, v5, v3, vcc
	v_mov_b32_e32 v5, 0x37800000
	v_lshlrev_b32_e32 v3, 21, v3
	v_and_b32_e32 v1, 0x80000000, v1
	v_lshl_add_u32 v5, v7, 23, v5
	v_or3_b32 v1, v1, v5, v3
.LBB39_1652:
	s_or_b64 exec, exec, s[12:13]
	s_mov_b64 s[10:11], 0
	s_branch .LBB39_1658
.LBB39_1653:
	s_mov_b64 s[10:11], -1
                                        ; implicit-def: $vgpr1
	s_branch .LBB39_1664
.LBB39_1654:
	s_or_saveexec_b64 s[14:15], s[14:15]
	v_mov_b32_e32 v1, s18
	s_xor_b64 exec, exec, s[14:15]
	s_cbranch_execz .LBB39_1637
.LBB39_1655:
	v_cmp_ne_u16_e32 vcc, 0, v3
	s_andn2_b64 s[12:13], s[12:13], exec
	s_and_b64 s[16:17], vcc, exec
	v_mov_b32_e32 v1, 0
	s_or_b64 s[12:13], s[12:13], s[16:17]
	s_or_b64 exec, exec, s[14:15]
	s_and_saveexec_b64 s[14:15], s[12:13]
	s_cbranch_execnz .LBB39_1638
	s_branch .LBB39_1639
.LBB39_1656:
	s_mov_b64 s[10:11], -1
                                        ; implicit-def: $vgpr1
	s_branch .LBB39_1661
.LBB39_1657:
	s_mov_b64 s[10:11], -1
                                        ; implicit-def: $vgpr1
.LBB39_1658:
	s_and_b64 vcc, exec, s[10:11]
	s_cbranch_vccz .LBB39_1660
; %bb.1659:
	global_load_ubyte v1, v[12:13], off
	s_mov_b32 s10, 0x7f800000
	s_waitcnt vmcnt(0)
	v_lshlrev_b32_e32 v1, 24, v1
	v_and_b32_e32 v3, 0x7f000000, v1
	v_ffbh_u32_e32 v5, v3
	v_min_u32_e32 v5, 32, v5
	v_sub_u32_e64 v5, v5, 4 clamp
	v_lshlrev_b32_e32 v9, v5, v3
	v_lshlrev_b32_e32 v5, 23, v5
	v_lshrrev_b32_e32 v9, 4, v9
	v_add_u32_e32 v7, 0x1000000, v3
	v_sub_u32_e32 v5, v9, v5
	v_ashrrev_i32_e32 v7, 8, v7
	v_add_u32_e32 v5, 0x3c000000, v5
	v_and_or_b32 v5, v7, s10, v5
	v_cmp_ne_u32_e32 vcc, 0, v3
	v_cndmask_b32_e32 v3, 0, v5, vcc
	s_brev_b32 s10, 1
	v_and_or_b32 v1, v1, s10, v3
.LBB39_1660:
	s_mov_b64 s[10:11], 0
.LBB39_1661:
	s_andn2_b64 vcc, exec, s[10:11]
	s_cbranch_vccnz .LBB39_1663
; %bb.1662:
	global_load_ubyte v1, v[12:13], off
	s_movk_i32 s10, 0x7f00
	s_brev_b32 s11, 16
	s_waitcnt vmcnt(0)
	v_lshlrev_b16_e32 v3, 8, v1
	v_lshlrev_b32_e32 v1, 25, v1
	v_lshrrev_b32_e32 v5, 4, v1
	v_and_or_b32 v7, v3, s10, 0.5
	v_or_b32_e32 v5, 0x70000000, v5
	v_add_f32_e32 v7, -0.5, v7
	v_mul_f32_e32 v5, 0x7800000, v5
	v_cmp_gt_u32_e32 vcc, s11, v1
	v_bfe_i32 v3, v3, 0, 16
	v_cndmask_b32_e32 v1, v5, v7, vcc
	s_brev_b32 s10, 1
	v_and_or_b32 v1, v3, s10, v1
.LBB39_1663:
	s_mov_b64 s[10:11], 0
	s_mov_b64 s[12:13], -1
.LBB39_1664:
	s_andn2_b64 vcc, exec, s[10:11]
	s_mov_b64 s[10:11], 0
	s_cbranch_vccnz .LBB39_1675
; %bb.1665:
	v_mov_b32_e32 v1, 14
	v_cmp_gt_i16_sdwa s[10:11], s20, v1 src0_sel:BYTE_0 src1_sel:DWORD
	s_and_b64 vcc, exec, s[10:11]
	s_cbranch_vccz .LBB39_1668
; %bb.1666:
	v_mov_b32_e32 v1, 15
	v_cmp_eq_u16_sdwa s[6:7], s20, v1 src0_sel:BYTE_0 src1_sel:DWORD
	s_and_b64 vcc, exec, s[6:7]
	s_cbranch_vccz .LBB39_1671
; %bb.1667:
	global_load_ushort v1, v[12:13], off
	s_mov_b64 s[6:7], 0
	s_mov_b64 s[12:13], -1
	s_waitcnt vmcnt(0)
	v_lshlrev_b32_e32 v1, 16, v1
	s_branch .LBB39_1672
.LBB39_1668:
	s_mov_b64 s[14:15], -1
                                        ; implicit-def: $vgpr1
	s_branch .LBB39_1673
.LBB39_1669:
	s_or_saveexec_b64 s[12:13], s[12:13]
	v_mov_b32_e32 v1, s16
	s_xor_b64 exec, exec, s[12:13]
	s_cbranch_execz .LBB39_1650
.LBB39_1670:
	v_cmp_ne_u16_e32 vcc, 0, v3
	s_andn2_b64 s[10:11], s[10:11], exec
	s_and_b64 s[14:15], vcc, exec
	v_mov_b32_e32 v1, 0
	s_or_b64 s[10:11], s[10:11], s[14:15]
	s_or_b64 exec, exec, s[12:13]
	s_and_saveexec_b64 s[12:13], s[10:11]
	s_cbranch_execnz .LBB39_1651
	s_branch .LBB39_1652
.LBB39_1671:
	s_mov_b64 s[6:7], -1
                                        ; implicit-def: $vgpr1
.LBB39_1672:
	s_mov_b64 s[14:15], 0
.LBB39_1673:
	s_mov_b64 s[10:11], 0
	s_and_b64 vcc, exec, s[14:15]
	s_cbranch_vccz .LBB39_1675
; %bb.1674:
	v_mov_b32_e32 v1, 11
	v_cmp_ne_u16_sdwa s[6:7], s20, v1 src0_sel:BYTE_0 src1_sel:DWORD
	s_mov_b64 s[10:11], -1
                                        ; implicit-def: $vgpr1
.LBB39_1675:
	s_and_b64 vcc, exec, s[6:7]
	s_cbranch_vccnz .LBB39_1795
; %bb.1676:
	s_andn2_b64 vcc, exec, s[10:11]
	s_cbranch_vccnz .LBB39_1678
.LBB39_1677:
	global_load_ubyte v1, v[12:13], off
	s_mov_b64 s[12:13], -1
	s_waitcnt vmcnt(0)
	v_cmp_ne_u16_e32 vcc, 0, v1
	v_cndmask_b32_e64 v1, 0, 1.0, vcc
.LBB39_1678:
	s_mov_b64 s[6:7], 0
.LBB39_1679:
	s_and_b64 vcc, exec, s[6:7]
	s_cbranch_vccz .LBB39_1728
; %bb.1680:
	v_mov_b32_e32 v1, 5
	v_cmp_lt_i16_sdwa s[6:7], s20, v1 src0_sel:BYTE_0 src1_sel:DWORD
	s_and_b64 vcc, exec, s[6:7]
	s_cbranch_vccnz .LBB39_1685
; %bb.1681:
	v_mov_b32_e32 v1, 8
	v_cmp_lt_i16_sdwa s[6:7], s20, v1 src0_sel:BYTE_0 src1_sel:DWORD
	s_and_b64 vcc, exec, s[6:7]
	s_cbranch_vccnz .LBB39_1686
	;; [unrolled: 5-line block ×3, first 2 shown]
; %bb.1683:
	v_cmp_gt_i16_sdwa s[6:7], s20, v1 src0_sel:BYTE_0 src1_sel:DWORD
	s_and_b64 vcc, exec, s[6:7]
	s_cbranch_vccz .LBB39_1688
; %bb.1684:
	global_load_dwordx2 v[16:17], v[12:13], off
	s_mov_b64 s[6:7], 0
	s_waitcnt vmcnt(0)
	v_cvt_f32_f64_e32 v1, v[16:17]
	s_branch .LBB39_1689
.LBB39_1685:
	s_mov_b64 s[6:7], -1
                                        ; implicit-def: $vgpr1
	s_branch .LBB39_1707
.LBB39_1686:
	s_mov_b64 s[6:7], -1
                                        ; implicit-def: $vgpr1
	s_branch .LBB39_1695
.LBB39_1687:
	s_mov_b64 s[6:7], -1
                                        ; implicit-def: $vgpr1
	s_branch .LBB39_1692
.LBB39_1688:
	s_mov_b64 s[6:7], -1
                                        ; implicit-def: $vgpr1
.LBB39_1689:
	s_andn2_b64 vcc, exec, s[6:7]
	s_cbranch_vccnz .LBB39_1691
; %bb.1690:
	global_load_dword v1, v[12:13], off
.LBB39_1691:
	s_mov_b64 s[6:7], 0
.LBB39_1692:
	s_andn2_b64 vcc, exec, s[6:7]
	s_cbranch_vccnz .LBB39_1694
; %bb.1693:
	global_load_dword v1, v[12:13], off
	s_waitcnt vmcnt(0)
	v_cvt_f32_f16_e32 v1, v1
.LBB39_1694:
	s_mov_b64 s[6:7], 0
.LBB39_1695:
	s_andn2_b64 vcc, exec, s[6:7]
	s_cbranch_vccnz .LBB39_1706
; %bb.1696:
	s_waitcnt vmcnt(0)
	v_mov_b32_e32 v1, 6
	v_cmp_lt_i16_sdwa s[6:7], s20, v1 src0_sel:BYTE_0 src1_sel:DWORD
	s_and_b64 vcc, exec, s[6:7]
	s_cbranch_vccnz .LBB39_1699
; %bb.1697:
	v_cmp_gt_i16_sdwa s[6:7], s20, v1 src0_sel:BYTE_0 src1_sel:DWORD
	s_and_b64 vcc, exec, s[6:7]
	s_cbranch_vccz .LBB39_1700
; %bb.1698:
	global_load_dwordx2 v[16:17], v[12:13], off
	s_mov_b64 s[6:7], 0
	s_waitcnt vmcnt(0)
	v_cvt_f32_f64_e32 v1, v[16:17]
	s_branch .LBB39_1701
.LBB39_1699:
	s_mov_b64 s[6:7], -1
                                        ; implicit-def: $vgpr1
	s_branch .LBB39_1704
.LBB39_1700:
	s_mov_b64 s[6:7], -1
                                        ; implicit-def: $vgpr1
.LBB39_1701:
	s_andn2_b64 vcc, exec, s[6:7]
	s_cbranch_vccnz .LBB39_1703
; %bb.1702:
	global_load_dword v1, v[12:13], off
.LBB39_1703:
	s_mov_b64 s[6:7], 0
.LBB39_1704:
	s_andn2_b64 vcc, exec, s[6:7]
	s_cbranch_vccnz .LBB39_1706
; %bb.1705:
	global_load_ushort v1, v[12:13], off
	s_waitcnt vmcnt(0)
	v_cvt_f32_f16_e32 v1, v1
.LBB39_1706:
	s_mov_b64 s[6:7], 0
.LBB39_1707:
	s_andn2_b64 vcc, exec, s[6:7]
	s_cbranch_vccnz .LBB39_1727
; %bb.1708:
	s_waitcnt vmcnt(0)
	v_mov_b32_e32 v1, 2
	v_cmp_lt_i16_sdwa s[6:7], s20, v1 src0_sel:BYTE_0 src1_sel:DWORD
	s_and_b64 vcc, exec, s[6:7]
	s_cbranch_vccnz .LBB39_1712
; %bb.1709:
	v_mov_b32_e32 v1, 3
	v_cmp_lt_i16_sdwa s[6:7], s20, v1 src0_sel:BYTE_0 src1_sel:DWORD
	s_and_b64 vcc, exec, s[6:7]
	s_cbranch_vccnz .LBB39_1713
; %bb.1710:
	v_cmp_gt_i16_sdwa s[6:7], s20, v1 src0_sel:BYTE_0 src1_sel:DWORD
	s_and_b64 vcc, exec, s[6:7]
	s_cbranch_vccz .LBB39_1714
; %bb.1711:
	global_load_dwordx2 v[16:17], v[12:13], off
	s_mov_b64 s[6:7], 0
	s_waitcnt vmcnt(0)
	v_xor_b32_e32 v3, v16, v17
	v_ffbh_i32_e32 v1, v17
	v_ashrrev_i32_e32 v3, 31, v3
	v_add_u32_e32 v1, -1, v1
	v_add_u32_e32 v3, 32, v3
	v_min_u32_e32 v1, v1, v3
	v_lshlrev_b64 v[16:17], v1, v[16:17]
	v_min_u32_e32 v3, 1, v16
	v_or_b32_e32 v3, v17, v3
	v_cvt_f32_i32_e32 v3, v3
	v_sub_u32_e32 v1, 32, v1
	v_ldexp_f32 v1, v3, v1
	s_branch .LBB39_1715
.LBB39_1712:
	s_mov_b64 s[6:7], -1
                                        ; implicit-def: $vgpr1
	s_branch .LBB39_1721
.LBB39_1713:
	s_mov_b64 s[6:7], -1
                                        ; implicit-def: $vgpr1
	s_branch .LBB39_1718
.LBB39_1714:
	s_mov_b64 s[6:7], -1
                                        ; implicit-def: $vgpr1
.LBB39_1715:
	s_andn2_b64 vcc, exec, s[6:7]
	s_cbranch_vccnz .LBB39_1717
; %bb.1716:
	global_load_dword v1, v[12:13], off
	s_waitcnt vmcnt(0)
	v_cvt_f32_i32_e32 v1, v1
.LBB39_1717:
	s_mov_b64 s[6:7], 0
.LBB39_1718:
	s_andn2_b64 vcc, exec, s[6:7]
	s_cbranch_vccnz .LBB39_1720
; %bb.1719:
	global_load_sshort v1, v[12:13], off
	s_waitcnt vmcnt(0)
	v_cvt_f32_i32_e32 v1, v1
.LBB39_1720:
	s_mov_b64 s[6:7], 0
.LBB39_1721:
	s_andn2_b64 vcc, exec, s[6:7]
	s_cbranch_vccnz .LBB39_1727
; %bb.1722:
	v_mov_b32_e32 v1, 0
	v_cmp_gt_i16_sdwa s[6:7], s20, v1 src0_sel:BYTE_0 src1_sel:DWORD
	s_and_b64 vcc, exec, s[6:7]
	s_cbranch_vccz .LBB39_1724
; %bb.1723:
	global_load_sbyte v1, v[12:13], off
	s_mov_b64 s[6:7], 0
	s_waitcnt vmcnt(0)
	v_cvt_f32_i32_e32 v1, v1
	s_branch .LBB39_1725
.LBB39_1724:
	s_mov_b64 s[6:7], -1
                                        ; implicit-def: $vgpr1
.LBB39_1725:
	s_andn2_b64 vcc, exec, s[6:7]
	s_cbranch_vccnz .LBB39_1727
; %bb.1726:
	global_load_ubyte v1, v[12:13], off
	s_waitcnt vmcnt(0)
	v_cvt_f32_ubyte0_e32 v1, v1
.LBB39_1727:
	s_mov_b64 s[12:13], -1
.LBB39_1728:
	s_andn2_b64 vcc, exec, s[12:13]
	s_cbranch_vccnz .LBB39_1736
; %bb.1729:
	s_and_b64 vcc, exec, s[0:1]
	v_mov_b32_e32 v12, 0
	s_cbranch_vccnz .LBB39_1785
; %bb.1730:
	v_cmp_lt_i64_e64 s[0:1], s[4:5], 1
	s_and_b64 vcc, exec, s[0:1]
	v_mov_b32_e32 v12, 1.0
	s_cbranch_vccnz .LBB39_1785
; %bb.1731:
	s_cmp_lg_u64 s[4:5], 1
	s_cbranch_scc0 .LBB39_1782
; %bb.1732:
	v_mov_b32_e32 v12, 0x80
	v_mov_b32_e32 v13, 0
	v_cmp_gt_u64_e32 vcc, s[4:5], v[12:13]
	v_mov_b32_e32 v12, 0x7fc00000
	s_cbranch_vccnz .LBB39_1735
; %bb.1733:
	s_mov_b64 s[0:1], 1
	v_mov_b32_e32 v3, 1.0
	s_waitcnt vmcnt(0)
	v_mov_b32_e32 v12, v1
.LBB39_1734:                            ; =>This Inner Loop Header: Depth=1
	s_flbit_i32_b32 s6, s1
	s_min_u32 s10, s6, 32
	s_lshl_b64 s[6:7], s[0:1], s10
	s_min_u32 s6, s6, 1
	s_or_b32 s6, s7, s6
	v_cvt_f32_u32_e32 v7, s6
	s_sub_i32 s10, 32, s10
	s_add_u32 s0, s0, 1
	v_mov_b32_e32 v5, v12
	v_ldexp_f32 v7, v7, s10
	s_addc_u32 s1, s1, 0
	v_mul_f32_e32 v7, v3, v7
	s_cmp_lg_u64 s[4:5], s[0:1]
	v_mov_b32_e32 v3, v12
	v_fma_f32 v12, v1, v5, -v7
	s_cbranch_scc1 .LBB39_1734
.LBB39_1735:
	s_mov_b64 s[0:1], 0
	s_branch .LBB39_1783
.LBB39_1736:
	s_mov_b64 s[0:1], 0
                                        ; implicit-def: $vgpr0_vgpr1
                                        ; implicit-def: $sgpr16
                                        ; implicit-def: $vgpr12
.LBB39_1737:
	s_mov_b64 s[4:5], 0
.LBB39_1738:
	s_and_b64 s[6:7], s[4:5], exec
	s_andn2_b64 s[4:5], s[28:29], exec
	s_and_b64 s[2:3], s[2:3], exec
	s_and_b64 s[0:1], s[0:1], exec
	s_or_b64 s[28:29], s[4:5], s[2:3]
.LBB39_1739:
	s_or_b64 exec, exec, s[30:31]
	s_and_saveexec_b64 s[2:3], s[28:29]
	s_cbranch_execz .LBB39_1742
; %bb.1740:
	; divergent unreachable
	s_or_b64 exec, exec, s[2:3]
	s_and_saveexec_b64 s[2:3], s[6:7]
	s_xor_b64 s[2:3], exec, s[2:3]
	s_cbranch_execnz .LBB39_1743
.LBB39_1741:
	s_or_b64 exec, exec, s[2:3]
	s_and_saveexec_b64 s[2:3], s[0:1]
	s_cbranch_execnz .LBB39_1744
	s_branch .LBB39_1781
.LBB39_1742:
	s_or_b64 exec, exec, s[2:3]
	s_and_saveexec_b64 s[2:3], s[6:7]
	s_xor_b64 s[2:3], exec, s[2:3]
	s_cbranch_execz .LBB39_1741
.LBB39_1743:
	v_cmp_neq_f32_e32 vcc, 0, v12
	v_cndmask_b32_e64 v2, 0, 1, vcc
	s_waitcnt vmcnt(0)
	global_store_byte v[0:1], v2, off
	s_or_b64 exec, exec, s[2:3]
	s_and_saveexec_b64 s[2:3], s[0:1]
	s_cbranch_execz .LBB39_1781
.LBB39_1744:
	v_cmp_lt_i16_e64 s[2:3], s16, 5
	s_mov_b64 s[0:1], -1
	s_and_b64 vcc, exec, s[2:3]
	s_cbranch_vccnz .LBB39_1765
; %bb.1745:
	v_cmp_lt_i16_e64 s[2:3], s16, 8
	s_and_b64 vcc, exec, s[2:3]
	s_cbranch_vccnz .LBB39_1755
; %bb.1746:
	v_cmp_lt_i16_e64 s[2:3], s16, 9
	s_and_b64 vcc, exec, s[2:3]
	s_cbranch_vccnz .LBB39_1752
; %bb.1747:
	v_cmp_gt_i16_e64 s[2:3], s16, 9
	s_and_b64 vcc, exec, s[2:3]
	s_cbranch_vccz .LBB39_1749
; %bb.1748:
	v_mov_b32_e32 v4, 0
	v_cvt_f64_f32_e32 v[2:3], v12
	v_mov_b32_e32 v5, v4
	s_waitcnt vmcnt(0)
	global_store_dwordx4 v[0:1], v[2:5], off
	s_mov_b64 s[0:1], 0
.LBB39_1749:
	s_andn2_b64 vcc, exec, s[0:1]
	s_cbranch_vccnz .LBB39_1751
; %bb.1750:
	v_mov_b32_e32 v13, 0
	s_waitcnt vmcnt(0)
	global_store_dwordx2 v[0:1], v[12:13], off
.LBB39_1751:
	s_mov_b64 s[0:1], 0
.LBB39_1752:
	s_andn2_b64 vcc, exec, s[0:1]
	s_cbranch_vccnz .LBB39_1754
; %bb.1753:
	v_cvt_f16_f32_e32 v2, v12
	s_waitcnt vmcnt(0)
	global_store_dword v[0:1], v2, off
.LBB39_1754:
	s_mov_b64 s[0:1], 0
.LBB39_1755:
	s_andn2_b64 vcc, exec, s[0:1]
	s_cbranch_vccnz .LBB39_1764
; %bb.1756:
	v_cmp_lt_i16_e64 s[2:3], s16, 6
	s_mov_b64 s[0:1], -1
	s_and_b64 vcc, exec, s[2:3]
	s_cbranch_vccnz .LBB39_1762
; %bb.1757:
	v_cmp_gt_i16_e64 s[2:3], s16, 6
	s_and_b64 vcc, exec, s[2:3]
	s_cbranch_vccz .LBB39_1759
; %bb.1758:
	v_cvt_f64_f32_e32 v[2:3], v12
	s_waitcnt vmcnt(0)
	global_store_dwordx2 v[0:1], v[2:3], off
	s_mov_b64 s[0:1], 0
.LBB39_1759:
	s_andn2_b64 vcc, exec, s[0:1]
	s_cbranch_vccnz .LBB39_1761
; %bb.1760:
	s_waitcnt vmcnt(0)
	global_store_dword v[0:1], v12, off
.LBB39_1761:
	s_mov_b64 s[0:1], 0
.LBB39_1762:
	s_andn2_b64 vcc, exec, s[0:1]
	s_cbranch_vccnz .LBB39_1764
; %bb.1763:
	v_cvt_f16_f32_e32 v2, v12
	s_waitcnt vmcnt(0)
	global_store_short v[0:1], v2, off
.LBB39_1764:
	s_mov_b64 s[0:1], 0
.LBB39_1765:
	s_andn2_b64 vcc, exec, s[0:1]
	s_cbranch_vccnz .LBB39_1781
; %bb.1766:
	v_cmp_lt_i16_e64 s[2:3], s16, 2
	s_mov_b64 s[0:1], -1
	s_and_b64 vcc, exec, s[2:3]
	s_cbranch_vccnz .LBB39_1776
; %bb.1767:
	v_cmp_lt_i16_e64 s[2:3], s16, 3
	s_and_b64 vcc, exec, s[2:3]
	s_cbranch_vccnz .LBB39_1773
; %bb.1768:
	v_cmp_gt_i16_e64 s[2:3], s16, 3
	s_and_b64 vcc, exec, s[2:3]
	s_cbranch_vccz .LBB39_1770
; %bb.1769:
	v_trunc_f32_e32 v2, v12
	s_mov_b32 s0, 0x2f800000
	v_mul_f32_e64 v3, |v2|, s0
	v_floor_f32_e32 v3, v3
	s_mov_b32 s0, 0xcf800000
	v_cvt_u32_f32_e32 v4, v3
	v_fma_f32 v3, v3, s0, |v2|
	v_cvt_u32_f32_e32 v3, v3
	v_ashrrev_i32_e32 v5, 31, v2
	v_xor_b32_e32 v4, v4, v5
	s_mov_b64 s[0:1], 0
	v_xor_b32_e32 v2, v3, v5
	v_sub_co_u32_e32 v2, vcc, v2, v5
	v_subb_co_u32_e32 v3, vcc, v4, v5, vcc
	s_waitcnt vmcnt(0)
	global_store_dwordx2 v[0:1], v[2:3], off
.LBB39_1770:
	s_andn2_b64 vcc, exec, s[0:1]
	s_cbranch_vccnz .LBB39_1772
; %bb.1771:
	v_cvt_i32_f32_e32 v2, v12
	s_waitcnt vmcnt(0)
	global_store_dword v[0:1], v2, off
.LBB39_1772:
	s_mov_b64 s[0:1], 0
.LBB39_1773:
	s_andn2_b64 vcc, exec, s[0:1]
	s_cbranch_vccnz .LBB39_1775
; %bb.1774:
	v_cvt_i32_f32_e32 v2, v12
	s_waitcnt vmcnt(0)
	global_store_short v[0:1], v2, off
.LBB39_1775:
	s_mov_b64 s[0:1], 0
.LBB39_1776:
	s_andn2_b64 vcc, exec, s[0:1]
	s_cbranch_vccnz .LBB39_1781
; %bb.1777:
	v_cmp_gt_i16_e64 s[2:3], s16, 0
	s_mov_b64 s[0:1], -1
	s_and_b64 vcc, exec, s[2:3]
	s_cbranch_vccz .LBB39_1779
; %bb.1778:
	v_cvt_i32_f32_e32 v2, v12
	s_mov_b64 s[0:1], 0
	s_waitcnt vmcnt(0)
	global_store_byte v[0:1], v2, off
.LBB39_1779:
	s_andn2_b64 vcc, exec, s[0:1]
	s_cbranch_vccnz .LBB39_1781
; %bb.1780:
	v_trunc_f32_e32 v2, v12
	s_mov_b32 s0, 0x2f800000
	v_mul_f32_e64 v3, |v2|, s0
	v_floor_f32_e32 v3, v3
	s_mov_b32 s0, 0xcf800000
	v_fma_f32 v3, v3, s0, |v2|
	v_cvt_u32_f32_e32 v3, v3
	v_ashrrev_i32_e32 v2, 31, v2
	v_xor_b32_e32 v3, v3, v2
	v_sub_u32_e32 v2, v3, v2
	s_waitcnt vmcnt(0)
	global_store_byte v[0:1], v2, off
	s_endpgm
.LBB39_1781:
	s_endpgm
.LBB39_1782:
	s_mov_b64 s[0:1], -1
                                        ; implicit-def: $vgpr12
.LBB39_1783:
	s_andn2_b64 vcc, exec, s[0:1]
	s_cbranch_vccnz .LBB39_1785
; %bb.1784:
	s_waitcnt vmcnt(0)
	v_mov_b32_e32 v12, v1
.LBB39_1785:
	s_load_dword s0, s[34:35], 0x160
	s_waitcnt vmcnt(0)
	v_mov_b32_e32 v1, s9
	v_add_co_u32_e32 v6, vcc, s8, v6
	v_addc_co_u32_e32 v7, vcc, 0, v1, vcc
	s_waitcnt lgkmcnt(0)
	s_and_b32 s16, s0, 0xff
	v_cmp_lt_i16_e64 s[4:5], s16, 11
	s_and_b64 vcc, exec, s[4:5]
	s_cbranch_vccnz .LBB39_1792
; %bb.1786:
	v_cmp_gt_i16_e64 s[0:1], s16, 25
	s_mov_b64 s[12:13], -1
	s_mov_b64 s[6:7], 0
	s_and_b64 vcc, exec, s[0:1]
	s_mov_b64 s[10:11], 0
	s_mov_b64 s[0:1], 0
	s_cbranch_vccz .LBB39_1824
; %bb.1787:
	v_cmp_gt_i16_e64 s[0:1], s16, 28
	s_and_b64 vcc, exec, s[0:1]
	s_cbranch_vccz .LBB39_1793
; %bb.1788:
	v_cmp_gt_i16_e64 s[0:1], s16, 43
	s_and_b64 vcc, exec, s[0:1]
	;; [unrolled: 4-line block ×3, first 2 shown]
	s_cbranch_vccz .LBB39_1796
; %bb.1790:
	v_cmp_eq_u16_e64 s[10:11], s16, 46
	s_mov_b64 s[0:1], -1
	s_mov_b64 s[12:13], 0
	s_and_b64 vcc, exec, s[10:11]
	s_mov_b64 s[10:11], 0
	s_cbranch_vccz .LBB39_1797
; %bb.1791:
	v_bfe_u32 v1, v8, 16, 1
	s_movk_i32 s0, 0x7fff
	v_add3_u32 v1, v8, v1, s0
	v_lshrrev_b32_e32 v1, 16, v1
	v_mov_b32_e32 v3, 0x7fc0
	v_cmp_o_f32_e32 vcc, v8, v8
	v_cndmask_b32_e32 v1, v3, v1, vcc
	global_store_dword v[6:7], v1, off
	s_mov_b64 s[0:1], 0
	s_mov_b64 s[10:11], -1
	s_branch .LBB39_1797
.LBB39_1792:
	s_mov_b64 s[0:1], -1
	s_mov_b64 s[10:11], 0
	s_branch .LBB39_1868
.LBB39_1793:
	s_mov_b64 s[0:1], 0
	s_branch .LBB39_1807
.LBB39_1794:
	s_mov_b64 s[0:1], 0
	s_branch .LBB39_1803
.LBB39_1795:
	s_trap 2
	s_or_b64 s[2:3], s[2:3], exec
                                        ; implicit-def: $vgpr1
	s_cbranch_execz .LBB39_1677
	s_branch .LBB39_1678
.LBB39_1796:
	s_mov_b64 s[0:1], 0
.LBB39_1797:
	s_and_b64 vcc, exec, s[12:13]
	s_cbranch_vccz .LBB39_1802
; %bb.1798:
	v_cmp_eq_u16_e64 s[12:13], s16, 44
	s_mov_b64 s[0:1], -1
	s_and_b64 vcc, exec, s[12:13]
	s_cbranch_vccz .LBB39_1802
; %bb.1799:
	v_bfe_u32 v1, v8, 23, 8
	s_movk_i32 s0, 0xff
	v_cmp_ne_u32_e32 vcc, s0, v1
	v_mov_b32_e32 v3, 0xff
	s_and_saveexec_b64 s[10:11], vcc
; %bb.1800:
	s_mov_b32 s0, 0x3fffff
	v_and_b32_e32 v5, 0x400000, v8
	v_and_or_b32 v1, v8, s0, v1
	v_cmp_ne_u32_e32 vcc, 0, v5
	v_cmp_ne_u32_e64 s[0:1], 0, v1
	s_and_b64 s[0:1], vcc, s[0:1]
	v_lshrrev_b32_e32 v3, 23, v8
	v_cndmask_b32_e64 v1, 0, 1, s[0:1]
	v_add_u32_e32 v3, v3, v1
; %bb.1801:
	s_or_b64 exec, exec, s[10:11]
	s_mov_b64 s[0:1], 0
	s_mov_b64 s[10:11], -1
	global_store_byte v[6:7], v3, off
.LBB39_1802:
	s_mov_b64 s[12:13], 0
.LBB39_1803:
	s_and_b64 vcc, exec, s[12:13]
	s_cbranch_vccz .LBB39_1806
; %bb.1804:
	v_cmp_eq_u16_e64 s[12:13], s16, 29
	s_mov_b64 s[0:1], -1
	s_and_b64 vcc, exec, s[12:13]
	s_cbranch_vccz .LBB39_1806
; %bb.1805:
	v_trunc_f32_e32 v1, v8
	v_mul_f32_e32 v3, 0x2f800000, v1
	v_floor_f32_e32 v3, v3
	v_fmac_f32_e32 v1, 0xcf800000, v3
	v_cvt_u32_f32_e32 v17, v3
	v_cvt_u32_f32_e32 v16, v1
	s_mov_b64 s[0:1], 0
	s_mov_b64 s[10:11], -1
	s_mov_b64 s[12:13], 0
	global_store_dwordx2 v[6:7], v[16:17], off
	s_branch .LBB39_1807
.LBB39_1806:
	s_mov_b64 s[12:13], 0
.LBB39_1807:
	s_and_b64 vcc, exec, s[12:13]
	s_cbranch_vccz .LBB39_1823
; %bb.1808:
	v_cmp_lt_i16_e64 s[12:13], s16, 27
	s_mov_b64 s[10:11], -1
	s_and_b64 vcc, exec, s[12:13]
	s_cbranch_vccnz .LBB39_1814
; %bb.1809:
	v_cvt_u32_f32_e32 v1, v8
	v_cmp_gt_i16_e64 s[12:13], s16, 27
	s_and_b64 vcc, exec, s[12:13]
	s_cbranch_vccz .LBB39_1811
; %bb.1810:
	s_mov_b64 s[10:11], 0
	global_store_dword v[6:7], v1, off
.LBB39_1811:
	s_andn2_b64 vcc, exec, s[10:11]
	s_cbranch_vccnz .LBB39_1813
; %bb.1812:
	global_store_short v[6:7], v1, off
.LBB39_1813:
	s_mov_b64 s[10:11], 0
.LBB39_1814:
	s_andn2_b64 vcc, exec, s[10:11]
	s_cbranch_vccnz .LBB39_1822
; %bb.1815:
	v_and_b32_e32 v1, 0x7fffffff, v8
	s_mov_b32 s10, 0x43800000
	v_cmp_gt_u32_e32 vcc, s10, v1
	v_mov_b32_e32 v3, 0x80
	s_and_saveexec_b64 s[10:11], vcc
	s_cbranch_execz .LBB39_1821
; %bb.1816:
	s_mov_b32 s12, 0x3bffffff
	v_cmp_lt_u32_e32 vcc, s12, v1
	s_mov_b64 s[12:13], 0
                                        ; implicit-def: $vgpr1
	s_and_saveexec_b64 s[14:15], vcc
	s_xor_b64 s[14:15], exec, s[14:15]
	s_cbranch_execz .LBB39_1917
; %bb.1817:
	v_bfe_u32 v1, v8, 20, 1
	s_mov_b32 s17, 0x487ffff
	v_add3_u32 v1, v8, v1, s17
	s_mov_b64 s[12:13], exec
	v_lshrrev_b32_e32 v1, 20, v1
	s_or_saveexec_b64 s[14:15], s[14:15]
                                        ; implicit-def: $sgpr17
	s_xor_b64 exec, exec, s[14:15]
	s_cbranch_execnz .LBB39_1918
.LBB39_1818:
	s_or_b64 exec, exec, s[14:15]
	v_mov_b32_e32 v3, s17
	s_and_saveexec_b64 s[14:15], s[12:13]
.LBB39_1819:
	v_lshrrev_b32_e32 v3, 24, v8
	s_movk_i32 s12, 0x80
	v_and_or_b32 v3, v3, s12, v1
.LBB39_1820:
	s_or_b64 exec, exec, s[14:15]
.LBB39_1821:
	s_or_b64 exec, exec, s[10:11]
	global_store_byte v[6:7], v3, off
.LBB39_1822:
	s_mov_b64 s[10:11], -1
.LBB39_1823:
	s_mov_b64 s[12:13], 0
.LBB39_1824:
	s_and_b64 vcc, exec, s[12:13]
	s_cbranch_vccz .LBB39_1864
; %bb.1825:
	v_cmp_gt_i16_e64 s[12:13], s16, 22
	s_mov_b64 s[6:7], -1
	s_and_b64 vcc, exec, s[12:13]
	s_cbranch_vccz .LBB39_1857
; %bb.1826:
	v_cmp_lt_i16_e64 s[10:11], s16, 24
	s_and_b64 vcc, exec, s[10:11]
	s_cbranch_vccnz .LBB39_1846
; %bb.1827:
	v_cmp_gt_i16_e64 s[10:11], s16, 24
	s_and_b64 vcc, exec, s[10:11]
	s_cbranch_vccz .LBB39_1835
; %bb.1828:
	v_and_b32_e32 v1, 0x7fffffff, v8
	s_mov_b32 s6, 0x47800000
	v_cmp_gt_u32_e32 vcc, s6, v1
	v_mov_b32_e32 v3, 0x80
	s_and_saveexec_b64 s[6:7], vcc
	s_cbranch_execz .LBB39_1834
; %bb.1829:
	s_mov_b32 s10, 0x37ffffff
	v_cmp_lt_u32_e32 vcc, s10, v1
	s_mov_b64 s[10:11], 0
                                        ; implicit-def: $vgpr1
	s_and_saveexec_b64 s[12:13], vcc
	s_xor_b64 s[12:13], exec, s[12:13]
	s_cbranch_execz .LBB39_1921
; %bb.1830:
	v_bfe_u32 v1, v8, 21, 1
	s_mov_b32 s14, 0x88fffff
	v_add3_u32 v1, v8, v1, s14
	s_mov_b64 s[10:11], exec
	v_lshrrev_b32_e32 v1, 21, v1
	s_or_saveexec_b64 s[12:13], s[12:13]
                                        ; implicit-def: $sgpr14
	s_xor_b64 exec, exec, s[12:13]
	s_cbranch_execnz .LBB39_1922
.LBB39_1831:
	s_or_b64 exec, exec, s[12:13]
	v_mov_b32_e32 v3, s14
	s_and_saveexec_b64 s[12:13], s[10:11]
.LBB39_1832:
	v_lshrrev_b32_e32 v3, 24, v8
	s_movk_i32 s10, 0x80
	v_and_or_b32 v3, v3, s10, v1
.LBB39_1833:
	s_or_b64 exec, exec, s[12:13]
.LBB39_1834:
	s_or_b64 exec, exec, s[6:7]
	s_mov_b64 s[6:7], 0
	global_store_byte v[6:7], v3, off
.LBB39_1835:
	s_and_b64 vcc, exec, s[6:7]
	s_cbranch_vccz .LBB39_1845
; %bb.1836:
	v_and_b32_e32 v3, 0x7fffffff, v8
	s_mov_b32 s6, 0x43f00000
	v_cmp_gt_u32_e32 vcc, s6, v3
                                        ; implicit-def: $vgpr1
	s_and_saveexec_b64 s[6:7], vcc
	s_xor_b64 s[6:7], exec, s[6:7]
	s_cbranch_execz .LBB39_1842
; %bb.1837:
	s_mov_b32 s10, 0x3c7fffff
	v_cmp_lt_u32_e32 vcc, s10, v3
                                        ; implicit-def: $vgpr1
	s_and_saveexec_b64 s[10:11], vcc
	s_xor_b64 s[10:11], exec, s[10:11]
; %bb.1838:
	v_bfe_u32 v1, v8, 20, 1
	s_mov_b32 s12, 0x407ffff
	v_add3_u32 v1, v8, v1, s12
	v_lshrrev_b32_e32 v3, 20, v1
	v_and_b32_e32 v1, 0xff00000, v1
	s_mov_b32 s12, 0x7f00000
	v_mov_b32_e32 v5, 0x7e
	v_cmp_ne_u32_e32 vcc, s12, v1
	v_cndmask_b32_e32 v1, v5, v3, vcc
; %bb.1839:
	s_andn2_saveexec_b64 s[10:11], s[10:11]
; %bb.1840:
	s_mov_b32 s12, 0x46800000
	v_add_f32_e64 v1, |v8|, s12
; %bb.1841:
	s_or_b64 exec, exec, s[10:11]
                                        ; implicit-def: $vgpr3
.LBB39_1842:
	s_andn2_saveexec_b64 s[6:7], s[6:7]
; %bb.1843:
	s_mov_b32 s10, 0x7f800000
	v_mov_b32_e32 v1, 0x7e
	v_mov_b32_e32 v5, 0x7f
	v_cmp_lt_u32_e32 vcc, s10, v3
	v_cndmask_b32_e32 v1, v1, v5, vcc
; %bb.1844:
	s_or_b64 exec, exec, s[6:7]
	v_lshrrev_b32_e32 v3, 24, v8
	s_movk_i32 s6, 0x80
	v_and_or_b32 v1, v3, s6, v1
	global_store_byte v[6:7], v1, off
.LBB39_1845:
	s_mov_b64 s[6:7], 0
.LBB39_1846:
	s_andn2_b64 vcc, exec, s[6:7]
	s_cbranch_vccnz .LBB39_1856
; %bb.1847:
	v_and_b32_e32 v3, 0x7fffffff, v8
	s_mov_b32 s6, 0x47800000
	v_cmp_gt_u32_e32 vcc, s6, v3
                                        ; implicit-def: $vgpr1
	s_and_saveexec_b64 s[6:7], vcc
	s_xor_b64 s[6:7], exec, s[6:7]
	s_cbranch_execz .LBB39_1853
; %bb.1848:
	s_mov_b32 s10, 0x387fffff
	v_cmp_lt_u32_e32 vcc, s10, v3
                                        ; implicit-def: $vgpr1
	s_and_saveexec_b64 s[10:11], vcc
	s_xor_b64 s[10:11], exec, s[10:11]
; %bb.1849:
	v_bfe_u32 v1, v8, 21, 1
	s_mov_b32 s12, 0x80fffff
	v_add3_u32 v1, v8, v1, s12
	v_lshrrev_b32_e32 v1, 21, v1
; %bb.1850:
	s_andn2_saveexec_b64 s[10:11], s[10:11]
; %bb.1851:
	s_mov_b32 s12, 0x43000000
	v_add_f32_e64 v1, |v8|, s12
; %bb.1852:
	s_or_b64 exec, exec, s[10:11]
                                        ; implicit-def: $vgpr3
.LBB39_1853:
	s_andn2_saveexec_b64 s[6:7], s[6:7]
; %bb.1854:
	s_mov_b32 s10, 0x7f800000
	v_mov_b32_e32 v1, 0x7c
	v_mov_b32_e32 v5, 0x7f
	v_cmp_lt_u32_e32 vcc, s10, v3
	v_cndmask_b32_e32 v1, v1, v5, vcc
; %bb.1855:
	s_or_b64 exec, exec, s[6:7]
	v_lshrrev_b32_e32 v3, 24, v8
	s_movk_i32 s6, 0x80
	v_and_or_b32 v1, v3, s6, v1
	global_store_byte v[6:7], v1, off
.LBB39_1856:
	s_mov_b64 s[6:7], 0
	s_mov_b64 s[10:11], -1
.LBB39_1857:
	s_andn2_b64 vcc, exec, s[6:7]
	s_mov_b64 s[6:7], 0
	s_cbranch_vccnz .LBB39_1864
; %bb.1858:
	v_cmp_gt_i16_e64 s[6:7], s16, 14
	s_mov_b64 s[12:13], -1
	s_and_b64 vcc, exec, s[6:7]
	s_cbranch_vccz .LBB39_1862
; %bb.1859:
	v_cmp_eq_u16_e64 s[6:7], s16, 15
	s_mov_b64 s[0:1], -1
	s_and_b64 vcc, exec, s[6:7]
	s_cbranch_vccz .LBB39_1861
; %bb.1860:
	v_bfe_u32 v1, v8, 16, 1
	s_movk_i32 s0, 0x7fff
	v_add3_u32 v1, v8, v1, s0
	v_lshrrev_b32_e32 v1, 16, v1
	v_mov_b32_e32 v3, 0x7fc0
	v_cmp_o_f32_e32 vcc, v8, v8
	v_cndmask_b32_e32 v1, v3, v1, vcc
	global_store_short v[6:7], v1, off
	s_mov_b64 s[0:1], 0
	s_mov_b64 s[10:11], -1
.LBB39_1861:
	s_mov_b64 s[12:13], 0
.LBB39_1862:
	s_mov_b64 s[6:7], 0
	s_and_b64 vcc, exec, s[12:13]
	s_cbranch_vccz .LBB39_1864
; %bb.1863:
	v_cmp_ne_u16_e64 s[0:1], s16, 11
	s_mov_b64 s[6:7], -1
.LBB39_1864:
	s_and_b64 vcc, exec, s[0:1]
	s_cbranch_vccnz .LBB39_1920
; %bb.1865:
	s_andn2_b64 vcc, exec, s[6:7]
	s_cbranch_vccnz .LBB39_1867
.LBB39_1866:
	v_cmp_neq_f32_e32 vcc, 0, v8
	v_cndmask_b32_e64 v1, 0, 1, vcc
	s_mov_b64 s[10:11], -1
	global_store_byte v[6:7], v1, off
.LBB39_1867:
	s_mov_b64 s[0:1], 0
.LBB39_1868:
	s_and_b64 vcc, exec, s[0:1]
	s_cbranch_vccz .LBB39_1907
; %bb.1869:
	v_cmp_lt_i16_e64 s[6:7], s16, 5
	s_mov_b64 s[0:1], -1
	s_and_b64 vcc, exec, s[6:7]
	s_cbranch_vccnz .LBB39_1890
; %bb.1870:
	v_cmp_lt_i16_e64 s[6:7], s16, 8
	s_and_b64 vcc, exec, s[6:7]
	s_cbranch_vccnz .LBB39_1880
; %bb.1871:
	v_cmp_lt_i16_e64 s[6:7], s16, 9
	s_and_b64 vcc, exec, s[6:7]
	s_cbranch_vccnz .LBB39_1877
; %bb.1872:
	v_cmp_gt_i16_e64 s[6:7], s16, 9
	s_and_b64 vcc, exec, s[6:7]
	s_cbranch_vccz .LBB39_1874
; %bb.1873:
	v_mov_b32_e32 v18, 0
	v_cvt_f64_f32_e32 v[16:17], v8
	v_mov_b32_e32 v19, v18
	global_store_dwordx4 v[6:7], v[16:19], off
	s_mov_b64 s[0:1], 0
.LBB39_1874:
	s_andn2_b64 vcc, exec, s[0:1]
	s_cbranch_vccnz .LBB39_1876
; %bb.1875:
	v_mov_b32_e32 v9, 0
	global_store_dwordx2 v[6:7], v[8:9], off
.LBB39_1876:
	s_mov_b64 s[0:1], 0
.LBB39_1877:
	s_andn2_b64 vcc, exec, s[0:1]
	s_cbranch_vccnz .LBB39_1879
; %bb.1878:
	v_cvt_f16_f32_e32 v1, v8
	global_store_dword v[6:7], v1, off
.LBB39_1879:
	s_mov_b64 s[0:1], 0
.LBB39_1880:
	s_andn2_b64 vcc, exec, s[0:1]
	s_cbranch_vccnz .LBB39_1889
; %bb.1881:
	v_cmp_lt_i16_e64 s[6:7], s16, 6
	s_mov_b64 s[0:1], -1
	s_and_b64 vcc, exec, s[6:7]
	s_cbranch_vccnz .LBB39_1887
; %bb.1882:
	v_cmp_gt_i16_e64 s[6:7], s16, 6
	s_and_b64 vcc, exec, s[6:7]
	s_cbranch_vccz .LBB39_1884
; %bb.1883:
	v_cvt_f64_f32_e32 v[16:17], v8
	global_store_dwordx2 v[6:7], v[16:17], off
	s_mov_b64 s[0:1], 0
.LBB39_1884:
	s_andn2_b64 vcc, exec, s[0:1]
	s_cbranch_vccnz .LBB39_1886
; %bb.1885:
	global_store_dword v[6:7], v8, off
.LBB39_1886:
	s_mov_b64 s[0:1], 0
.LBB39_1887:
	s_andn2_b64 vcc, exec, s[0:1]
	s_cbranch_vccnz .LBB39_1889
; %bb.1888:
	v_cvt_f16_f32_e32 v1, v8
	global_store_short v[6:7], v1, off
.LBB39_1889:
	s_mov_b64 s[0:1], 0
.LBB39_1890:
	s_andn2_b64 vcc, exec, s[0:1]
	s_cbranch_vccnz .LBB39_1906
; %bb.1891:
	v_cmp_lt_i16_e64 s[6:7], s16, 2
	s_mov_b64 s[0:1], -1
	s_and_b64 vcc, exec, s[6:7]
	s_cbranch_vccnz .LBB39_1901
; %bb.1892:
	v_cmp_lt_i16_e64 s[6:7], s16, 3
	s_and_b64 vcc, exec, s[6:7]
	s_cbranch_vccnz .LBB39_1898
; %bb.1893:
	v_cmp_gt_i16_e64 s[6:7], s16, 3
	s_and_b64 vcc, exec, s[6:7]
	s_cbranch_vccz .LBB39_1895
; %bb.1894:
	v_trunc_f32_e32 v1, v8
	s_mov_b32 s0, 0x2f800000
	v_mul_f32_e64 v3, |v1|, s0
	v_floor_f32_e32 v3, v3
	s_mov_b32 s0, 0xcf800000
	v_cvt_u32_f32_e32 v5, v3
	v_fma_f32 v3, v3, s0, |v1|
	v_cvt_u32_f32_e32 v3, v3
	v_ashrrev_i32_e32 v1, 31, v1
	v_xor_b32_e32 v5, v5, v1
	s_mov_b64 s[0:1], 0
	v_xor_b32_e32 v3, v3, v1
	v_sub_co_u32_e32 v16, vcc, v3, v1
	v_subb_co_u32_e32 v17, vcc, v5, v1, vcc
	global_store_dwordx2 v[6:7], v[16:17], off
.LBB39_1895:
	s_andn2_b64 vcc, exec, s[0:1]
	s_cbranch_vccnz .LBB39_1897
; %bb.1896:
	v_cvt_i32_f32_e32 v1, v8
	global_store_dword v[6:7], v1, off
.LBB39_1897:
	s_mov_b64 s[0:1], 0
.LBB39_1898:
	s_andn2_b64 vcc, exec, s[0:1]
	s_cbranch_vccnz .LBB39_1900
; %bb.1899:
	v_cvt_i32_f32_e32 v1, v8
	global_store_short v[6:7], v1, off
.LBB39_1900:
	s_mov_b64 s[0:1], 0
.LBB39_1901:
	s_andn2_b64 vcc, exec, s[0:1]
	s_cbranch_vccnz .LBB39_1906
; %bb.1902:
	v_cmp_gt_i16_e64 s[6:7], s16, 0
	s_mov_b64 s[0:1], -1
	s_and_b64 vcc, exec, s[6:7]
	s_cbranch_vccz .LBB39_1904
; %bb.1903:
	v_cvt_i32_f32_e32 v1, v8
	s_mov_b64 s[0:1], 0
	global_store_byte v[6:7], v1, off
.LBB39_1904:
	s_andn2_b64 vcc, exec, s[0:1]
	s_cbranch_vccnz .LBB39_1906
; %bb.1905:
	v_trunc_f32_e32 v1, v8
	s_mov_b32 s0, 0x2f800000
	v_mul_f32_e64 v3, |v1|, s0
	v_floor_f32_e32 v3, v3
	s_mov_b32 s0, 0xcf800000
	v_fma_f32 v3, v3, s0, |v1|
	v_cvt_u32_f32_e32 v3, v3
	v_ashrrev_i32_e32 v1, 31, v1
	v_xor_b32_e32 v3, v3, v1
	v_sub_u32_e32 v1, v3, v1
	global_store_byte v[6:7], v1, off
.LBB39_1906:
	s_mov_b64 s[10:11], -1
.LBB39_1907:
	s_andn2_b64 vcc, exec, s[10:11]
	s_cbranch_vccnz .LBB39_2170
; %bb.1908:
	v_mov_b32_e32 v1, s9
	v_add_co_u32_e32 v4, vcc, s8, v4
	v_addc_co_u32_e32 v5, vcc, 0, v1, vcc
	s_and_b64 vcc, exec, s[4:5]
	s_cbranch_vccnz .LBB39_1915
; %bb.1909:
	v_cmp_gt_i16_e64 s[0:1], s16, 25
	s_mov_b64 s[12:13], -1
	s_mov_b64 s[6:7], 0
	s_and_b64 vcc, exec, s[0:1]
	s_mov_b64 s[10:11], 0
	s_mov_b64 s[0:1], 0
	s_cbranch_vccz .LBB39_1951
; %bb.1910:
	v_cmp_gt_i16_e64 s[0:1], s16, 28
	s_and_b64 vcc, exec, s[0:1]
	s_cbranch_vccz .LBB39_1916
; %bb.1911:
	v_cmp_gt_i16_e64 s[0:1], s16, 43
	s_and_b64 vcc, exec, s[0:1]
	;; [unrolled: 4-line block ×3, first 2 shown]
	s_cbranch_vccz .LBB39_1923
; %bb.1913:
	v_cmp_eq_u16_e64 s[10:11], s16, 46
	s_mov_b64 s[0:1], -1
	s_mov_b64 s[12:13], 0
	s_and_b64 vcc, exec, s[10:11]
	s_mov_b64 s[10:11], 0
	s_cbranch_vccz .LBB39_1924
; %bb.1914:
	v_bfe_u32 v1, v10, 16, 1
	s_movk_i32 s0, 0x7fff
	v_add3_u32 v1, v10, v1, s0
	v_lshrrev_b32_e32 v1, 16, v1
	v_mov_b32_e32 v3, 0x7fc0
	v_cmp_o_f32_e32 vcc, v10, v10
	v_cndmask_b32_e32 v1, v3, v1, vcc
	global_store_dword v[4:5], v1, off
	s_mov_b64 s[0:1], 0
	s_mov_b64 s[10:11], -1
	s_branch .LBB39_1924
.LBB39_1915:
	s_mov_b64 s[0:1], -1
	s_mov_b64 s[10:11], 0
	s_branch .LBB39_1995
.LBB39_1916:
	s_mov_b64 s[0:1], 0
	s_branch .LBB39_1934
.LBB39_1917:
	s_or_saveexec_b64 s[14:15], s[14:15]
                                        ; implicit-def: $sgpr17
	s_xor_b64 exec, exec, s[14:15]
	s_cbranch_execz .LBB39_1818
.LBB39_1918:
	s_mov_b32 s17, 0x46000000
	v_add_f32_e64 v1, |v8|, s17
	v_and_b32_e32 v1, 0xff, v1
	v_cmp_ne_u32_e32 vcc, 0, v1
	s_andn2_b64 s[12:13], s[12:13], exec
	s_and_b64 s[18:19], vcc, exec
	s_mov_b32 s17, 0
	s_or_b64 s[12:13], s[12:13], s[18:19]
	s_or_b64 exec, exec, s[14:15]
	v_mov_b32_e32 v3, s17
	s_and_saveexec_b64 s[14:15], s[12:13]
	s_cbranch_execnz .LBB39_1819
	s_branch .LBB39_1820
.LBB39_1919:
	s_mov_b64 s[0:1], 0
	s_branch .LBB39_1930
.LBB39_1920:
	s_trap 2
	s_or_b64 s[2:3], s[2:3], exec
	s_cbranch_execz .LBB39_1866
	s_branch .LBB39_1867
.LBB39_1921:
	s_or_saveexec_b64 s[12:13], s[12:13]
                                        ; implicit-def: $sgpr14
	s_xor_b64 exec, exec, s[12:13]
	s_cbranch_execz .LBB39_1831
.LBB39_1922:
	s_mov_b32 s14, 0x42800000
	v_add_f32_e64 v1, |v8|, s14
	v_and_b32_e32 v1, 0xff, v1
	v_cmp_ne_u32_e32 vcc, 0, v1
	s_andn2_b64 s[10:11], s[10:11], exec
	s_and_b64 s[18:19], vcc, exec
	s_mov_b32 s14, 0
	s_or_b64 s[10:11], s[10:11], s[18:19]
	s_or_b64 exec, exec, s[12:13]
	v_mov_b32_e32 v3, s14
	s_and_saveexec_b64 s[12:13], s[10:11]
	s_cbranch_execnz .LBB39_1832
	s_branch .LBB39_1833
.LBB39_1923:
	s_mov_b64 s[0:1], 0
.LBB39_1924:
	s_and_b64 vcc, exec, s[12:13]
	s_cbranch_vccz .LBB39_1929
; %bb.1925:
	v_cmp_eq_u16_e64 s[12:13], s16, 44
	s_mov_b64 s[0:1], -1
	s_and_b64 vcc, exec, s[12:13]
	s_cbranch_vccz .LBB39_1929
; %bb.1926:
	v_bfe_u32 v1, v10, 23, 8
	s_movk_i32 s0, 0xff
	v_cmp_ne_u32_e32 vcc, s0, v1
	v_mov_b32_e32 v3, 0xff
	s_and_saveexec_b64 s[10:11], vcc
; %bb.1927:
	s_mov_b32 s0, 0x3fffff
	v_and_b32_e32 v6, 0x400000, v10
	v_and_or_b32 v1, v10, s0, v1
	v_cmp_ne_u32_e32 vcc, 0, v6
	v_cmp_ne_u32_e64 s[0:1], 0, v1
	s_and_b64 s[0:1], vcc, s[0:1]
	v_lshrrev_b32_e32 v3, 23, v10
	v_cndmask_b32_e64 v1, 0, 1, s[0:1]
	v_add_u32_e32 v3, v3, v1
; %bb.1928:
	s_or_b64 exec, exec, s[10:11]
	s_mov_b64 s[0:1], 0
	s_mov_b64 s[10:11], -1
	global_store_byte v[4:5], v3, off
.LBB39_1929:
	s_mov_b64 s[12:13], 0
.LBB39_1930:
	s_and_b64 vcc, exec, s[12:13]
	s_cbranch_vccz .LBB39_1933
; %bb.1931:
	v_cmp_eq_u16_e64 s[12:13], s16, 29
	s_mov_b64 s[0:1], -1
	s_and_b64 vcc, exec, s[12:13]
	s_cbranch_vccz .LBB39_1933
; %bb.1932:
	v_trunc_f32_e32 v1, v10
	v_mul_f32_e32 v3, 0x2f800000, v1
	v_floor_f32_e32 v3, v3
	v_fmac_f32_e32 v1, 0xcf800000, v3
	v_cvt_u32_f32_e32 v7, v3
	v_cvt_u32_f32_e32 v6, v1
	s_mov_b64 s[0:1], 0
	s_mov_b64 s[10:11], -1
	s_mov_b64 s[12:13], 0
	global_store_dwordx2 v[4:5], v[6:7], off
	s_branch .LBB39_1934
.LBB39_1933:
	s_mov_b64 s[12:13], 0
.LBB39_1934:
	s_and_b64 vcc, exec, s[12:13]
	s_cbranch_vccz .LBB39_1950
; %bb.1935:
	v_cmp_lt_i16_e64 s[12:13], s16, 27
	s_mov_b64 s[10:11], -1
	s_and_b64 vcc, exec, s[12:13]
	s_cbranch_vccnz .LBB39_1941
; %bb.1936:
	v_cmp_gt_i16_e64 s[12:13], s16, 27
	s_and_b64 vcc, exec, s[12:13]
	s_cbranch_vccz .LBB39_1938
; %bb.1937:
	v_cvt_u32_f32_e32 v1, v10
	s_mov_b64 s[10:11], 0
	global_store_dword v[4:5], v1, off
.LBB39_1938:
	s_andn2_b64 vcc, exec, s[10:11]
	s_cbranch_vccnz .LBB39_1940
; %bb.1939:
	v_cvt_u32_f32_e32 v1, v10
	global_store_short v[4:5], v1, off
.LBB39_1940:
	s_mov_b64 s[10:11], 0
.LBB39_1941:
	s_andn2_b64 vcc, exec, s[10:11]
	s_cbranch_vccnz .LBB39_1949
; %bb.1942:
	v_and_b32_e32 v1, 0x7fffffff, v10
	s_mov_b32 s10, 0x43800000
	v_cmp_gt_u32_e32 vcc, s10, v1
	v_mov_b32_e32 v3, 0x80
	s_and_saveexec_b64 s[10:11], vcc
	s_cbranch_execz .LBB39_1948
; %bb.1943:
	s_mov_b32 s12, 0x3bffffff
	v_cmp_lt_u32_e32 vcc, s12, v1
	s_mov_b64 s[12:13], 0
                                        ; implicit-def: $vgpr1
	s_and_saveexec_b64 s[14:15], vcc
	s_xor_b64 s[14:15], exec, s[14:15]
	s_cbranch_execz .LBB39_2044
; %bb.1944:
	v_bfe_u32 v1, v10, 20, 1
	s_mov_b32 s17, 0x487ffff
	v_add3_u32 v1, v10, v1, s17
	s_mov_b64 s[12:13], exec
	v_lshrrev_b32_e32 v1, 20, v1
	s_or_saveexec_b64 s[14:15], s[14:15]
                                        ; implicit-def: $sgpr17
	s_xor_b64 exec, exec, s[14:15]
	s_cbranch_execnz .LBB39_2045
.LBB39_1945:
	s_or_b64 exec, exec, s[14:15]
	v_mov_b32_e32 v3, s17
	s_and_saveexec_b64 s[14:15], s[12:13]
.LBB39_1946:
	v_lshrrev_b32_e32 v3, 24, v10
	s_movk_i32 s12, 0x80
	v_and_or_b32 v3, v3, s12, v1
.LBB39_1947:
	s_or_b64 exec, exec, s[14:15]
.LBB39_1948:
	s_or_b64 exec, exec, s[10:11]
	global_store_byte v[4:5], v3, off
.LBB39_1949:
	s_mov_b64 s[10:11], -1
.LBB39_1950:
	s_mov_b64 s[12:13], 0
.LBB39_1951:
	s_and_b64 vcc, exec, s[12:13]
	s_cbranch_vccz .LBB39_1991
; %bb.1952:
	v_cmp_gt_i16_e64 s[12:13], s16, 22
	s_mov_b64 s[6:7], -1
	s_and_b64 vcc, exec, s[12:13]
	s_cbranch_vccz .LBB39_1984
; %bb.1953:
	v_cmp_lt_i16_e64 s[10:11], s16, 24
	s_and_b64 vcc, exec, s[10:11]
	s_cbranch_vccnz .LBB39_1973
; %bb.1954:
	v_cmp_gt_i16_e64 s[10:11], s16, 24
	s_and_b64 vcc, exec, s[10:11]
	s_cbranch_vccz .LBB39_1962
; %bb.1955:
	v_and_b32_e32 v1, 0x7fffffff, v10
	s_mov_b32 s6, 0x47800000
	v_cmp_gt_u32_e32 vcc, s6, v1
	v_mov_b32_e32 v3, 0x80
	s_and_saveexec_b64 s[6:7], vcc
	s_cbranch_execz .LBB39_1961
; %bb.1956:
	s_mov_b32 s10, 0x37ffffff
	v_cmp_lt_u32_e32 vcc, s10, v1
	s_mov_b64 s[10:11], 0
                                        ; implicit-def: $vgpr1
	s_and_saveexec_b64 s[12:13], vcc
	s_xor_b64 s[12:13], exec, s[12:13]
	s_cbranch_execz .LBB39_2048
; %bb.1957:
	v_bfe_u32 v1, v10, 21, 1
	s_mov_b32 s14, 0x88fffff
	v_add3_u32 v1, v10, v1, s14
	s_mov_b64 s[10:11], exec
	v_lshrrev_b32_e32 v1, 21, v1
	s_or_saveexec_b64 s[12:13], s[12:13]
                                        ; implicit-def: $sgpr14
	s_xor_b64 exec, exec, s[12:13]
	s_cbranch_execnz .LBB39_2049
.LBB39_1958:
	s_or_b64 exec, exec, s[12:13]
	v_mov_b32_e32 v3, s14
	s_and_saveexec_b64 s[12:13], s[10:11]
.LBB39_1959:
	v_lshrrev_b32_e32 v3, 24, v10
	s_movk_i32 s10, 0x80
	v_and_or_b32 v3, v3, s10, v1
.LBB39_1960:
	s_or_b64 exec, exec, s[12:13]
.LBB39_1961:
	s_or_b64 exec, exec, s[6:7]
	s_mov_b64 s[6:7], 0
	global_store_byte v[4:5], v3, off
.LBB39_1962:
	s_and_b64 vcc, exec, s[6:7]
	s_cbranch_vccz .LBB39_1972
; %bb.1963:
	v_and_b32_e32 v3, 0x7fffffff, v10
	s_mov_b32 s6, 0x43f00000
	v_cmp_gt_u32_e32 vcc, s6, v3
                                        ; implicit-def: $vgpr1
	s_and_saveexec_b64 s[6:7], vcc
	s_xor_b64 s[6:7], exec, s[6:7]
	s_cbranch_execz .LBB39_1969
; %bb.1964:
	s_mov_b32 s10, 0x3c7fffff
	v_cmp_lt_u32_e32 vcc, s10, v3
                                        ; implicit-def: $vgpr1
	s_and_saveexec_b64 s[10:11], vcc
	s_xor_b64 s[10:11], exec, s[10:11]
; %bb.1965:
	v_bfe_u32 v1, v10, 20, 1
	s_mov_b32 s12, 0x407ffff
	v_add3_u32 v1, v10, v1, s12
	v_lshrrev_b32_e32 v3, 20, v1
	v_and_b32_e32 v1, 0xff00000, v1
	s_mov_b32 s12, 0x7f00000
	v_mov_b32_e32 v6, 0x7e
	v_cmp_ne_u32_e32 vcc, s12, v1
	v_cndmask_b32_e32 v1, v6, v3, vcc
; %bb.1966:
	s_andn2_saveexec_b64 s[10:11], s[10:11]
; %bb.1967:
	s_mov_b32 s12, 0x46800000
	v_add_f32_e64 v1, |v10|, s12
; %bb.1968:
	s_or_b64 exec, exec, s[10:11]
                                        ; implicit-def: $vgpr3
.LBB39_1969:
	s_andn2_saveexec_b64 s[6:7], s[6:7]
; %bb.1970:
	s_mov_b32 s10, 0x7f800000
	v_mov_b32_e32 v1, 0x7e
	v_mov_b32_e32 v6, 0x7f
	v_cmp_lt_u32_e32 vcc, s10, v3
	v_cndmask_b32_e32 v1, v1, v6, vcc
; %bb.1971:
	s_or_b64 exec, exec, s[6:7]
	v_lshrrev_b32_e32 v3, 24, v10
	s_movk_i32 s6, 0x80
	v_and_or_b32 v1, v3, s6, v1
	global_store_byte v[4:5], v1, off
.LBB39_1972:
	s_mov_b64 s[6:7], 0
.LBB39_1973:
	s_andn2_b64 vcc, exec, s[6:7]
	s_cbranch_vccnz .LBB39_1983
; %bb.1974:
	v_and_b32_e32 v3, 0x7fffffff, v10
	s_mov_b32 s6, 0x47800000
	v_cmp_gt_u32_e32 vcc, s6, v3
                                        ; implicit-def: $vgpr1
	s_and_saveexec_b64 s[6:7], vcc
	s_xor_b64 s[6:7], exec, s[6:7]
	s_cbranch_execz .LBB39_1980
; %bb.1975:
	s_mov_b32 s10, 0x387fffff
	v_cmp_lt_u32_e32 vcc, s10, v3
                                        ; implicit-def: $vgpr1
	s_and_saveexec_b64 s[10:11], vcc
	s_xor_b64 s[10:11], exec, s[10:11]
; %bb.1976:
	v_bfe_u32 v1, v10, 21, 1
	s_mov_b32 s12, 0x80fffff
	v_add3_u32 v1, v10, v1, s12
	v_lshrrev_b32_e32 v1, 21, v1
; %bb.1977:
	s_andn2_saveexec_b64 s[10:11], s[10:11]
; %bb.1978:
	s_mov_b32 s12, 0x43000000
	v_add_f32_e64 v1, |v10|, s12
; %bb.1979:
	s_or_b64 exec, exec, s[10:11]
                                        ; implicit-def: $vgpr3
.LBB39_1980:
	s_andn2_saveexec_b64 s[6:7], s[6:7]
; %bb.1981:
	s_mov_b32 s10, 0x7f800000
	v_mov_b32_e32 v1, 0x7c
	v_mov_b32_e32 v6, 0x7f
	v_cmp_lt_u32_e32 vcc, s10, v3
	v_cndmask_b32_e32 v1, v1, v6, vcc
; %bb.1982:
	s_or_b64 exec, exec, s[6:7]
	v_lshrrev_b32_e32 v3, 24, v10
	s_movk_i32 s6, 0x80
	v_and_or_b32 v1, v3, s6, v1
	global_store_byte v[4:5], v1, off
.LBB39_1983:
	s_mov_b64 s[6:7], 0
	s_mov_b64 s[10:11], -1
.LBB39_1984:
	s_andn2_b64 vcc, exec, s[6:7]
	s_mov_b64 s[6:7], 0
	s_cbranch_vccnz .LBB39_1991
; %bb.1985:
	v_cmp_gt_i16_e64 s[6:7], s16, 14
	s_mov_b64 s[12:13], -1
	s_and_b64 vcc, exec, s[6:7]
	s_cbranch_vccz .LBB39_1989
; %bb.1986:
	v_cmp_eq_u16_e64 s[6:7], s16, 15
	s_mov_b64 s[0:1], -1
	s_and_b64 vcc, exec, s[6:7]
	s_cbranch_vccz .LBB39_1988
; %bb.1987:
	v_bfe_u32 v1, v10, 16, 1
	s_movk_i32 s0, 0x7fff
	v_add3_u32 v1, v10, v1, s0
	v_lshrrev_b32_e32 v1, 16, v1
	v_mov_b32_e32 v3, 0x7fc0
	v_cmp_o_f32_e32 vcc, v10, v10
	v_cndmask_b32_e32 v1, v3, v1, vcc
	global_store_short v[4:5], v1, off
	s_mov_b64 s[0:1], 0
	s_mov_b64 s[10:11], -1
.LBB39_1988:
	s_mov_b64 s[12:13], 0
.LBB39_1989:
	s_mov_b64 s[6:7], 0
	s_and_b64 vcc, exec, s[12:13]
	s_cbranch_vccz .LBB39_1991
; %bb.1990:
	v_cmp_ne_u16_e64 s[0:1], s16, 11
	s_mov_b64 s[6:7], -1
.LBB39_1991:
	s_and_b64 vcc, exec, s[0:1]
	s_cbranch_vccnz .LBB39_2047
; %bb.1992:
	s_andn2_b64 vcc, exec, s[6:7]
	s_cbranch_vccnz .LBB39_1994
.LBB39_1993:
	v_cmp_neq_f32_e32 vcc, 0, v10
	v_cndmask_b32_e64 v1, 0, 1, vcc
	s_mov_b64 s[10:11], -1
	global_store_byte v[4:5], v1, off
.LBB39_1994:
	s_mov_b64 s[0:1], 0
.LBB39_1995:
	s_and_b64 vcc, exec, s[0:1]
	s_cbranch_vccz .LBB39_2034
; %bb.1996:
	v_cmp_lt_i16_e64 s[6:7], s16, 5
	s_mov_b64 s[0:1], -1
	s_and_b64 vcc, exec, s[6:7]
	s_cbranch_vccnz .LBB39_2017
; %bb.1997:
	v_cmp_lt_i16_e64 s[6:7], s16, 8
	s_and_b64 vcc, exec, s[6:7]
	s_cbranch_vccnz .LBB39_2007
; %bb.1998:
	v_cmp_lt_i16_e64 s[6:7], s16, 9
	s_and_b64 vcc, exec, s[6:7]
	s_cbranch_vccnz .LBB39_2004
; %bb.1999:
	v_cmp_gt_i16_e64 s[6:7], s16, 9
	s_and_b64 vcc, exec, s[6:7]
	s_cbranch_vccz .LBB39_2001
; %bb.2000:
	v_mov_b32_e32 v8, 0
	v_cvt_f64_f32_e32 v[6:7], v10
	v_mov_b32_e32 v9, v8
	global_store_dwordx4 v[4:5], v[6:9], off
	s_mov_b64 s[0:1], 0
.LBB39_2001:
	s_andn2_b64 vcc, exec, s[0:1]
	s_cbranch_vccnz .LBB39_2003
; %bb.2002:
	v_mov_b32_e32 v11, 0
	global_store_dwordx2 v[4:5], v[10:11], off
.LBB39_2003:
	s_mov_b64 s[0:1], 0
.LBB39_2004:
	s_andn2_b64 vcc, exec, s[0:1]
	s_cbranch_vccnz .LBB39_2006
; %bb.2005:
	v_cvt_f16_f32_e32 v1, v10
	global_store_dword v[4:5], v1, off
.LBB39_2006:
	s_mov_b64 s[0:1], 0
.LBB39_2007:
	s_andn2_b64 vcc, exec, s[0:1]
	s_cbranch_vccnz .LBB39_2016
; %bb.2008:
	v_cmp_lt_i16_e64 s[6:7], s16, 6
	s_mov_b64 s[0:1], -1
	s_and_b64 vcc, exec, s[6:7]
	s_cbranch_vccnz .LBB39_2014
; %bb.2009:
	v_cmp_gt_i16_e64 s[6:7], s16, 6
	s_and_b64 vcc, exec, s[6:7]
	s_cbranch_vccz .LBB39_2011
; %bb.2010:
	v_cvt_f64_f32_e32 v[6:7], v10
	global_store_dwordx2 v[4:5], v[6:7], off
	s_mov_b64 s[0:1], 0
.LBB39_2011:
	s_andn2_b64 vcc, exec, s[0:1]
	s_cbranch_vccnz .LBB39_2013
; %bb.2012:
	global_store_dword v[4:5], v10, off
.LBB39_2013:
	s_mov_b64 s[0:1], 0
.LBB39_2014:
	s_andn2_b64 vcc, exec, s[0:1]
	s_cbranch_vccnz .LBB39_2016
; %bb.2015:
	v_cvt_f16_f32_e32 v1, v10
	global_store_short v[4:5], v1, off
.LBB39_2016:
	s_mov_b64 s[0:1], 0
.LBB39_2017:
	s_andn2_b64 vcc, exec, s[0:1]
	s_cbranch_vccnz .LBB39_2033
; %bb.2018:
	v_cmp_lt_i16_e64 s[6:7], s16, 2
	s_mov_b64 s[0:1], -1
	s_and_b64 vcc, exec, s[6:7]
	s_cbranch_vccnz .LBB39_2028
; %bb.2019:
	v_cmp_lt_i16_e64 s[6:7], s16, 3
	s_and_b64 vcc, exec, s[6:7]
	s_cbranch_vccnz .LBB39_2025
; %bb.2020:
	v_cmp_gt_i16_e64 s[6:7], s16, 3
	s_and_b64 vcc, exec, s[6:7]
	s_cbranch_vccz .LBB39_2022
; %bb.2021:
	v_trunc_f32_e32 v1, v10
	s_mov_b32 s0, 0x2f800000
	v_mul_f32_e64 v3, |v1|, s0
	v_floor_f32_e32 v3, v3
	s_mov_b32 s0, 0xcf800000
	v_cvt_u32_f32_e32 v6, v3
	v_fma_f32 v3, v3, s0, |v1|
	v_cvt_u32_f32_e32 v3, v3
	v_ashrrev_i32_e32 v1, 31, v1
	v_xor_b32_e32 v7, v6, v1
	s_mov_b64 s[0:1], 0
	v_xor_b32_e32 v3, v3, v1
	v_sub_co_u32_e32 v6, vcc, v3, v1
	v_subb_co_u32_e32 v7, vcc, v7, v1, vcc
	global_store_dwordx2 v[4:5], v[6:7], off
.LBB39_2022:
	s_andn2_b64 vcc, exec, s[0:1]
	s_cbranch_vccnz .LBB39_2024
; %bb.2023:
	v_cvt_i32_f32_e32 v1, v10
	global_store_dword v[4:5], v1, off
.LBB39_2024:
	s_mov_b64 s[0:1], 0
.LBB39_2025:
	s_andn2_b64 vcc, exec, s[0:1]
	s_cbranch_vccnz .LBB39_2027
; %bb.2026:
	v_cvt_i32_f32_e32 v1, v10
	global_store_short v[4:5], v1, off
.LBB39_2027:
	s_mov_b64 s[0:1], 0
.LBB39_2028:
	s_andn2_b64 vcc, exec, s[0:1]
	s_cbranch_vccnz .LBB39_2033
; %bb.2029:
	v_cmp_gt_i16_e64 s[6:7], s16, 0
	s_mov_b64 s[0:1], -1
	s_and_b64 vcc, exec, s[6:7]
	s_cbranch_vccz .LBB39_2031
; %bb.2030:
	v_cvt_i32_f32_e32 v1, v10
	s_mov_b64 s[0:1], 0
	global_store_byte v[4:5], v1, off
.LBB39_2031:
	s_andn2_b64 vcc, exec, s[0:1]
	s_cbranch_vccnz .LBB39_2033
; %bb.2032:
	v_trunc_f32_e32 v1, v10
	s_mov_b32 s0, 0x2f800000
	v_mul_f32_e64 v3, |v1|, s0
	v_floor_f32_e32 v3, v3
	s_mov_b32 s0, 0xcf800000
	v_fma_f32 v3, v3, s0, |v1|
	v_cvt_u32_f32_e32 v3, v3
	v_ashrrev_i32_e32 v1, 31, v1
	v_xor_b32_e32 v3, v3, v1
	v_sub_u32_e32 v1, v3, v1
	global_store_byte v[4:5], v1, off
.LBB39_2033:
	s_mov_b64 s[10:11], -1
.LBB39_2034:
	s_andn2_b64 vcc, exec, s[10:11]
	s_cbranch_vccnz .LBB39_2170
; %bb.2035:
	v_mov_b32_e32 v1, s9
	v_add_co_u32_e32 v2, vcc, s8, v2
	v_addc_co_u32_e32 v3, vcc, 0, v1, vcc
	s_and_b64 vcc, exec, s[4:5]
	s_cbranch_vccnz .LBB39_2042
; %bb.2036:
	v_cmp_gt_i16_e64 s[0:1], s16, 25
	s_mov_b64 s[12:13], -1
	s_mov_b64 s[6:7], 0
	s_and_b64 vcc, exec, s[0:1]
	s_mov_b64 s[10:11], 0
	s_mov_b64 s[0:1], 0
	s_cbranch_vccz .LBB39_2078
; %bb.2037:
	v_cmp_gt_i16_e64 s[0:1], s16, 28
	s_and_b64 vcc, exec, s[0:1]
	s_cbranch_vccz .LBB39_2043
; %bb.2038:
	v_cmp_gt_i16_e64 s[0:1], s16, 43
	s_and_b64 vcc, exec, s[0:1]
	;; [unrolled: 4-line block ×3, first 2 shown]
	s_cbranch_vccz .LBB39_2050
; %bb.2040:
	v_cmp_eq_u16_e64 s[10:11], s16, 46
	s_mov_b64 s[0:1], -1
	s_mov_b64 s[12:13], 0
	s_and_b64 vcc, exec, s[10:11]
	s_mov_b64 s[10:11], 0
	s_cbranch_vccz .LBB39_2051
; %bb.2041:
	v_bfe_u32 v1, v14, 16, 1
	s_movk_i32 s0, 0x7fff
	v_add3_u32 v1, v14, v1, s0
	v_lshrrev_b32_e32 v1, 16, v1
	v_mov_b32_e32 v4, 0x7fc0
	v_cmp_o_f32_e32 vcc, v14, v14
	v_cndmask_b32_e32 v1, v4, v1, vcc
	global_store_dword v[2:3], v1, off
	s_mov_b64 s[0:1], 0
	s_mov_b64 s[10:11], -1
	s_branch .LBB39_2051
.LBB39_2042:
	s_mov_b64 s[0:1], -1
	s_mov_b64 s[10:11], 0
	s_branch .LBB39_2122
.LBB39_2043:
	s_mov_b64 s[0:1], 0
	s_branch .LBB39_2061
.LBB39_2044:
	s_or_saveexec_b64 s[14:15], s[14:15]
                                        ; implicit-def: $sgpr17
	s_xor_b64 exec, exec, s[14:15]
	s_cbranch_execz .LBB39_1945
.LBB39_2045:
	s_mov_b32 s17, 0x46000000
	v_add_f32_e64 v1, |v10|, s17
	v_and_b32_e32 v1, 0xff, v1
	v_cmp_ne_u32_e32 vcc, 0, v1
	s_andn2_b64 s[12:13], s[12:13], exec
	s_and_b64 s[18:19], vcc, exec
	s_mov_b32 s17, 0
	s_or_b64 s[12:13], s[12:13], s[18:19]
	s_or_b64 exec, exec, s[14:15]
	v_mov_b32_e32 v3, s17
	s_and_saveexec_b64 s[14:15], s[12:13]
	s_cbranch_execnz .LBB39_1946
	s_branch .LBB39_1947
.LBB39_2046:
	s_mov_b64 s[0:1], 0
	s_branch .LBB39_2057
.LBB39_2047:
	s_trap 2
	s_or_b64 s[2:3], s[2:3], exec
	s_cbranch_execz .LBB39_1993
	s_branch .LBB39_1994
.LBB39_2048:
	s_or_saveexec_b64 s[12:13], s[12:13]
                                        ; implicit-def: $sgpr14
	s_xor_b64 exec, exec, s[12:13]
	s_cbranch_execz .LBB39_1958
.LBB39_2049:
	s_mov_b32 s14, 0x42800000
	v_add_f32_e64 v1, |v10|, s14
	v_and_b32_e32 v1, 0xff, v1
	v_cmp_ne_u32_e32 vcc, 0, v1
	s_andn2_b64 s[10:11], s[10:11], exec
	s_and_b64 s[18:19], vcc, exec
	s_mov_b32 s14, 0
	s_or_b64 s[10:11], s[10:11], s[18:19]
	s_or_b64 exec, exec, s[12:13]
	v_mov_b32_e32 v3, s14
	s_and_saveexec_b64 s[12:13], s[10:11]
	s_cbranch_execnz .LBB39_1959
	s_branch .LBB39_1960
.LBB39_2050:
	s_mov_b64 s[0:1], 0
.LBB39_2051:
	s_and_b64 vcc, exec, s[12:13]
	s_cbranch_vccz .LBB39_2056
; %bb.2052:
	v_cmp_eq_u16_e64 s[12:13], s16, 44
	s_mov_b64 s[0:1], -1
	s_and_b64 vcc, exec, s[12:13]
	s_cbranch_vccz .LBB39_2056
; %bb.2053:
	v_bfe_u32 v1, v14, 23, 8
	s_movk_i32 s0, 0xff
	v_cmp_ne_u32_e32 vcc, s0, v1
	v_mov_b32_e32 v4, 0xff
	s_and_saveexec_b64 s[10:11], vcc
; %bb.2054:
	s_mov_b32 s0, 0x3fffff
	v_and_b32_e32 v5, 0x400000, v14
	v_and_or_b32 v1, v14, s0, v1
	v_cmp_ne_u32_e32 vcc, 0, v5
	v_cmp_ne_u32_e64 s[0:1], 0, v1
	s_and_b64 s[0:1], vcc, s[0:1]
	v_lshrrev_b32_e32 v4, 23, v14
	v_cndmask_b32_e64 v1, 0, 1, s[0:1]
	v_add_u32_e32 v4, v4, v1
; %bb.2055:
	s_or_b64 exec, exec, s[10:11]
	s_mov_b64 s[0:1], 0
	s_mov_b64 s[10:11], -1
	global_store_byte v[2:3], v4, off
.LBB39_2056:
	s_mov_b64 s[12:13], 0
.LBB39_2057:
	s_and_b64 vcc, exec, s[12:13]
	s_cbranch_vccz .LBB39_2060
; %bb.2058:
	v_cmp_eq_u16_e64 s[12:13], s16, 29
	s_mov_b64 s[0:1], -1
	s_and_b64 vcc, exec, s[12:13]
	s_cbranch_vccz .LBB39_2060
; %bb.2059:
	v_trunc_f32_e32 v1, v14
	v_mul_f32_e32 v4, 0x2f800000, v1
	v_floor_f32_e32 v4, v4
	v_fmac_f32_e32 v1, 0xcf800000, v4
	v_cvt_u32_f32_e32 v5, v4
	v_cvt_u32_f32_e32 v4, v1
	s_mov_b64 s[0:1], 0
	s_mov_b64 s[10:11], -1
	s_mov_b64 s[12:13], 0
	global_store_dwordx2 v[2:3], v[4:5], off
	s_branch .LBB39_2061
.LBB39_2060:
	s_mov_b64 s[12:13], 0
.LBB39_2061:
	s_and_b64 vcc, exec, s[12:13]
	s_cbranch_vccz .LBB39_2077
; %bb.2062:
	v_cmp_lt_i16_e64 s[12:13], s16, 27
	s_mov_b64 s[10:11], -1
	s_and_b64 vcc, exec, s[12:13]
	s_cbranch_vccnz .LBB39_2068
; %bb.2063:
	v_cvt_u32_f32_e32 v1, v14
	v_cmp_gt_i16_e64 s[12:13], s16, 27
	s_and_b64 vcc, exec, s[12:13]
	s_cbranch_vccz .LBB39_2065
; %bb.2064:
	s_mov_b64 s[10:11], 0
	global_store_dword v[2:3], v1, off
.LBB39_2065:
	s_andn2_b64 vcc, exec, s[10:11]
	s_cbranch_vccnz .LBB39_2067
; %bb.2066:
	global_store_short v[2:3], v1, off
.LBB39_2067:
	s_mov_b64 s[10:11], 0
.LBB39_2068:
	s_andn2_b64 vcc, exec, s[10:11]
	s_cbranch_vccnz .LBB39_2076
; %bb.2069:
	v_and_b32_e32 v1, 0x7fffffff, v14
	s_mov_b32 s10, 0x43800000
	v_cmp_gt_u32_e32 vcc, s10, v1
	v_mov_b32_e32 v4, 0x80
	s_and_saveexec_b64 s[10:11], vcc
	s_cbranch_execz .LBB39_2075
; %bb.2070:
	s_mov_b32 s12, 0x3bffffff
	v_cmp_lt_u32_e32 vcc, s12, v1
	s_mov_b64 s[12:13], 0
                                        ; implicit-def: $vgpr1
	s_and_saveexec_b64 s[14:15], vcc
	s_xor_b64 s[14:15], exec, s[14:15]
	s_cbranch_execz .LBB39_2173
; %bb.2071:
	v_bfe_u32 v1, v14, 20, 1
	s_mov_b32 s17, 0x487ffff
	v_add3_u32 v1, v14, v1, s17
	s_mov_b64 s[12:13], exec
	v_lshrrev_b32_e32 v1, 20, v1
	s_or_saveexec_b64 s[14:15], s[14:15]
                                        ; implicit-def: $sgpr17
	s_xor_b64 exec, exec, s[14:15]
	s_cbranch_execnz .LBB39_2174
.LBB39_2072:
	s_or_b64 exec, exec, s[14:15]
	v_mov_b32_e32 v4, s17
	s_and_saveexec_b64 s[14:15], s[12:13]
.LBB39_2073:
	v_lshrrev_b32_e32 v4, 24, v14
	s_movk_i32 s12, 0x80
	v_and_or_b32 v4, v4, s12, v1
.LBB39_2074:
	s_or_b64 exec, exec, s[14:15]
.LBB39_2075:
	s_or_b64 exec, exec, s[10:11]
	global_store_byte v[2:3], v4, off
.LBB39_2076:
	s_mov_b64 s[10:11], -1
.LBB39_2077:
	s_mov_b64 s[12:13], 0
.LBB39_2078:
	s_and_b64 vcc, exec, s[12:13]
	s_cbranch_vccz .LBB39_2118
; %bb.2079:
	v_cmp_gt_i16_e64 s[12:13], s16, 22
	s_mov_b64 s[6:7], -1
	s_and_b64 vcc, exec, s[12:13]
	s_cbranch_vccz .LBB39_2111
; %bb.2080:
	v_cmp_lt_i16_e64 s[10:11], s16, 24
	s_and_b64 vcc, exec, s[10:11]
	s_cbranch_vccnz .LBB39_2100
; %bb.2081:
	v_cmp_gt_i16_e64 s[10:11], s16, 24
	s_and_b64 vcc, exec, s[10:11]
	s_cbranch_vccz .LBB39_2089
; %bb.2082:
	v_and_b32_e32 v1, 0x7fffffff, v14
	s_mov_b32 s6, 0x47800000
	v_cmp_gt_u32_e32 vcc, s6, v1
	v_mov_b32_e32 v4, 0x80
	s_and_saveexec_b64 s[6:7], vcc
	s_cbranch_execz .LBB39_2088
; %bb.2083:
	s_mov_b32 s10, 0x37ffffff
	v_cmp_lt_u32_e32 vcc, s10, v1
	s_mov_b64 s[10:11], 0
                                        ; implicit-def: $vgpr1
	s_and_saveexec_b64 s[12:13], vcc
	s_xor_b64 s[12:13], exec, s[12:13]
	s_cbranch_execz .LBB39_2177
; %bb.2084:
	v_bfe_u32 v1, v14, 21, 1
	s_mov_b32 s14, 0x88fffff
	v_add3_u32 v1, v14, v1, s14
	s_mov_b64 s[10:11], exec
	v_lshrrev_b32_e32 v1, 21, v1
	s_or_saveexec_b64 s[12:13], s[12:13]
                                        ; implicit-def: $sgpr14
	s_xor_b64 exec, exec, s[12:13]
	s_cbranch_execnz .LBB39_2178
.LBB39_2085:
	s_or_b64 exec, exec, s[12:13]
	v_mov_b32_e32 v4, s14
	s_and_saveexec_b64 s[12:13], s[10:11]
.LBB39_2086:
	v_lshrrev_b32_e32 v4, 24, v14
	s_movk_i32 s10, 0x80
	v_and_or_b32 v4, v4, s10, v1
.LBB39_2087:
	s_or_b64 exec, exec, s[12:13]
.LBB39_2088:
	s_or_b64 exec, exec, s[6:7]
	s_mov_b64 s[6:7], 0
	global_store_byte v[2:3], v4, off
.LBB39_2089:
	s_and_b64 vcc, exec, s[6:7]
	s_cbranch_vccz .LBB39_2099
; %bb.2090:
	v_and_b32_e32 v4, 0x7fffffff, v14
	s_mov_b32 s6, 0x43f00000
	v_cmp_gt_u32_e32 vcc, s6, v4
                                        ; implicit-def: $vgpr1
	s_and_saveexec_b64 s[6:7], vcc
	s_xor_b64 s[6:7], exec, s[6:7]
	s_cbranch_execz .LBB39_2096
; %bb.2091:
	s_mov_b32 s10, 0x3c7fffff
	v_cmp_lt_u32_e32 vcc, s10, v4
                                        ; implicit-def: $vgpr1
	s_and_saveexec_b64 s[10:11], vcc
	s_xor_b64 s[10:11], exec, s[10:11]
; %bb.2092:
	v_bfe_u32 v1, v14, 20, 1
	s_mov_b32 s12, 0x407ffff
	v_add3_u32 v1, v14, v1, s12
	v_lshrrev_b32_e32 v4, 20, v1
	v_and_b32_e32 v1, 0xff00000, v1
	s_mov_b32 s12, 0x7f00000
	v_mov_b32_e32 v5, 0x7e
	v_cmp_ne_u32_e32 vcc, s12, v1
	v_cndmask_b32_e32 v1, v5, v4, vcc
; %bb.2093:
	s_andn2_saveexec_b64 s[10:11], s[10:11]
; %bb.2094:
	s_mov_b32 s12, 0x46800000
	v_add_f32_e64 v1, |v14|, s12
; %bb.2095:
	s_or_b64 exec, exec, s[10:11]
                                        ; implicit-def: $vgpr4
.LBB39_2096:
	s_andn2_saveexec_b64 s[6:7], s[6:7]
; %bb.2097:
	s_mov_b32 s10, 0x7f800000
	v_mov_b32_e32 v1, 0x7e
	v_mov_b32_e32 v5, 0x7f
	v_cmp_lt_u32_e32 vcc, s10, v4
	v_cndmask_b32_e32 v1, v1, v5, vcc
; %bb.2098:
	s_or_b64 exec, exec, s[6:7]
	v_lshrrev_b32_e32 v4, 24, v14
	s_movk_i32 s6, 0x80
	v_and_or_b32 v1, v4, s6, v1
	global_store_byte v[2:3], v1, off
.LBB39_2099:
	s_mov_b64 s[6:7], 0
.LBB39_2100:
	s_andn2_b64 vcc, exec, s[6:7]
	s_cbranch_vccnz .LBB39_2110
; %bb.2101:
	v_and_b32_e32 v4, 0x7fffffff, v14
	s_mov_b32 s6, 0x47800000
	v_cmp_gt_u32_e32 vcc, s6, v4
                                        ; implicit-def: $vgpr1
	s_and_saveexec_b64 s[6:7], vcc
	s_xor_b64 s[6:7], exec, s[6:7]
	s_cbranch_execz .LBB39_2107
; %bb.2102:
	s_mov_b32 s10, 0x387fffff
	v_cmp_lt_u32_e32 vcc, s10, v4
                                        ; implicit-def: $vgpr1
	s_and_saveexec_b64 s[10:11], vcc
	s_xor_b64 s[10:11], exec, s[10:11]
; %bb.2103:
	v_bfe_u32 v1, v14, 21, 1
	s_mov_b32 s12, 0x80fffff
	v_add3_u32 v1, v14, v1, s12
	v_lshrrev_b32_e32 v1, 21, v1
; %bb.2104:
	s_andn2_saveexec_b64 s[10:11], s[10:11]
; %bb.2105:
	s_mov_b32 s12, 0x43000000
	v_add_f32_e64 v1, |v14|, s12
; %bb.2106:
	s_or_b64 exec, exec, s[10:11]
                                        ; implicit-def: $vgpr4
.LBB39_2107:
	s_andn2_saveexec_b64 s[6:7], s[6:7]
; %bb.2108:
	s_mov_b32 s10, 0x7f800000
	v_mov_b32_e32 v1, 0x7c
	v_mov_b32_e32 v5, 0x7f
	v_cmp_lt_u32_e32 vcc, s10, v4
	v_cndmask_b32_e32 v1, v1, v5, vcc
; %bb.2109:
	s_or_b64 exec, exec, s[6:7]
	v_lshrrev_b32_e32 v4, 24, v14
	s_movk_i32 s6, 0x80
	v_and_or_b32 v1, v4, s6, v1
	global_store_byte v[2:3], v1, off
.LBB39_2110:
	s_mov_b64 s[6:7], 0
	s_mov_b64 s[10:11], -1
.LBB39_2111:
	s_andn2_b64 vcc, exec, s[6:7]
	s_mov_b64 s[6:7], 0
	s_cbranch_vccnz .LBB39_2118
; %bb.2112:
	v_cmp_gt_i16_e64 s[6:7], s16, 14
	s_mov_b64 s[12:13], -1
	s_and_b64 vcc, exec, s[6:7]
	s_cbranch_vccz .LBB39_2116
; %bb.2113:
	v_cmp_eq_u16_e64 s[6:7], s16, 15
	s_mov_b64 s[0:1], -1
	s_and_b64 vcc, exec, s[6:7]
	s_cbranch_vccz .LBB39_2115
; %bb.2114:
	v_bfe_u32 v1, v14, 16, 1
	s_movk_i32 s0, 0x7fff
	v_add3_u32 v1, v14, v1, s0
	v_lshrrev_b32_e32 v1, 16, v1
	v_mov_b32_e32 v4, 0x7fc0
	v_cmp_o_f32_e32 vcc, v14, v14
	v_cndmask_b32_e32 v1, v4, v1, vcc
	global_store_short v[2:3], v1, off
	s_mov_b64 s[0:1], 0
	s_mov_b64 s[10:11], -1
.LBB39_2115:
	s_mov_b64 s[12:13], 0
.LBB39_2116:
	s_mov_b64 s[6:7], 0
	s_and_b64 vcc, exec, s[12:13]
	s_cbranch_vccz .LBB39_2118
; %bb.2117:
	v_cmp_ne_u16_e64 s[0:1], s16, 11
	s_mov_b64 s[6:7], -1
.LBB39_2118:
	s_and_b64 vcc, exec, s[0:1]
	s_cbranch_vccnz .LBB39_2176
; %bb.2119:
	s_andn2_b64 vcc, exec, s[6:7]
	s_cbranch_vccnz .LBB39_2121
.LBB39_2120:
	v_cmp_neq_f32_e32 vcc, 0, v14
	v_cndmask_b32_e64 v1, 0, 1, vcc
	s_mov_b64 s[10:11], -1
	global_store_byte v[2:3], v1, off
.LBB39_2121:
	s_mov_b64 s[0:1], 0
.LBB39_2122:
	s_and_b64 vcc, exec, s[0:1]
	s_cbranch_vccz .LBB39_2161
; %bb.2123:
	v_cmp_lt_i16_e64 s[6:7], s16, 5
	s_mov_b64 s[0:1], -1
	s_and_b64 vcc, exec, s[6:7]
	s_cbranch_vccnz .LBB39_2144
; %bb.2124:
	v_cmp_lt_i16_e64 s[6:7], s16, 8
	s_and_b64 vcc, exec, s[6:7]
	s_cbranch_vccnz .LBB39_2134
; %bb.2125:
	v_cmp_lt_i16_e64 s[6:7], s16, 9
	s_and_b64 vcc, exec, s[6:7]
	s_cbranch_vccnz .LBB39_2131
; %bb.2126:
	v_cmp_gt_i16_e64 s[6:7], s16, 9
	s_and_b64 vcc, exec, s[6:7]
	s_cbranch_vccz .LBB39_2128
; %bb.2127:
	v_mov_b32_e32 v6, 0
	v_cvt_f64_f32_e32 v[4:5], v14
	v_mov_b32_e32 v7, v6
	global_store_dwordx4 v[2:3], v[4:7], off
	s_mov_b64 s[0:1], 0
.LBB39_2128:
	s_andn2_b64 vcc, exec, s[0:1]
	s_cbranch_vccnz .LBB39_2130
; %bb.2129:
	v_mov_b32_e32 v15, 0
	global_store_dwordx2 v[2:3], v[14:15], off
.LBB39_2130:
	s_mov_b64 s[0:1], 0
.LBB39_2131:
	s_andn2_b64 vcc, exec, s[0:1]
	s_cbranch_vccnz .LBB39_2133
; %bb.2132:
	v_cvt_f16_f32_e32 v1, v14
	global_store_dword v[2:3], v1, off
.LBB39_2133:
	s_mov_b64 s[0:1], 0
.LBB39_2134:
	s_andn2_b64 vcc, exec, s[0:1]
	s_cbranch_vccnz .LBB39_2143
; %bb.2135:
	v_cmp_lt_i16_e64 s[6:7], s16, 6
	s_mov_b64 s[0:1], -1
	s_and_b64 vcc, exec, s[6:7]
	s_cbranch_vccnz .LBB39_2141
; %bb.2136:
	v_cmp_gt_i16_e64 s[6:7], s16, 6
	s_and_b64 vcc, exec, s[6:7]
	s_cbranch_vccz .LBB39_2138
; %bb.2137:
	v_cvt_f64_f32_e32 v[4:5], v14
	global_store_dwordx2 v[2:3], v[4:5], off
	s_mov_b64 s[0:1], 0
.LBB39_2138:
	s_andn2_b64 vcc, exec, s[0:1]
	s_cbranch_vccnz .LBB39_2140
; %bb.2139:
	global_store_dword v[2:3], v14, off
.LBB39_2140:
	s_mov_b64 s[0:1], 0
.LBB39_2141:
	s_andn2_b64 vcc, exec, s[0:1]
	s_cbranch_vccnz .LBB39_2143
; %bb.2142:
	v_cvt_f16_f32_e32 v1, v14
	global_store_short v[2:3], v1, off
.LBB39_2143:
	s_mov_b64 s[0:1], 0
.LBB39_2144:
	s_andn2_b64 vcc, exec, s[0:1]
	s_cbranch_vccnz .LBB39_2160
; %bb.2145:
	v_cmp_lt_i16_e64 s[6:7], s16, 2
	s_mov_b64 s[0:1], -1
	s_and_b64 vcc, exec, s[6:7]
	s_cbranch_vccnz .LBB39_2155
; %bb.2146:
	v_cmp_lt_i16_e64 s[6:7], s16, 3
	s_and_b64 vcc, exec, s[6:7]
	s_cbranch_vccnz .LBB39_2152
; %bb.2147:
	v_cmp_gt_i16_e64 s[6:7], s16, 3
	s_and_b64 vcc, exec, s[6:7]
	s_cbranch_vccz .LBB39_2149
; %bb.2148:
	v_trunc_f32_e32 v1, v14
	s_mov_b32 s0, 0x2f800000
	v_mul_f32_e64 v4, |v1|, s0
	v_floor_f32_e32 v4, v4
	s_mov_b32 s0, 0xcf800000
	v_cvt_u32_f32_e32 v5, v4
	v_fma_f32 v4, v4, s0, |v1|
	v_cvt_u32_f32_e32 v4, v4
	v_ashrrev_i32_e32 v1, 31, v1
	v_xor_b32_e32 v5, v5, v1
	s_mov_b64 s[0:1], 0
	v_xor_b32_e32 v4, v4, v1
	v_sub_co_u32_e32 v4, vcc, v4, v1
	v_subb_co_u32_e32 v5, vcc, v5, v1, vcc
	global_store_dwordx2 v[2:3], v[4:5], off
.LBB39_2149:
	s_andn2_b64 vcc, exec, s[0:1]
	s_cbranch_vccnz .LBB39_2151
; %bb.2150:
	v_cvt_i32_f32_e32 v1, v14
	global_store_dword v[2:3], v1, off
.LBB39_2151:
	s_mov_b64 s[0:1], 0
.LBB39_2152:
	s_andn2_b64 vcc, exec, s[0:1]
	s_cbranch_vccnz .LBB39_2154
; %bb.2153:
	v_cvt_i32_f32_e32 v1, v14
	global_store_short v[2:3], v1, off
.LBB39_2154:
	s_mov_b64 s[0:1], 0
.LBB39_2155:
	s_andn2_b64 vcc, exec, s[0:1]
	s_cbranch_vccnz .LBB39_2160
; %bb.2156:
	v_cmp_gt_i16_e64 s[6:7], s16, 0
	s_mov_b64 s[0:1], -1
	s_and_b64 vcc, exec, s[6:7]
	s_cbranch_vccz .LBB39_2158
; %bb.2157:
	v_cvt_i32_f32_e32 v1, v14
	s_mov_b64 s[0:1], 0
	global_store_byte v[2:3], v1, off
.LBB39_2158:
	s_andn2_b64 vcc, exec, s[0:1]
	s_cbranch_vccnz .LBB39_2160
; %bb.2159:
	v_trunc_f32_e32 v1, v14
	s_mov_b32 s0, 0x2f800000
	v_mul_f32_e64 v4, |v1|, s0
	v_floor_f32_e32 v4, v4
	s_mov_b32 s0, 0xcf800000
	v_fma_f32 v4, v4, s0, |v1|
	v_cvt_u32_f32_e32 v4, v4
	v_ashrrev_i32_e32 v1, 31, v1
	v_xor_b32_e32 v4, v4, v1
	v_sub_u32_e32 v1, v4, v1
	global_store_byte v[2:3], v1, off
.LBB39_2160:
	s_mov_b64 s[10:11], -1
.LBB39_2161:
	s_andn2_b64 vcc, exec, s[10:11]
	s_cbranch_vccnz .LBB39_2170
; %bb.2162:
	v_mov_b32_e32 v1, s9
	v_add_co_u32_e32 v0, vcc, s8, v0
	v_addc_co_u32_e32 v1, vcc, 0, v1, vcc
	s_and_b64 vcc, exec, s[4:5]
	s_cbranch_vccnz .LBB39_2171
; %bb.2163:
	v_cmp_gt_i16_e64 s[0:1], s16, 25
	s_mov_b64 s[6:7], -1
	s_mov_b64 s[4:5], 0
	s_and_b64 vcc, exec, s[0:1]
	s_mov_b64 s[0:1], 0
	s_cbranch_vccz .LBB39_2206
; %bb.2164:
	v_cmp_gt_i16_e64 s[0:1], s16, 28
	s_and_b64 vcc, exec, s[0:1]
	s_cbranch_vccz .LBB39_2172
; %bb.2165:
	v_cmp_gt_i16_e64 s[0:1], s16, 43
	s_and_b64 vcc, exec, s[0:1]
	;; [unrolled: 4-line block ×3, first 2 shown]
	s_cbranch_vccz .LBB39_2179
; %bb.2167:
	v_cmp_eq_u16_e64 s[6:7], s16, 46
	s_mov_b64 s[0:1], -1
	s_and_b64 vcc, exec, s[6:7]
	s_cbranch_vccz .LBB39_2169
; %bb.2168:
	v_bfe_u32 v2, v12, 16, 1
	s_movk_i32 s0, 0x7fff
	v_add3_u32 v2, v12, v2, s0
	v_lshrrev_b32_e32 v2, 16, v2
	v_mov_b32_e32 v3, 0x7fc0
	v_cmp_o_f32_e32 vcc, v12, v12
	v_cndmask_b32_e32 v2, v3, v2, vcc
	global_store_dword v[0:1], v2, off
	s_mov_b64 s[0:1], 0
.LBB39_2169:
	s_mov_b64 s[6:7], 0
	s_branch .LBB39_2180
.LBB39_2170:
	s_mov_b64 s[0:1], 0
                                        ; implicit-def: $vgpr0_vgpr1
                                        ; implicit-def: $sgpr16
	s_branch .LBB39_1737
.LBB39_2171:
	s_mov_b64 s[4:5], 0
	s_mov_b64 s[0:1], -1
	s_branch .LBB39_1738
.LBB39_2172:
	s_mov_b64 s[0:1], 0
	s_branch .LBB39_2190
.LBB39_2173:
	s_or_saveexec_b64 s[14:15], s[14:15]
                                        ; implicit-def: $sgpr17
	s_xor_b64 exec, exec, s[14:15]
	s_cbranch_execz .LBB39_2072
.LBB39_2174:
	s_mov_b32 s17, 0x46000000
	v_add_f32_e64 v1, |v14|, s17
	v_and_b32_e32 v1, 0xff, v1
	v_cmp_ne_u32_e32 vcc, 0, v1
	s_andn2_b64 s[12:13], s[12:13], exec
	s_and_b64 s[18:19], vcc, exec
	s_mov_b32 s17, 0
	s_or_b64 s[12:13], s[12:13], s[18:19]
	s_or_b64 exec, exec, s[14:15]
	v_mov_b32_e32 v4, s17
	s_and_saveexec_b64 s[14:15], s[12:13]
	s_cbranch_execnz .LBB39_2073
	s_branch .LBB39_2074
.LBB39_2175:
	s_mov_b64 s[0:1], 0
	s_branch .LBB39_2186
.LBB39_2176:
	s_trap 2
	s_or_b64 s[2:3], s[2:3], exec
	s_cbranch_execz .LBB39_2120
	s_branch .LBB39_2121
.LBB39_2177:
	s_or_saveexec_b64 s[12:13], s[12:13]
                                        ; implicit-def: $sgpr14
	s_xor_b64 exec, exec, s[12:13]
	s_cbranch_execz .LBB39_2085
.LBB39_2178:
	s_mov_b32 s14, 0x42800000
	v_add_f32_e64 v1, |v14|, s14
	v_and_b32_e32 v1, 0xff, v1
	v_cmp_ne_u32_e32 vcc, 0, v1
	s_andn2_b64 s[10:11], s[10:11], exec
	s_and_b64 s[18:19], vcc, exec
	s_mov_b32 s14, 0
	s_or_b64 s[10:11], s[10:11], s[18:19]
	s_or_b64 exec, exec, s[12:13]
	v_mov_b32_e32 v4, s14
	s_and_saveexec_b64 s[12:13], s[10:11]
	s_cbranch_execnz .LBB39_2086
	s_branch .LBB39_2087
.LBB39_2179:
	s_mov_b64 s[0:1], 0
.LBB39_2180:
	s_and_b64 vcc, exec, s[6:7]
	s_cbranch_vccz .LBB39_2185
; %bb.2181:
	v_cmp_eq_u16_e64 s[6:7], s16, 44
	s_mov_b64 s[0:1], -1
	s_and_b64 vcc, exec, s[6:7]
	s_cbranch_vccz .LBB39_2185
; %bb.2182:
	v_bfe_u32 v2, v12, 23, 8
	s_movk_i32 s0, 0xff
	v_cmp_ne_u32_e32 vcc, s0, v2
	v_mov_b32_e32 v3, 0xff
	s_and_saveexec_b64 s[6:7], vcc
; %bb.2183:
	s_mov_b32 s0, 0x3fffff
	v_and_b32_e32 v4, 0x400000, v12
	v_and_or_b32 v2, v12, s0, v2
	v_cmp_ne_u32_e32 vcc, 0, v4
	v_cmp_ne_u32_e64 s[0:1], 0, v2
	s_and_b64 s[0:1], vcc, s[0:1]
	v_lshrrev_b32_e32 v3, 23, v12
	v_cndmask_b32_e64 v2, 0, 1, s[0:1]
	v_add_u32_e32 v3, v3, v2
; %bb.2184:
	s_or_b64 exec, exec, s[6:7]
	s_mov_b64 s[0:1], 0
	global_store_byte v[0:1], v3, off
.LBB39_2185:
	s_mov_b64 s[6:7], 0
.LBB39_2186:
	s_and_b64 vcc, exec, s[6:7]
	s_cbranch_vccz .LBB39_2189
; %bb.2187:
	v_cmp_eq_u16_e64 s[6:7], s16, 29
	s_mov_b64 s[0:1], -1
	s_and_b64 vcc, exec, s[6:7]
	s_cbranch_vccz .LBB39_2189
; %bb.2188:
	v_trunc_f32_e32 v2, v12
	v_mul_f32_e32 v3, 0x2f800000, v2
	v_floor_f32_e32 v4, v3
	v_fmac_f32_e32 v2, 0xcf800000, v4
	v_cvt_u32_f32_e32 v3, v4
	v_cvt_u32_f32_e32 v2, v2
	s_mov_b64 s[0:1], 0
	global_store_dwordx2 v[0:1], v[2:3], off
.LBB39_2189:
	s_mov_b64 s[6:7], 0
.LBB39_2190:
	s_and_b64 vcc, exec, s[6:7]
	s_cbranch_vccz .LBB39_2205
; %bb.2191:
	v_cmp_lt_i16_e64 s[8:9], s16, 27
	s_mov_b64 s[6:7], -1
	s_and_b64 vcc, exec, s[8:9]
	s_cbranch_vccnz .LBB39_2197
; %bb.2192:
	v_cmp_gt_i16_e64 s[8:9], s16, 27
	s_and_b64 vcc, exec, s[8:9]
	s_cbranch_vccz .LBB39_2194
; %bb.2193:
	v_cvt_u32_f32_e32 v2, v12
	s_mov_b64 s[6:7], 0
	global_store_dword v[0:1], v2, off
.LBB39_2194:
	s_andn2_b64 vcc, exec, s[6:7]
	s_cbranch_vccnz .LBB39_2196
; %bb.2195:
	v_cvt_u32_f32_e32 v2, v12
	global_store_short v[0:1], v2, off
.LBB39_2196:
	s_mov_b64 s[6:7], 0
.LBB39_2197:
	s_andn2_b64 vcc, exec, s[6:7]
	s_cbranch_vccnz .LBB39_2205
; %bb.2198:
	v_and_b32_e32 v2, 0x7fffffff, v12
	s_mov_b32 s6, 0x43800000
	v_cmp_gt_u32_e32 vcc, s6, v2
	v_mov_b32_e32 v3, 0x80
	s_and_saveexec_b64 s[6:7], vcc
	s_cbranch_execz .LBB39_2204
; %bb.2199:
	s_mov_b32 s8, 0x3bffffff
	v_cmp_lt_u32_e32 vcc, s8, v2
	s_mov_b64 s[8:9], 0
                                        ; implicit-def: $vgpr2
	s_and_saveexec_b64 s[10:11], vcc
	s_xor_b64 s[10:11], exec, s[10:11]
	s_cbranch_execz .LBB39_2248
; %bb.2200:
	v_bfe_u32 v2, v12, 20, 1
	s_mov_b32 s12, 0x487ffff
	v_add3_u32 v2, v12, v2, s12
	s_mov_b64 s[8:9], exec
	v_lshrrev_b32_e32 v2, 20, v2
	s_or_saveexec_b64 s[10:11], s[10:11]
                                        ; implicit-def: $sgpr12
	s_xor_b64 exec, exec, s[10:11]
	s_cbranch_execnz .LBB39_2249
.LBB39_2201:
	s_or_b64 exec, exec, s[10:11]
	v_mov_b32_e32 v3, s12
	s_and_saveexec_b64 s[10:11], s[8:9]
.LBB39_2202:
	v_lshrrev_b32_e32 v3, 24, v12
	s_movk_i32 s8, 0x80
	v_and_or_b32 v3, v3, s8, v2
.LBB39_2203:
	s_or_b64 exec, exec, s[10:11]
.LBB39_2204:
	s_or_b64 exec, exec, s[6:7]
	global_store_byte v[0:1], v3, off
.LBB39_2205:
	s_mov_b64 s[6:7], 0
.LBB39_2206:
	s_and_b64 vcc, exec, s[6:7]
	s_cbranch_vccz .LBB39_2246
; %bb.2207:
	v_cmp_gt_i16_e64 s[6:7], s16, 22
	s_mov_b64 s[4:5], -1
	s_and_b64 vcc, exec, s[6:7]
	s_cbranch_vccz .LBB39_2239
; %bb.2208:
	v_cmp_lt_i16_e64 s[6:7], s16, 24
	s_and_b64 vcc, exec, s[6:7]
	s_cbranch_vccnz .LBB39_2228
; %bb.2209:
	v_cmp_gt_i16_e64 s[6:7], s16, 24
	s_and_b64 vcc, exec, s[6:7]
	s_cbranch_vccz .LBB39_2217
; %bb.2210:
	v_and_b32_e32 v2, 0x7fffffff, v12
	s_mov_b32 s4, 0x47800000
	v_cmp_gt_u32_e32 vcc, s4, v2
	v_mov_b32_e32 v3, 0x80
	s_and_saveexec_b64 s[4:5], vcc
	s_cbranch_execz .LBB39_2216
; %bb.2211:
	s_mov_b32 s6, 0x37ffffff
	v_cmp_lt_u32_e32 vcc, s6, v2
	s_mov_b64 s[6:7], 0
                                        ; implicit-def: $vgpr2
	s_and_saveexec_b64 s[8:9], vcc
	s_xor_b64 s[8:9], exec, s[8:9]
	s_cbranch_execz .LBB39_2251
; %bb.2212:
	v_bfe_u32 v2, v12, 21, 1
	s_mov_b32 s10, 0x88fffff
	v_add3_u32 v2, v12, v2, s10
	s_mov_b64 s[6:7], exec
	v_lshrrev_b32_e32 v2, 21, v2
	s_or_saveexec_b64 s[8:9], s[8:9]
                                        ; implicit-def: $sgpr10
	s_xor_b64 exec, exec, s[8:9]
	s_cbranch_execnz .LBB39_2252
.LBB39_2213:
	s_or_b64 exec, exec, s[8:9]
	v_mov_b32_e32 v3, s10
	s_and_saveexec_b64 s[8:9], s[6:7]
.LBB39_2214:
	v_lshrrev_b32_e32 v3, 24, v12
	s_movk_i32 s6, 0x80
	v_and_or_b32 v3, v3, s6, v2
.LBB39_2215:
	s_or_b64 exec, exec, s[8:9]
.LBB39_2216:
	s_or_b64 exec, exec, s[4:5]
	s_mov_b64 s[4:5], 0
	global_store_byte v[0:1], v3, off
.LBB39_2217:
	s_and_b64 vcc, exec, s[4:5]
	s_cbranch_vccz .LBB39_2227
; %bb.2218:
	v_and_b32_e32 v3, 0x7fffffff, v12
	s_mov_b32 s4, 0x43f00000
	v_cmp_gt_u32_e32 vcc, s4, v3
                                        ; implicit-def: $vgpr2
	s_and_saveexec_b64 s[4:5], vcc
	s_xor_b64 s[4:5], exec, s[4:5]
	s_cbranch_execz .LBB39_2224
; %bb.2219:
	s_mov_b32 s6, 0x3c7fffff
	v_cmp_lt_u32_e32 vcc, s6, v3
                                        ; implicit-def: $vgpr2
	s_and_saveexec_b64 s[6:7], vcc
	s_xor_b64 s[6:7], exec, s[6:7]
; %bb.2220:
	v_bfe_u32 v2, v12, 20, 1
	s_mov_b32 s8, 0x407ffff
	v_add3_u32 v2, v12, v2, s8
	v_lshrrev_b32_e32 v3, 20, v2
	v_and_b32_e32 v2, 0xff00000, v2
	s_mov_b32 s8, 0x7f00000
	v_mov_b32_e32 v4, 0x7e
	v_cmp_ne_u32_e32 vcc, s8, v2
	v_cndmask_b32_e32 v2, v4, v3, vcc
; %bb.2221:
	s_andn2_saveexec_b64 s[6:7], s[6:7]
; %bb.2222:
	s_mov_b32 s8, 0x46800000
	v_add_f32_e64 v2, |v12|, s8
; %bb.2223:
	s_or_b64 exec, exec, s[6:7]
                                        ; implicit-def: $vgpr3
.LBB39_2224:
	s_andn2_saveexec_b64 s[4:5], s[4:5]
; %bb.2225:
	s_mov_b32 s6, 0x7f800000
	v_mov_b32_e32 v2, 0x7e
	v_mov_b32_e32 v4, 0x7f
	v_cmp_lt_u32_e32 vcc, s6, v3
	v_cndmask_b32_e32 v2, v2, v4, vcc
; %bb.2226:
	s_or_b64 exec, exec, s[4:5]
	v_lshrrev_b32_e32 v3, 24, v12
	s_movk_i32 s4, 0x80
	v_and_or_b32 v2, v3, s4, v2
	global_store_byte v[0:1], v2, off
.LBB39_2227:
	s_mov_b64 s[4:5], 0
.LBB39_2228:
	s_andn2_b64 vcc, exec, s[4:5]
	s_cbranch_vccnz .LBB39_2238
; %bb.2229:
	v_and_b32_e32 v3, 0x7fffffff, v12
	s_mov_b32 s4, 0x47800000
	v_cmp_gt_u32_e32 vcc, s4, v3
                                        ; implicit-def: $vgpr2
	s_and_saveexec_b64 s[4:5], vcc
	s_xor_b64 s[4:5], exec, s[4:5]
	s_cbranch_execz .LBB39_2235
; %bb.2230:
	s_mov_b32 s6, 0x387fffff
	v_cmp_lt_u32_e32 vcc, s6, v3
                                        ; implicit-def: $vgpr2
	s_and_saveexec_b64 s[6:7], vcc
	s_xor_b64 s[6:7], exec, s[6:7]
; %bb.2231:
	v_bfe_u32 v2, v12, 21, 1
	s_mov_b32 s8, 0x80fffff
	v_add3_u32 v2, v12, v2, s8
	v_lshrrev_b32_e32 v2, 21, v2
; %bb.2232:
	s_andn2_saveexec_b64 s[6:7], s[6:7]
; %bb.2233:
	s_mov_b32 s8, 0x43000000
	v_add_f32_e64 v2, |v12|, s8
; %bb.2234:
	s_or_b64 exec, exec, s[6:7]
                                        ; implicit-def: $vgpr3
.LBB39_2235:
	s_andn2_saveexec_b64 s[4:5], s[4:5]
; %bb.2236:
	s_mov_b32 s6, 0x7f800000
	v_mov_b32_e32 v2, 0x7c
	v_mov_b32_e32 v4, 0x7f
	v_cmp_lt_u32_e32 vcc, s6, v3
	v_cndmask_b32_e32 v2, v2, v4, vcc
; %bb.2237:
	s_or_b64 exec, exec, s[4:5]
	v_lshrrev_b32_e32 v3, 24, v12
	s_movk_i32 s4, 0x80
	v_and_or_b32 v2, v3, s4, v2
	global_store_byte v[0:1], v2, off
.LBB39_2238:
	s_mov_b64 s[4:5], 0
.LBB39_2239:
	s_andn2_b64 vcc, exec, s[4:5]
	s_mov_b64 s[4:5], 0
	s_cbranch_vccnz .LBB39_2246
; %bb.2240:
	v_cmp_gt_i16_e64 s[4:5], s16, 14
	s_mov_b64 s[6:7], -1
	s_and_b64 vcc, exec, s[4:5]
	s_cbranch_vccz .LBB39_2244
; %bb.2241:
	v_cmp_eq_u16_e64 s[4:5], s16, 15
	s_mov_b64 s[0:1], -1
	s_and_b64 vcc, exec, s[4:5]
	s_cbranch_vccz .LBB39_2243
; %bb.2242:
	v_bfe_u32 v2, v12, 16, 1
	s_movk_i32 s0, 0x7fff
	v_add3_u32 v2, v12, v2, s0
	v_lshrrev_b32_e32 v2, 16, v2
	v_mov_b32_e32 v3, 0x7fc0
	v_cmp_o_f32_e32 vcc, v12, v12
	v_cndmask_b32_e32 v2, v3, v2, vcc
	global_store_short v[0:1], v2, off
	s_mov_b64 s[0:1], 0
.LBB39_2243:
	s_mov_b64 s[6:7], 0
.LBB39_2244:
	s_mov_b64 s[4:5], 0
	s_and_b64 vcc, exec, s[6:7]
	s_cbranch_vccz .LBB39_2246
; %bb.2245:
	v_cmp_ne_u16_e64 s[0:1], s16, 11
	s_mov_b64 s[4:5], -1
.LBB39_2246:
	s_and_b64 vcc, exec, s[0:1]
	s_cbranch_vccnz .LBB39_2250
.LBB39_2247:
	s_mov_b64 s[0:1], 0
	s_branch .LBB39_1738
.LBB39_2248:
	s_or_saveexec_b64 s[10:11], s[10:11]
                                        ; implicit-def: $sgpr12
	s_xor_b64 exec, exec, s[10:11]
	s_cbranch_execz .LBB39_2201
.LBB39_2249:
	s_mov_b32 s12, 0x46000000
	v_add_f32_e64 v2, |v12|, s12
	v_and_b32_e32 v2, 0xff, v2
	v_cmp_ne_u32_e32 vcc, 0, v2
	s_andn2_b64 s[8:9], s[8:9], exec
	s_and_b64 s[14:15], vcc, exec
	s_mov_b32 s12, 0
	s_or_b64 s[8:9], s[8:9], s[14:15]
	s_or_b64 exec, exec, s[10:11]
	v_mov_b32_e32 v3, s12
	s_and_saveexec_b64 s[10:11], s[8:9]
	s_cbranch_execnz .LBB39_2202
	s_branch .LBB39_2203
.LBB39_2250:
	s_mov_b64 s[4:5], 0
	s_or_b64 s[2:3], s[2:3], exec
	s_trap 2
	s_branch .LBB39_2247
.LBB39_2251:
	s_or_saveexec_b64 s[8:9], s[8:9]
                                        ; implicit-def: $sgpr10
	s_xor_b64 exec, exec, s[8:9]
	s_cbranch_execz .LBB39_2213
.LBB39_2252:
	s_mov_b32 s10, 0x42800000
	v_add_f32_e64 v2, |v12|, s10
	v_and_b32_e32 v2, 0xff, v2
	v_cmp_ne_u32_e32 vcc, 0, v2
	s_andn2_b64 s[6:7], s[6:7], exec
	s_and_b64 s[12:13], vcc, exec
	s_mov_b32 s10, 0
	s_or_b64 s[6:7], s[6:7], s[12:13]
	s_or_b64 exec, exec, s[8:9]
	v_mov_b32_e32 v3, s10
	s_and_saveexec_b64 s[8:9], s[6:7]
	s_cbranch_execnz .LBB39_2214
	s_branch .LBB39_2215
	.section	.rodata,"a",@progbits
	.p2align	6, 0x0
	.amdhsa_kernel _ZN2at6native32elementwise_kernel_manual_unrollILi128ELi4EZNS0_15gpu_kernel_implINS0_13BUnaryFunctorIfffZZZNS0_12_GLOBAL__N_133hermite_polynomial_he_kernel_cudaERNS_18TensorIteratorBaseEENKUlvE_clEvENKUlvE0_clEvEUlffE_EEEEvS6_RKT_EUlibE0_EEviT1_
		.amdhsa_group_segment_fixed_size 0
		.amdhsa_private_segment_fixed_size 0
		.amdhsa_kernarg_size 368
		.amdhsa_user_sgpr_count 6
		.amdhsa_user_sgpr_private_segment_buffer 1
		.amdhsa_user_sgpr_dispatch_ptr 0
		.amdhsa_user_sgpr_queue_ptr 0
		.amdhsa_user_sgpr_kernarg_segment_ptr 1
		.amdhsa_user_sgpr_dispatch_id 0
		.amdhsa_user_sgpr_flat_scratch_init 0
		.amdhsa_user_sgpr_kernarg_preload_length 0
		.amdhsa_user_sgpr_kernarg_preload_offset 0
		.amdhsa_user_sgpr_private_segment_size 0
		.amdhsa_uses_dynamic_stack 0
		.amdhsa_system_sgpr_private_segment_wavefront_offset 0
		.amdhsa_system_sgpr_workgroup_id_x 1
		.amdhsa_system_sgpr_workgroup_id_y 0
		.amdhsa_system_sgpr_workgroup_id_z 0
		.amdhsa_system_sgpr_workgroup_info 0
		.amdhsa_system_vgpr_workitem_id 0
		.amdhsa_next_free_vgpr 20
		.amdhsa_next_free_sgpr 83
		.amdhsa_accum_offset 20
		.amdhsa_reserve_vcc 1
		.amdhsa_reserve_flat_scratch 0
		.amdhsa_float_round_mode_32 0
		.amdhsa_float_round_mode_16_64 0
		.amdhsa_float_denorm_mode_32 3
		.amdhsa_float_denorm_mode_16_64 3
		.amdhsa_dx10_clamp 1
		.amdhsa_ieee_mode 1
		.amdhsa_fp16_overflow 0
		.amdhsa_tg_split 0
		.amdhsa_exception_fp_ieee_invalid_op 0
		.amdhsa_exception_fp_denorm_src 0
		.amdhsa_exception_fp_ieee_div_zero 0
		.amdhsa_exception_fp_ieee_overflow 0
		.amdhsa_exception_fp_ieee_underflow 0
		.amdhsa_exception_fp_ieee_inexact 0
		.amdhsa_exception_int_div_zero 0
	.end_amdhsa_kernel
	.section	.text._ZN2at6native32elementwise_kernel_manual_unrollILi128ELi4EZNS0_15gpu_kernel_implINS0_13BUnaryFunctorIfffZZZNS0_12_GLOBAL__N_133hermite_polynomial_he_kernel_cudaERNS_18TensorIteratorBaseEENKUlvE_clEvENKUlvE0_clEvEUlffE_EEEEvS6_RKT_EUlibE0_EEviT1_,"axG",@progbits,_ZN2at6native32elementwise_kernel_manual_unrollILi128ELi4EZNS0_15gpu_kernel_implINS0_13BUnaryFunctorIfffZZZNS0_12_GLOBAL__N_133hermite_polynomial_he_kernel_cudaERNS_18TensorIteratorBaseEENKUlvE_clEvENKUlvE0_clEvEUlffE_EEEEvS6_RKT_EUlibE0_EEviT1_,comdat
.Lfunc_end39:
	.size	_ZN2at6native32elementwise_kernel_manual_unrollILi128ELi4EZNS0_15gpu_kernel_implINS0_13BUnaryFunctorIfffZZZNS0_12_GLOBAL__N_133hermite_polynomial_he_kernel_cudaERNS_18TensorIteratorBaseEENKUlvE_clEvENKUlvE0_clEvEUlffE_EEEEvS6_RKT_EUlibE0_EEviT1_, .Lfunc_end39-_ZN2at6native32elementwise_kernel_manual_unrollILi128ELi4EZNS0_15gpu_kernel_implINS0_13BUnaryFunctorIfffZZZNS0_12_GLOBAL__N_133hermite_polynomial_he_kernel_cudaERNS_18TensorIteratorBaseEENKUlvE_clEvENKUlvE0_clEvEUlffE_EEEEvS6_RKT_EUlibE0_EEviT1_
                                        ; -- End function
	.section	.AMDGPU.csdata,"",@progbits
; Kernel info:
; codeLenInByte = 42200
; NumSgprs: 87
; NumVgprs: 20
; NumAgprs: 0
; TotalNumVgprs: 20
; ScratchSize: 0
; MemoryBound: 1
; FloatMode: 240
; IeeeMode: 1
; LDSByteSize: 0 bytes/workgroup (compile time only)
; SGPRBlocks: 10
; VGPRBlocks: 2
; NumSGPRsForWavesPerEU: 87
; NumVGPRsForWavesPerEU: 20
; AccumOffset: 20
; Occupancy: 8
; WaveLimiterHint : 1
; COMPUTE_PGM_RSRC2:SCRATCH_EN: 0
; COMPUTE_PGM_RSRC2:USER_SGPR: 6
; COMPUTE_PGM_RSRC2:TRAP_HANDLER: 0
; COMPUTE_PGM_RSRC2:TGID_X_EN: 1
; COMPUTE_PGM_RSRC2:TGID_Y_EN: 0
; COMPUTE_PGM_RSRC2:TGID_Z_EN: 0
; COMPUTE_PGM_RSRC2:TIDIG_COMP_CNT: 0
; COMPUTE_PGM_RSRC3_GFX90A:ACCUM_OFFSET: 4
; COMPUTE_PGM_RSRC3_GFX90A:TG_SPLIT: 0
	.section	.text._ZN2at6native29vectorized_elementwise_kernelILi16ENS0_13BinaryFunctorIfffZZZNS0_12_GLOBAL__N_133hermite_polynomial_he_kernel_cudaERNS_18TensorIteratorBaseEENKUlvE_clEvENKUlvE0_clEvEUlffE_EESt5arrayIPcLm3EEEEviT0_T1_,"axG",@progbits,_ZN2at6native29vectorized_elementwise_kernelILi16ENS0_13BinaryFunctorIfffZZZNS0_12_GLOBAL__N_133hermite_polynomial_he_kernel_cudaERNS_18TensorIteratorBaseEENKUlvE_clEvENKUlvE0_clEvEUlffE_EESt5arrayIPcLm3EEEEviT0_T1_,comdat
	.globl	_ZN2at6native29vectorized_elementwise_kernelILi16ENS0_13BinaryFunctorIfffZZZNS0_12_GLOBAL__N_133hermite_polynomial_he_kernel_cudaERNS_18TensorIteratorBaseEENKUlvE_clEvENKUlvE0_clEvEUlffE_EESt5arrayIPcLm3EEEEviT0_T1_ ; -- Begin function _ZN2at6native29vectorized_elementwise_kernelILi16ENS0_13BinaryFunctorIfffZZZNS0_12_GLOBAL__N_133hermite_polynomial_he_kernel_cudaERNS_18TensorIteratorBaseEENKUlvE_clEvENKUlvE0_clEvEUlffE_EESt5arrayIPcLm3EEEEviT0_T1_
	.p2align	8
	.type	_ZN2at6native29vectorized_elementwise_kernelILi16ENS0_13BinaryFunctorIfffZZZNS0_12_GLOBAL__N_133hermite_polynomial_he_kernel_cudaERNS_18TensorIteratorBaseEENKUlvE_clEvENKUlvE0_clEvEUlffE_EESt5arrayIPcLm3EEEEviT0_T1_,@function
_ZN2at6native29vectorized_elementwise_kernelILi16ENS0_13BinaryFunctorIfffZZZNS0_12_GLOBAL__N_133hermite_polynomial_he_kernel_cudaERNS_18TensorIteratorBaseEENKUlvE_clEvENKUlvE0_clEvEUlffE_EESt5arrayIPcLm3EEEEviT0_T1_: ; @_ZN2at6native29vectorized_elementwise_kernelILi16ENS0_13BinaryFunctorIfffZZZNS0_12_GLOBAL__N_133hermite_polynomial_he_kernel_cudaERNS_18TensorIteratorBaseEENKUlvE_clEvENKUlvE0_clEvEUlffE_EESt5arrayIPcLm3EEEEviT0_T1_
; %bb.0:
	s_load_dword s0, s[4:5], 0x0
	s_load_dwordx4 s[8:11], s[4:5], 0x8
	s_load_dwordx2 s[12:13], s[4:5], 0x18
	s_lshl_b32 s2, s6, 10
	s_waitcnt lgkmcnt(0)
	s_sub_i32 s22, s0, s2
	s_cmpk_gt_i32 s22, 0x3ff
	s_mov_b64 s[0:1], -1
	s_cbranch_scc0 .LBB40_50
; %bb.1:
	s_ashr_i32 s3, s2, 31
	s_lshl_b64 s[0:1], s[2:3], 2
	s_add_u32 s4, s10, s0
	s_addc_u32 s5, s11, s1
	s_add_u32 s6, s12, s0
	v_lshlrev_b32_e32 v1, 4, v0
	s_addc_u32 s7, s13, s1
	global_load_dwordx4 v[6:9], v1, s[6:7]
	global_load_dwordx4 v[2:5], v1, s[4:5]
	s_mov_b32 s3, 0x2f800000
	s_mov_b32 s4, 0xcf800000
	s_waitcnt vmcnt(1)
	v_trunc_f32_e32 v10, v6
	v_mul_f32_e64 v6, |v10|, s3
	v_floor_f32_e32 v6, v6
	v_fma_f32 v11, v6, s4, |v10|
	v_cvt_u32_f32_e32 v11, v11
	v_cvt_u32_f32_e32 v12, v6
	v_ashrrev_i32_e32 v13, 31, v10
	v_mov_b32_e32 v6, 0
	v_xor_b32_e32 v10, v11, v13
	v_xor_b32_e32 v12, v12, v13
	v_sub_co_u32_e32 v10, vcc, v10, v13
	v_subb_co_u32_e32 v11, vcc, v12, v13, vcc
	v_cmp_lt_i64_e32 vcc, -1, v[10:11]
	s_and_saveexec_b64 s[4:5], vcc
	s_cbranch_execz .LBB40_13
; %bb.2:
	v_cmp_lt_i64_e32 vcc, 0, v[10:11]
	v_mov_b32_e32 v6, 1.0
	s_and_saveexec_b64 s[6:7], vcc
	s_cbranch_execz .LBB40_12
; %bb.3:
	v_cmp_ne_u64_e32 vcc, 1, v[10:11]
                                        ; implicit-def: $vgpr6
	s_and_saveexec_b64 s[14:15], vcc
	s_xor_b64 s[14:15], exec, s[14:15]
	s_cbranch_execz .LBB40_9
; %bb.4:
	s_mov_b64 s[16:17], 0x81
	v_cmp_gt_u64_e32 vcc, s[16:17], v[10:11]
	v_mov_b32_e32 v6, 0x7fc00000
	s_and_saveexec_b64 s[16:17], vcc
	s_cbranch_execz .LBB40_8
; %bb.5:
	s_mov_b64 s[20:21], 1
	s_mov_b64 s[18:19], 0
	v_mov_b32_e32 v12, 1.0
	s_waitcnt vmcnt(0)
	v_mov_b32_e32 v6, v2
.LBB40_6:                               ; =>This Inner Loop Header: Depth=1
	s_flbit_i32_b32 s3, s21
	s_min_u32 s3, s3, 32
	s_lshl_b64 s[24:25], s[20:21], s3
	s_min_u32 s23, s24, 1
	s_or_b32 s23, s25, s23
	v_cvt_f32_u32_e32 v13, s23
	s_sub_i32 s3, 32, s3
	s_add_u32 s20, s20, 1
	s_addc_u32 s21, s21, 0
	v_ldexp_f32 v13, v13, s3
	v_cmp_eq_u64_e32 vcc, s[20:21], v[10:11]
	v_mul_f32_e32 v13, v12, v13
	s_or_b64 s[18:19], vcc, s[18:19]
	v_mov_b32_e32 v12, v6
	v_fma_f32 v6, v2, v6, -v13
	s_andn2_b64 exec, exec, s[18:19]
	s_cbranch_execnz .LBB40_6
; %bb.7:
	s_or_b64 exec, exec, s[18:19]
.LBB40_8:
	s_or_b64 exec, exec, s[16:17]
.LBB40_9:
	s_andn2_saveexec_b64 s[14:15], s[14:15]
	s_cbranch_execz .LBB40_11
; %bb.10:
	s_waitcnt vmcnt(0)
	v_mov_b32_e32 v6, v2
.LBB40_11:
	s_or_b64 exec, exec, s[14:15]
.LBB40_12:
	s_or_b64 exec, exec, s[6:7]
.LBB40_13:
	s_or_b64 exec, exec, s[4:5]
	s_waitcnt vmcnt(0)
	v_trunc_f32_e32 v2, v7
	s_mov_b32 s3, 0x2f800000
	v_mul_f32_e64 v7, |v2|, s3
	v_floor_f32_e32 v7, v7
	s_mov_b32 s3, 0xcf800000
	v_cvt_u32_f32_e32 v10, v7
	v_fma_f32 v7, v7, s3, |v2|
	v_cvt_u32_f32_e32 v7, v7
	v_ashrrev_i32_e32 v2, 31, v2
	v_xor_b32_e32 v11, v10, v2
	v_xor_b32_e32 v7, v7, v2
	v_sub_co_u32_e32 v10, vcc, v7, v2
	v_subb_co_u32_e32 v11, vcc, v11, v2, vcc
	v_cmp_lt_i64_e32 vcc, -1, v[10:11]
	v_mov_b32_e32 v7, 0
	s_and_saveexec_b64 s[4:5], vcc
	s_cbranch_execz .LBB40_25
; %bb.14:
	v_cmp_lt_i64_e32 vcc, 0, v[10:11]
	v_mov_b32_e32 v7, 1.0
	s_and_saveexec_b64 s[6:7], vcc
	s_cbranch_execz .LBB40_24
; %bb.15:
	v_cmp_ne_u64_e32 vcc, 1, v[10:11]
	s_and_saveexec_b64 s[14:15], vcc
	s_xor_b64 s[14:15], exec, s[14:15]
	s_cbranch_execz .LBB40_21
; %bb.16:
	s_mov_b64 s[16:17], 0x81
	v_cmp_gt_u64_e32 vcc, s[16:17], v[10:11]
	v_mov_b32_e32 v7, 0x7fc00000
	s_and_saveexec_b64 s[16:17], vcc
	s_cbranch_execz .LBB40_20
; %bb.17:
	s_mov_b64 s[20:21], 1
	s_mov_b64 s[18:19], 0
	v_mov_b32_e32 v2, 1.0
	v_mov_b32_e32 v7, v3
.LBB40_18:                              ; =>This Inner Loop Header: Depth=1
	s_flbit_i32_b32 s3, s21
	s_min_u32 s3, s3, 32
	s_lshl_b64 s[24:25], s[20:21], s3
	s_min_u32 s23, s24, 1
	s_or_b32 s23, s25, s23
	v_cvt_f32_u32_e32 v12, s23
	s_sub_i32 s3, 32, s3
	s_add_u32 s20, s20, 1
	s_addc_u32 s21, s21, 0
	v_ldexp_f32 v12, v12, s3
	v_cmp_eq_u64_e32 vcc, s[20:21], v[10:11]
	v_mul_f32_e32 v12, v2, v12
	s_or_b64 s[18:19], vcc, s[18:19]
	v_mov_b32_e32 v2, v7
	v_fma_f32 v7, v3, v7, -v12
	s_andn2_b64 exec, exec, s[18:19]
	s_cbranch_execnz .LBB40_18
; %bb.19:
	s_or_b64 exec, exec, s[18:19]
.LBB40_20:
	s_or_b64 exec, exec, s[16:17]
.LBB40_21:
	s_andn2_saveexec_b64 s[14:15], s[14:15]
; %bb.22:
	v_mov_b32_e32 v7, v3
; %bb.23:
	s_or_b64 exec, exec, s[14:15]
.LBB40_24:
	s_or_b64 exec, exec, s[6:7]
.LBB40_25:
	s_or_b64 exec, exec, s[4:5]
	v_trunc_f32_e32 v2, v8
	s_mov_b32 s3, 0x2f800000
	v_mul_f32_e64 v3, |v2|, s3
	v_floor_f32_e32 v3, v3
	s_mov_b32 s3, 0xcf800000
	v_cvt_u32_f32_e32 v8, v3
	v_fma_f32 v3, v3, s3, |v2|
	v_cvt_u32_f32_e32 v3, v3
	v_ashrrev_i32_e32 v10, 31, v2
	v_xor_b32_e32 v8, v8, v10
	v_xor_b32_e32 v2, v3, v10
	v_sub_co_u32_e32 v2, vcc, v2, v10
	v_subb_co_u32_e32 v3, vcc, v8, v10, vcc
	v_cmp_lt_i64_e32 vcc, -1, v[2:3]
	v_mov_b32_e32 v8, 0
	s_and_saveexec_b64 s[4:5], vcc
	s_cbranch_execz .LBB40_37
; %bb.26:
	v_cmp_lt_i64_e32 vcc, 0, v[2:3]
	v_mov_b32_e32 v8, 1.0
	s_and_saveexec_b64 s[6:7], vcc
	s_cbranch_execz .LBB40_36
; %bb.27:
	v_cmp_ne_u64_e32 vcc, 1, v[2:3]
	s_and_saveexec_b64 s[14:15], vcc
	s_xor_b64 s[14:15], exec, s[14:15]
	s_cbranch_execz .LBB40_33
; %bb.28:
	s_mov_b64 s[16:17], 0x81
	v_cmp_gt_u64_e32 vcc, s[16:17], v[2:3]
	v_mov_b32_e32 v8, 0x7fc00000
	s_and_saveexec_b64 s[16:17], vcc
	s_cbranch_execz .LBB40_32
; %bb.29:
	s_mov_b64 s[20:21], 1
	s_mov_b64 s[18:19], 0
	v_mov_b32_e32 v10, 1.0
	v_mov_b32_e32 v8, v4
.LBB40_30:                              ; =>This Inner Loop Header: Depth=1
	s_flbit_i32_b32 s3, s21
	s_min_u32 s3, s3, 32
	s_lshl_b64 s[24:25], s[20:21], s3
	s_min_u32 s23, s24, 1
	s_or_b32 s23, s25, s23
	v_cvt_f32_u32_e32 v11, s23
	s_sub_i32 s3, 32, s3
	s_add_u32 s20, s20, 1
	s_addc_u32 s21, s21, 0
	v_ldexp_f32 v11, v11, s3
	v_cmp_eq_u64_e32 vcc, s[20:21], v[2:3]
	v_mul_f32_e32 v11, v10, v11
	s_or_b64 s[18:19], vcc, s[18:19]
	v_mov_b32_e32 v10, v8
	v_fma_f32 v8, v4, v8, -v11
	s_andn2_b64 exec, exec, s[18:19]
	s_cbranch_execnz .LBB40_30
; %bb.31:
	s_or_b64 exec, exec, s[18:19]
.LBB40_32:
	s_or_b64 exec, exec, s[16:17]
.LBB40_33:
	s_andn2_saveexec_b64 s[14:15], s[14:15]
; %bb.34:
	v_mov_b32_e32 v8, v4
; %bb.35:
	s_or_b64 exec, exec, s[14:15]
.LBB40_36:
	s_or_b64 exec, exec, s[6:7]
.LBB40_37:
	s_or_b64 exec, exec, s[4:5]
	v_trunc_f32_e32 v2, v9
	s_mov_b32 s3, 0x2f800000
	v_mul_f32_e64 v3, |v2|, s3
	v_floor_f32_e32 v3, v3
	s_mov_b32 s3, 0xcf800000
	v_cvt_u32_f32_e32 v4, v3
	v_fma_f32 v3, v3, s3, |v2|
	v_cvt_u32_f32_e32 v3, v3
	v_ashrrev_i32_e32 v9, 31, v2
	v_xor_b32_e32 v4, v4, v9
	v_xor_b32_e32 v2, v3, v9
	v_sub_co_u32_e32 v2, vcc, v2, v9
	v_subb_co_u32_e32 v3, vcc, v4, v9, vcc
	v_cmp_lt_i64_e32 vcc, -1, v[2:3]
	v_mov_b32_e32 v9, 0
	s_and_saveexec_b64 s[4:5], vcc
	s_cbranch_execz .LBB40_49
; %bb.38:
	v_cmp_lt_i64_e32 vcc, 0, v[2:3]
	v_mov_b32_e32 v9, 1.0
	s_and_saveexec_b64 s[6:7], vcc
	s_cbranch_execz .LBB40_48
; %bb.39:
	v_cmp_ne_u64_e32 vcc, 1, v[2:3]
	s_and_saveexec_b64 s[14:15], vcc
	s_xor_b64 s[14:15], exec, s[14:15]
	s_cbranch_execz .LBB40_45
; %bb.40:
	s_mov_b64 s[16:17], 0x81
	v_cmp_gt_u64_e32 vcc, s[16:17], v[2:3]
	v_mov_b32_e32 v9, 0x7fc00000
	s_and_saveexec_b64 s[16:17], vcc
	s_cbranch_execz .LBB40_44
; %bb.41:
	s_mov_b64 s[20:21], 1
	s_mov_b64 s[18:19], 0
	v_mov_b32_e32 v4, 1.0
	v_mov_b32_e32 v9, v5
.LBB40_42:                              ; =>This Inner Loop Header: Depth=1
	s_flbit_i32_b32 s3, s21
	s_min_u32 s3, s3, 32
	s_lshl_b64 s[24:25], s[20:21], s3
	s_min_u32 s23, s24, 1
	s_or_b32 s23, s25, s23
	v_cvt_f32_u32_e32 v10, s23
	s_sub_i32 s3, 32, s3
	s_add_u32 s20, s20, 1
	s_addc_u32 s21, s21, 0
	v_ldexp_f32 v10, v10, s3
	v_cmp_eq_u64_e32 vcc, s[20:21], v[2:3]
	v_mul_f32_e32 v10, v4, v10
	s_or_b64 s[18:19], vcc, s[18:19]
	v_mov_b32_e32 v4, v9
	v_fma_f32 v9, v5, v9, -v10
	s_andn2_b64 exec, exec, s[18:19]
	s_cbranch_execnz .LBB40_42
; %bb.43:
	s_or_b64 exec, exec, s[18:19]
.LBB40_44:
	s_or_b64 exec, exec, s[16:17]
                                        ; implicit-def: $vgpr5
.LBB40_45:
	s_andn2_saveexec_b64 s[14:15], s[14:15]
; %bb.46:
	v_mov_b32_e32 v9, v5
; %bb.47:
	s_or_b64 exec, exec, s[14:15]
.LBB40_48:
	s_or_b64 exec, exec, s[6:7]
.LBB40_49:
	s_or_b64 exec, exec, s[4:5]
	s_add_u32 s0, s8, s0
	s_addc_u32 s1, s9, s1
	global_store_dwordx4 v1, v[6:9], s[0:1]
	s_mov_b64 s[0:1], 0
.LBB40_50:
	s_and_b64 vcc, exec, s[0:1]
	s_cbranch_vccz .LBB40_107
; %bb.51:
	v_cmp_gt_i32_e32 vcc, s22, v0
	v_mov_b32_e32 v12, 0
	v_or_b32_e32 v6, s2, v0
	v_mov_b32_e32 v8, 0
	v_mov_b32_e32 v11, 0
	;; [unrolled: 1-line block ×3, first 2 shown]
	s_and_saveexec_b64 s[4:5], vcc
	s_cbranch_execz .LBB40_53
; %bb.52:
	v_mov_b32_e32 v7, 0
	v_lshlrev_b64 v[2:3], 2, v[6:7]
	v_mov_b32_e32 v1, s13
	v_add_co_u32_e64 v4, s[0:1], s12, v2
	v_addc_co_u32_e64 v5, s[0:1], v1, v3, s[0:1]
	v_mov_b32_e32 v1, s11
	v_add_co_u32_e64 v2, s[0:1], s10, v2
	v_addc_co_u32_e64 v3, s[0:1], v1, v3, s[0:1]
	global_load_dword v8, v[2:3], off
	global_load_dword v11, v[4:5], off
	v_or_b32_e32 v2, 0x100, v0
.LBB40_53:
	s_or_b64 exec, exec, s[4:5]
	v_cmp_gt_i32_e64 s[0:1], s22, v2
	v_mov_b32_e32 v9, 0
	s_and_saveexec_b64 s[4:5], s[0:1]
	s_cbranch_execz .LBB40_55
; %bb.54:
	v_add_u32_e32 v4, s2, v2
	v_mov_b32_e32 v5, 0
	v_lshlrev_b64 v[4:5], 2, v[4:5]
	v_mov_b32_e32 v1, s13
	v_add_co_u32_e64 v14, s[0:1], s12, v4
	v_addc_co_u32_e64 v15, s[0:1], v1, v5, s[0:1]
	v_mov_b32_e32 v1, s11
	v_add_co_u32_e64 v4, s[0:1], s10, v4
	v_addc_co_u32_e64 v5, s[0:1], v1, v5, s[0:1]
	global_load_dword v12, v[4:5], off
	global_load_dword v9, v[14:15], off
	v_add_u32_e32 v2, 0x100, v2
.LBB40_55:
	s_or_b64 exec, exec, s[4:5]
	v_cmp_gt_i32_e64 s[0:1], s22, v2
	v_mov_b32_e32 v1, 0
	v_mov_b32_e32 v7, 0
	;; [unrolled: 1-line block ×3, first 2 shown]
	s_and_saveexec_b64 s[4:5], s[0:1]
	s_cbranch_execz .LBB40_57
; %bb.56:
	v_add_u32_e32 v4, s2, v2
	v_mov_b32_e32 v5, 0
	v_lshlrev_b64 v[4:5], 2, v[4:5]
	v_mov_b32_e32 v3, s13
	v_add_co_u32_e64 v14, s[0:1], s12, v4
	v_addc_co_u32_e64 v15, s[0:1], v3, v5, s[0:1]
	v_mov_b32_e32 v3, s11
	v_add_co_u32_e64 v4, s[0:1], s10, v4
	v_addc_co_u32_e64 v5, s[0:1], v3, v5, s[0:1]
	global_load_dword v7, v[4:5], off
	global_load_dword v13, v[14:15], off
	v_add_u32_e32 v2, 0x100, v2
.LBB40_57:
	s_or_b64 exec, exec, s[4:5]
	v_cmp_gt_i32_e64 s[0:1], s22, v2
	v_mov_b32_e32 v10, 0
	s_and_saveexec_b64 s[4:5], s[0:1]
	s_cbranch_execz .LBB40_59
; %bb.58:
	v_add_u32_e32 v2, s2, v2
	v_mov_b32_e32 v3, 0
	v_lshlrev_b64 v[2:3], 2, v[2:3]
	v_mov_b32_e32 v1, s13
	v_add_co_u32_e64 v4, s[0:1], s12, v2
	v_addc_co_u32_e64 v5, s[0:1], v1, v3, s[0:1]
	v_mov_b32_e32 v1, s11
	v_add_co_u32_e64 v2, s[0:1], s10, v2
	v_addc_co_u32_e64 v3, s[0:1], v1, v3, s[0:1]
	global_load_dword v1, v[2:3], off
	global_load_dword v10, v[4:5], off
.LBB40_59:
	s_or_b64 exec, exec, s[4:5]
                                        ; implicit-def: $vgpr2_vgpr3_vgpr4_vgpr5
	s_and_saveexec_b64 s[4:5], vcc
	s_cbranch_execz .LBB40_73
; %bb.60:
	s_waitcnt vmcnt(0)
	v_trunc_f32_e32 v2, v11
	s_mov_b32 s0, 0x2f800000
	v_mul_f32_e64 v3, |v2|, s0
	v_floor_f32_e32 v3, v3
	s_mov_b32 s0, 0xcf800000
	v_cvt_u32_f32_e32 v4, v3
	v_fma_f32 v3, v3, s0, |v2|
	v_cvt_u32_f32_e32 v3, v3
	v_ashrrev_i32_e32 v2, 31, v2
	v_xor_b32_e32 v5, v4, v2
	v_xor_b32_e32 v3, v3, v2
	v_sub_co_u32_e64 v4, s[0:1], v3, v2
	v_subb_co_u32_e64 v5, s[0:1], v5, v2, s[0:1]
	v_cmp_lt_i64_e64 s[0:1], -1, v[4:5]
	v_mov_b32_e32 v2, 0
	s_and_saveexec_b64 s[6:7], s[0:1]
	s_cbranch_execz .LBB40_72
; %bb.61:
	v_cmp_lt_i64_e64 s[0:1], 0, v[4:5]
	v_mov_b32_e32 v2, 1.0
	s_and_saveexec_b64 s[10:11], s[0:1]
	s_cbranch_execz .LBB40_71
; %bb.62:
	v_cmp_ne_u64_e64 s[0:1], 1, v[4:5]
                                        ; implicit-def: $vgpr2
	s_and_saveexec_b64 s[12:13], s[0:1]
	s_xor_b64 s[12:13], exec, s[12:13]
	s_cbranch_execz .LBB40_68
; %bb.63:
	s_mov_b64 s[0:1], 0x81
	v_cmp_gt_u64_e64 s[0:1], s[0:1], v[4:5]
	v_mov_b32_e32 v2, 0x7fc00000
	s_and_saveexec_b64 s[14:15], s[0:1]
	s_cbranch_execz .LBB40_67
; %bb.64:
	s_mov_b64 s[18:19], 1
	s_mov_b64 s[16:17], 0
	v_mov_b32_e32 v3, 1.0
	v_mov_b32_e32 v2, v8
.LBB40_65:                              ; =>This Inner Loop Header: Depth=1
	s_flbit_i32_b32 s0, s19
	s_min_u32 s3, s0, 32
	s_lshl_b64 s[0:1], s[18:19], s3
	s_min_u32 s0, s0, 1
	s_or_b32 s0, s1, s0
	v_cvt_f32_u32_e32 v11, s0
	s_sub_i32 s3, 32, s3
	s_add_u32 s18, s18, 1
	s_addc_u32 s19, s19, 0
	v_ldexp_f32 v11, v11, s3
	v_cmp_eq_u64_e64 s[0:1], s[18:19], v[4:5]
	v_mul_f32_e32 v11, v3, v11
	s_or_b64 s[16:17], s[0:1], s[16:17]
	v_mov_b32_e32 v3, v2
	v_fma_f32 v2, v8, v2, -v11
	s_andn2_b64 exec, exec, s[16:17]
	s_cbranch_execnz .LBB40_65
; %bb.66:
	s_or_b64 exec, exec, s[16:17]
.LBB40_67:
	s_or_b64 exec, exec, s[14:15]
                                        ; implicit-def: $vgpr8
.LBB40_68:
	s_andn2_saveexec_b64 s[0:1], s[12:13]
; %bb.69:
	v_mov_b32_e32 v2, v8
; %bb.70:
	s_or_b64 exec, exec, s[0:1]
.LBB40_71:
	s_or_b64 exec, exec, s[10:11]
.LBB40_72:
	s_or_b64 exec, exec, s[6:7]
.LBB40_73:
	s_or_b64 exec, exec, s[4:5]
	s_waitcnt vmcnt(0)
	v_or_b32_e32 v11, 0x100, v0
	v_cmp_gt_i32_e64 s[0:1], s22, v11
	s_and_saveexec_b64 s[4:5], s[0:1]
	s_cbranch_execz .LBB40_87
; %bb.74:
	v_trunc_f32_e32 v3, v9
	s_mov_b32 s0, 0x2f800000
	v_mul_f32_e64 v8, |v3|, s0
	v_floor_f32_e32 v8, v8
	s_mov_b32 s0, 0xcf800000
	v_cvt_u32_f32_e32 v9, v8
	v_fma_f32 v8, v8, s0, |v3|
	v_cvt_u32_f32_e32 v8, v8
	v_ashrrev_i32_e32 v3, 31, v3
	v_xor_b32_e32 v9, v9, v3
	v_xor_b32_e32 v8, v8, v3
	v_sub_co_u32_e64 v8, s[0:1], v8, v3
	v_subb_co_u32_e64 v9, s[0:1], v9, v3, s[0:1]
	v_cmp_lt_i64_e64 s[0:1], -1, v[8:9]
	v_mov_b32_e32 v3, 0
	s_and_saveexec_b64 s[6:7], s[0:1]
	s_cbranch_execz .LBB40_86
; %bb.75:
	v_cmp_lt_i64_e64 s[0:1], 0, v[8:9]
	v_mov_b32_e32 v3, 1.0
	s_and_saveexec_b64 s[10:11], s[0:1]
	s_cbranch_execz .LBB40_85
; %bb.76:
	v_cmp_ne_u64_e64 s[0:1], 1, v[8:9]
	s_and_saveexec_b64 s[12:13], s[0:1]
	s_xor_b64 s[12:13], exec, s[12:13]
	s_cbranch_execz .LBB40_82
; %bb.77:
	s_mov_b64 s[0:1], 0x81
	v_cmp_gt_u64_e64 s[0:1], s[0:1], v[8:9]
	v_mov_b32_e32 v3, 0x7fc00000
	s_and_saveexec_b64 s[14:15], s[0:1]
	s_cbranch_execz .LBB40_81
; %bb.78:
	s_mov_b64 s[18:19], 1
	s_mov_b64 s[16:17], 0
	v_mov_b32_e32 v14, 1.0
	v_mov_b32_e32 v3, v12
.LBB40_79:                              ; =>This Inner Loop Header: Depth=1
	s_flbit_i32_b32 s0, s19
	s_min_u32 s3, s0, 32
	s_lshl_b64 s[0:1], s[18:19], s3
	s_min_u32 s0, s0, 1
	s_or_b32 s0, s1, s0
	v_cvt_f32_u32_e32 v15, s0
	s_sub_i32 s3, 32, s3
	s_add_u32 s18, s18, 1
	s_addc_u32 s19, s19, 0
	v_ldexp_f32 v15, v15, s3
	v_cmp_eq_u64_e64 s[0:1], s[18:19], v[8:9]
	v_mul_f32_e32 v15, v14, v15
	s_or_b64 s[16:17], s[0:1], s[16:17]
	v_mov_b32_e32 v14, v3
	v_fma_f32 v3, v12, v3, -v15
	s_andn2_b64 exec, exec, s[16:17]
	s_cbranch_execnz .LBB40_79
; %bb.80:
	s_or_b64 exec, exec, s[16:17]
.LBB40_81:
	s_or_b64 exec, exec, s[14:15]
                                        ; implicit-def: $vgpr12
.LBB40_82:
	s_andn2_saveexec_b64 s[0:1], s[12:13]
; %bb.83:
	v_mov_b32_e32 v3, v12
; %bb.84:
	s_or_b64 exec, exec, s[0:1]
.LBB40_85:
	s_or_b64 exec, exec, s[10:11]
.LBB40_86:
	s_or_b64 exec, exec, s[6:7]
.LBB40_87:
	s_or_b64 exec, exec, s[4:5]
	v_or_b32_e32 v8, 0x200, v0
	v_cmp_gt_i32_e64 s[0:1], s22, v8
	s_and_saveexec_b64 s[4:5], s[0:1]
	s_cbranch_execz .LBB40_101
; %bb.88:
	v_trunc_f32_e32 v4, v13
	s_mov_b32 s0, 0x2f800000
	v_mul_f32_e64 v8, |v4|, s0
	v_floor_f32_e32 v8, v8
	s_mov_b32 s0, 0xcf800000
	v_cvt_u32_f32_e32 v9, v8
	v_fma_f32 v8, v8, s0, |v4|
	v_cvt_u32_f32_e32 v8, v8
	v_ashrrev_i32_e32 v4, 31, v4
	v_xor_b32_e32 v9, v9, v4
	v_xor_b32_e32 v8, v8, v4
	v_sub_co_u32_e64 v8, s[0:1], v8, v4
	v_subb_co_u32_e64 v9, s[0:1], v9, v4, s[0:1]
	v_cmp_lt_i64_e64 s[0:1], -1, v[8:9]
	v_mov_b32_e32 v4, 0
	s_and_saveexec_b64 s[6:7], s[0:1]
	s_cbranch_execz .LBB40_100
; %bb.89:
	v_cmp_lt_i64_e64 s[0:1], 0, v[8:9]
	v_mov_b32_e32 v4, 1.0
	s_and_saveexec_b64 s[10:11], s[0:1]
	s_cbranch_execz .LBB40_99
; %bb.90:
	v_cmp_ne_u64_e64 s[0:1], 1, v[8:9]
	s_and_saveexec_b64 s[12:13], s[0:1]
	s_xor_b64 s[12:13], exec, s[12:13]
	s_cbranch_execz .LBB40_96
; %bb.91:
	s_mov_b64 s[0:1], 0x81
	v_cmp_gt_u64_e64 s[0:1], s[0:1], v[8:9]
	v_mov_b32_e32 v4, 0x7fc00000
	s_and_saveexec_b64 s[14:15], s[0:1]
	s_cbranch_execz .LBB40_95
; %bb.92:
	s_mov_b64 s[18:19], 1
	s_mov_b64 s[16:17], 0
	v_mov_b32_e32 v12, 1.0
	v_mov_b32_e32 v4, v7
.LBB40_93:                              ; =>This Inner Loop Header: Depth=1
	s_flbit_i32_b32 s0, s19
	s_min_u32 s3, s0, 32
	s_lshl_b64 s[0:1], s[18:19], s3
	s_min_u32 s0, s0, 1
	s_or_b32 s0, s1, s0
	v_cvt_f32_u32_e32 v13, s0
	s_sub_i32 s3, 32, s3
	s_add_u32 s18, s18, 1
	s_addc_u32 s19, s19, 0
	v_ldexp_f32 v13, v13, s3
	v_cmp_eq_u64_e64 s[0:1], s[18:19], v[8:9]
	v_mul_f32_e32 v13, v12, v13
	s_or_b64 s[16:17], s[0:1], s[16:17]
	v_mov_b32_e32 v12, v4
	v_fma_f32 v4, v7, v4, -v13
	s_andn2_b64 exec, exec, s[16:17]
	s_cbranch_execnz .LBB40_93
; %bb.94:
	s_or_b64 exec, exec, s[16:17]
.LBB40_95:
	s_or_b64 exec, exec, s[14:15]
                                        ; implicit-def: $vgpr7
.LBB40_96:
	s_andn2_saveexec_b64 s[0:1], s[12:13]
; %bb.97:
	v_mov_b32_e32 v4, v7
; %bb.98:
	s_or_b64 exec, exec, s[0:1]
.LBB40_99:
	s_or_b64 exec, exec, s[10:11]
.LBB40_100:
	s_or_b64 exec, exec, s[6:7]
.LBB40_101:
	s_or_b64 exec, exec, s[4:5]
	v_or_b32_e32 v7, 0x300, v0
	v_cmp_gt_i32_e64 s[0:1], s22, v7
	s_and_saveexec_b64 s[4:5], s[0:1]
	s_cbranch_execnz .LBB40_108
; %bb.102:
	s_or_b64 exec, exec, s[4:5]
	s_and_saveexec_b64 s[0:1], vcc
	s_xor_b64 s[0:1], exec, s[0:1]
	s_cbranch_execnz .LBB40_121
.LBB40_103:
	s_or_b64 exec, exec, s[0:1]
	v_cmp_gt_i32_e32 vcc, s22, v0
	s_and_saveexec_b64 s[0:1], vcc
	s_cbranch_execnz .LBB40_122
.LBB40_104:
	s_or_b64 exec, exec, s[0:1]
	v_cmp_gt_i32_e32 vcc, s22, v0
	s_and_saveexec_b64 s[0:1], vcc
	s_cbranch_execnz .LBB40_123
.LBB40_105:
	s_or_b64 exec, exec, s[0:1]
	v_cmp_gt_i32_e32 vcc, s22, v0
	s_and_saveexec_b64 s[0:1], vcc
	s_cbranch_execz .LBB40_107
.LBB40_106:
	v_add_u32_e32 v0, s2, v0
	v_mov_b32_e32 v1, 0
	v_lshlrev_b64 v[0:1], 2, v[0:1]
	v_mov_b32_e32 v2, s9
	v_add_co_u32_e32 v0, vcc, s8, v0
	v_addc_co_u32_e32 v1, vcc, v2, v1, vcc
	global_store_dword v[0:1], v5, off
.LBB40_107:
	s_endpgm
.LBB40_108:
	v_trunc_f32_e32 v5, v10
	s_mov_b32 s0, 0x2f800000
	v_mul_f32_e64 v7, |v5|, s0
	v_floor_f32_e32 v7, v7
	s_mov_b32 s0, 0xcf800000
	v_cvt_u32_f32_e32 v8, v7
	v_fma_f32 v7, v7, s0, |v5|
	v_cvt_u32_f32_e32 v7, v7
	v_ashrrev_i32_e32 v5, 31, v5
	v_xor_b32_e32 v9, v8, v5
	v_xor_b32_e32 v7, v7, v5
	v_sub_co_u32_e64 v8, s[0:1], v7, v5
	v_subb_co_u32_e64 v9, s[0:1], v9, v5, s[0:1]
	v_cmp_lt_i64_e64 s[0:1], -1, v[8:9]
	v_mov_b32_e32 v5, 0
	s_and_saveexec_b64 s[6:7], s[0:1]
	s_cbranch_execz .LBB40_120
; %bb.109:
	v_cmp_lt_i64_e64 s[0:1], 0, v[8:9]
	v_mov_b32_e32 v5, 1.0
	s_and_saveexec_b64 s[10:11], s[0:1]
	s_cbranch_execz .LBB40_119
; %bb.110:
	v_cmp_ne_u64_e64 s[0:1], 1, v[8:9]
	s_and_saveexec_b64 s[12:13], s[0:1]
	s_xor_b64 s[12:13], exec, s[12:13]
	s_cbranch_execz .LBB40_116
; %bb.111:
	s_mov_b64 s[0:1], 0x81
	v_cmp_gt_u64_e64 s[0:1], s[0:1], v[8:9]
	v_mov_b32_e32 v5, 0x7fc00000
	s_and_saveexec_b64 s[14:15], s[0:1]
	s_cbranch_execz .LBB40_115
; %bb.112:
	s_mov_b64 s[18:19], 1
	s_mov_b64 s[16:17], 0
	v_mov_b32_e32 v7, 1.0
	v_mov_b32_e32 v5, v1
.LBB40_113:                             ; =>This Inner Loop Header: Depth=1
	s_flbit_i32_b32 s0, s19
	s_min_u32 s3, s0, 32
	s_lshl_b64 s[0:1], s[18:19], s3
	s_min_u32 s0, s0, 1
	s_or_b32 s0, s1, s0
	v_cvt_f32_u32_e32 v10, s0
	s_sub_i32 s3, 32, s3
	s_add_u32 s18, s18, 1
	s_addc_u32 s19, s19, 0
	v_ldexp_f32 v10, v10, s3
	v_cmp_eq_u64_e64 s[0:1], s[18:19], v[8:9]
	v_mul_f32_e32 v10, v7, v10
	s_or_b64 s[16:17], s[0:1], s[16:17]
	v_mov_b32_e32 v7, v5
	v_fma_f32 v5, v1, v5, -v10
	s_andn2_b64 exec, exec, s[16:17]
	s_cbranch_execnz .LBB40_113
; %bb.114:
	s_or_b64 exec, exec, s[16:17]
.LBB40_115:
	s_or_b64 exec, exec, s[14:15]
                                        ; implicit-def: $vgpr1
.LBB40_116:
	s_andn2_saveexec_b64 s[0:1], s[12:13]
; %bb.117:
	v_mov_b32_e32 v5, v1
; %bb.118:
	s_or_b64 exec, exec, s[0:1]
.LBB40_119:
	s_or_b64 exec, exec, s[10:11]
.LBB40_120:
	s_or_b64 exec, exec, s[6:7]
	s_or_b64 exec, exec, s[4:5]
	s_and_saveexec_b64 s[0:1], vcc
	s_xor_b64 s[0:1], exec, s[0:1]
	s_cbranch_execz .LBB40_103
.LBB40_121:
	v_mov_b32_e32 v7, 0
	v_lshlrev_b64 v[0:1], 2, v[6:7]
	v_mov_b32_e32 v6, s9
	v_add_co_u32_e32 v0, vcc, s8, v0
	v_addc_co_u32_e32 v1, vcc, v6, v1, vcc
	global_store_dword v[0:1], v2, off
	v_mov_b32_e32 v0, v11
	s_or_b64 exec, exec, s[0:1]
	v_cmp_gt_i32_e32 vcc, s22, v0
	s_and_saveexec_b64 s[0:1], vcc
	s_cbranch_execz .LBB40_104
.LBB40_122:
	v_add_u32_e32 v6, s2, v0
	v_mov_b32_e32 v7, 0
	v_lshlrev_b64 v[6:7], 2, v[6:7]
	v_mov_b32_e32 v1, s9
	v_add_co_u32_e32 v6, vcc, s8, v6
	v_addc_co_u32_e32 v7, vcc, v1, v7, vcc
	v_add_u32_e32 v0, 0x100, v0
	global_store_dword v[6:7], v3, off
	s_or_b64 exec, exec, s[0:1]
	v_cmp_gt_i32_e32 vcc, s22, v0
	s_and_saveexec_b64 s[0:1], vcc
	s_cbranch_execz .LBB40_105
.LBB40_123:
	v_add_u32_e32 v2, s2, v0
	v_mov_b32_e32 v3, 0
	v_lshlrev_b64 v[2:3], 2, v[2:3]
	v_mov_b32_e32 v1, s9
	v_add_co_u32_e32 v2, vcc, s8, v2
	v_addc_co_u32_e32 v3, vcc, v1, v3, vcc
	v_add_u32_e32 v0, 0x100, v0
	global_store_dword v[2:3], v4, off
	s_or_b64 exec, exec, s[0:1]
	v_cmp_gt_i32_e32 vcc, s22, v0
	s_and_saveexec_b64 s[0:1], vcc
	s_cbranch_execnz .LBB40_106
	s_branch .LBB40_107
	.section	.rodata,"a",@progbits
	.p2align	6, 0x0
	.amdhsa_kernel _ZN2at6native29vectorized_elementwise_kernelILi16ENS0_13BinaryFunctorIfffZZZNS0_12_GLOBAL__N_133hermite_polynomial_he_kernel_cudaERNS_18TensorIteratorBaseEENKUlvE_clEvENKUlvE0_clEvEUlffE_EESt5arrayIPcLm3EEEEviT0_T1_
		.amdhsa_group_segment_fixed_size 0
		.amdhsa_private_segment_fixed_size 0
		.amdhsa_kernarg_size 32
		.amdhsa_user_sgpr_count 6
		.amdhsa_user_sgpr_private_segment_buffer 1
		.amdhsa_user_sgpr_dispatch_ptr 0
		.amdhsa_user_sgpr_queue_ptr 0
		.amdhsa_user_sgpr_kernarg_segment_ptr 1
		.amdhsa_user_sgpr_dispatch_id 0
		.amdhsa_user_sgpr_flat_scratch_init 0
		.amdhsa_user_sgpr_kernarg_preload_length 0
		.amdhsa_user_sgpr_kernarg_preload_offset 0
		.amdhsa_user_sgpr_private_segment_size 0
		.amdhsa_uses_dynamic_stack 0
		.amdhsa_system_sgpr_private_segment_wavefront_offset 0
		.amdhsa_system_sgpr_workgroup_id_x 1
		.amdhsa_system_sgpr_workgroup_id_y 0
		.amdhsa_system_sgpr_workgroup_id_z 0
		.amdhsa_system_sgpr_workgroup_info 0
		.amdhsa_system_vgpr_workitem_id 0
		.amdhsa_next_free_vgpr 16
		.amdhsa_next_free_sgpr 26
		.amdhsa_accum_offset 16
		.amdhsa_reserve_vcc 1
		.amdhsa_reserve_flat_scratch 0
		.amdhsa_float_round_mode_32 0
		.amdhsa_float_round_mode_16_64 0
		.amdhsa_float_denorm_mode_32 3
		.amdhsa_float_denorm_mode_16_64 3
		.amdhsa_dx10_clamp 1
		.amdhsa_ieee_mode 1
		.amdhsa_fp16_overflow 0
		.amdhsa_tg_split 0
		.amdhsa_exception_fp_ieee_invalid_op 0
		.amdhsa_exception_fp_denorm_src 0
		.amdhsa_exception_fp_ieee_div_zero 0
		.amdhsa_exception_fp_ieee_overflow 0
		.amdhsa_exception_fp_ieee_underflow 0
		.amdhsa_exception_fp_ieee_inexact 0
		.amdhsa_exception_int_div_zero 0
	.end_amdhsa_kernel
	.section	.text._ZN2at6native29vectorized_elementwise_kernelILi16ENS0_13BinaryFunctorIfffZZZNS0_12_GLOBAL__N_133hermite_polynomial_he_kernel_cudaERNS_18TensorIteratorBaseEENKUlvE_clEvENKUlvE0_clEvEUlffE_EESt5arrayIPcLm3EEEEviT0_T1_,"axG",@progbits,_ZN2at6native29vectorized_elementwise_kernelILi16ENS0_13BinaryFunctorIfffZZZNS0_12_GLOBAL__N_133hermite_polynomial_he_kernel_cudaERNS_18TensorIteratorBaseEENKUlvE_clEvENKUlvE0_clEvEUlffE_EESt5arrayIPcLm3EEEEviT0_T1_,comdat
.Lfunc_end40:
	.size	_ZN2at6native29vectorized_elementwise_kernelILi16ENS0_13BinaryFunctorIfffZZZNS0_12_GLOBAL__N_133hermite_polynomial_he_kernel_cudaERNS_18TensorIteratorBaseEENKUlvE_clEvENKUlvE0_clEvEUlffE_EESt5arrayIPcLm3EEEEviT0_T1_, .Lfunc_end40-_ZN2at6native29vectorized_elementwise_kernelILi16ENS0_13BinaryFunctorIfffZZZNS0_12_GLOBAL__N_133hermite_polynomial_he_kernel_cudaERNS_18TensorIteratorBaseEENKUlvE_clEvENKUlvE0_clEvEUlffE_EESt5arrayIPcLm3EEEEviT0_T1_
                                        ; -- End function
	.section	.AMDGPU.csdata,"",@progbits
; Kernel info:
; codeLenInByte = 3184
; NumSgprs: 30
; NumVgprs: 16
; NumAgprs: 0
; TotalNumVgprs: 16
; ScratchSize: 0
; MemoryBound: 0
; FloatMode: 240
; IeeeMode: 1
; LDSByteSize: 0 bytes/workgroup (compile time only)
; SGPRBlocks: 3
; VGPRBlocks: 1
; NumSGPRsForWavesPerEU: 30
; NumVGPRsForWavesPerEU: 16
; AccumOffset: 16
; Occupancy: 8
; WaveLimiterHint : 0
; COMPUTE_PGM_RSRC2:SCRATCH_EN: 0
; COMPUTE_PGM_RSRC2:USER_SGPR: 6
; COMPUTE_PGM_RSRC2:TRAP_HANDLER: 0
; COMPUTE_PGM_RSRC2:TGID_X_EN: 1
; COMPUTE_PGM_RSRC2:TGID_Y_EN: 0
; COMPUTE_PGM_RSRC2:TGID_Z_EN: 0
; COMPUTE_PGM_RSRC2:TIDIG_COMP_CNT: 0
; COMPUTE_PGM_RSRC3_GFX90A:ACCUM_OFFSET: 3
; COMPUTE_PGM_RSRC3_GFX90A:TG_SPLIT: 0
	.section	.text._ZN2at6native29vectorized_elementwise_kernelILi8ENS0_13BinaryFunctorIfffZZZNS0_12_GLOBAL__N_133hermite_polynomial_he_kernel_cudaERNS_18TensorIteratorBaseEENKUlvE_clEvENKUlvE0_clEvEUlffE_EESt5arrayIPcLm3EEEEviT0_T1_,"axG",@progbits,_ZN2at6native29vectorized_elementwise_kernelILi8ENS0_13BinaryFunctorIfffZZZNS0_12_GLOBAL__N_133hermite_polynomial_he_kernel_cudaERNS_18TensorIteratorBaseEENKUlvE_clEvENKUlvE0_clEvEUlffE_EESt5arrayIPcLm3EEEEviT0_T1_,comdat
	.globl	_ZN2at6native29vectorized_elementwise_kernelILi8ENS0_13BinaryFunctorIfffZZZNS0_12_GLOBAL__N_133hermite_polynomial_he_kernel_cudaERNS_18TensorIteratorBaseEENKUlvE_clEvENKUlvE0_clEvEUlffE_EESt5arrayIPcLm3EEEEviT0_T1_ ; -- Begin function _ZN2at6native29vectorized_elementwise_kernelILi8ENS0_13BinaryFunctorIfffZZZNS0_12_GLOBAL__N_133hermite_polynomial_he_kernel_cudaERNS_18TensorIteratorBaseEENKUlvE_clEvENKUlvE0_clEvEUlffE_EESt5arrayIPcLm3EEEEviT0_T1_
	.p2align	8
	.type	_ZN2at6native29vectorized_elementwise_kernelILi8ENS0_13BinaryFunctorIfffZZZNS0_12_GLOBAL__N_133hermite_polynomial_he_kernel_cudaERNS_18TensorIteratorBaseEENKUlvE_clEvENKUlvE0_clEvEUlffE_EESt5arrayIPcLm3EEEEviT0_T1_,@function
_ZN2at6native29vectorized_elementwise_kernelILi8ENS0_13BinaryFunctorIfffZZZNS0_12_GLOBAL__N_133hermite_polynomial_he_kernel_cudaERNS_18TensorIteratorBaseEENKUlvE_clEvENKUlvE0_clEvEUlffE_EESt5arrayIPcLm3EEEEviT0_T1_: ; @_ZN2at6native29vectorized_elementwise_kernelILi8ENS0_13BinaryFunctorIfffZZZNS0_12_GLOBAL__N_133hermite_polynomial_he_kernel_cudaERNS_18TensorIteratorBaseEENKUlvE_clEvENKUlvE0_clEvEUlffE_EESt5arrayIPcLm3EEEEviT0_T1_
; %bb.0:
	s_load_dword s0, s[4:5], 0x0
	s_load_dwordx4 s[8:11], s[4:5], 0x8
	s_load_dwordx2 s[12:13], s[4:5], 0x18
	s_lshl_b32 s2, s6, 10
	s_waitcnt lgkmcnt(0)
	s_sub_i32 s22, s0, s2
	s_cmpk_gt_i32 s22, 0x3ff
	s_mov_b64 s[0:1], -1
	s_cbranch_scc0 .LBB41_50
; %bb.1:
	s_ashr_i32 s3, s2, 31
	s_lshl_b64 s[0:1], s[2:3], 2
	s_add_u32 s4, s10, s0
	s_addc_u32 s5, s11, s1
	s_add_u32 s6, s12, s0
	v_lshlrev_b32_e32 v1, 4, v0
	s_addc_u32 s7, s13, s1
	global_load_dwordx4 v[6:9], v1, s[6:7]
	global_load_dwordx4 v[2:5], v1, s[4:5]
	s_mov_b32 s3, 0x2f800000
	s_mov_b32 s4, 0xcf800000
	s_waitcnt vmcnt(1)
	v_trunc_f32_e32 v10, v6
	v_mul_f32_e64 v6, |v10|, s3
	v_floor_f32_e32 v6, v6
	v_fma_f32 v11, v6, s4, |v10|
	v_cvt_u32_f32_e32 v11, v11
	v_cvt_u32_f32_e32 v12, v6
	v_ashrrev_i32_e32 v13, 31, v10
	v_mov_b32_e32 v6, 0
	v_xor_b32_e32 v10, v11, v13
	v_xor_b32_e32 v12, v12, v13
	v_sub_co_u32_e32 v10, vcc, v10, v13
	v_subb_co_u32_e32 v11, vcc, v12, v13, vcc
	v_cmp_lt_i64_e32 vcc, -1, v[10:11]
	s_and_saveexec_b64 s[4:5], vcc
	s_cbranch_execz .LBB41_13
; %bb.2:
	v_cmp_lt_i64_e32 vcc, 0, v[10:11]
	v_mov_b32_e32 v6, 1.0
	s_and_saveexec_b64 s[6:7], vcc
	s_cbranch_execz .LBB41_12
; %bb.3:
	v_cmp_ne_u64_e32 vcc, 1, v[10:11]
                                        ; implicit-def: $vgpr6
	s_and_saveexec_b64 s[14:15], vcc
	s_xor_b64 s[14:15], exec, s[14:15]
	s_cbranch_execz .LBB41_9
; %bb.4:
	s_mov_b64 s[16:17], 0x81
	v_cmp_gt_u64_e32 vcc, s[16:17], v[10:11]
	v_mov_b32_e32 v6, 0x7fc00000
	s_and_saveexec_b64 s[16:17], vcc
	s_cbranch_execz .LBB41_8
; %bb.5:
	s_mov_b64 s[20:21], 1
	s_mov_b64 s[18:19], 0
	v_mov_b32_e32 v12, 1.0
	s_waitcnt vmcnt(0)
	v_mov_b32_e32 v6, v2
.LBB41_6:                               ; =>This Inner Loop Header: Depth=1
	s_flbit_i32_b32 s3, s21
	s_min_u32 s3, s3, 32
	s_lshl_b64 s[24:25], s[20:21], s3
	s_min_u32 s23, s24, 1
	s_or_b32 s23, s25, s23
	v_cvt_f32_u32_e32 v13, s23
	s_sub_i32 s3, 32, s3
	s_add_u32 s20, s20, 1
	s_addc_u32 s21, s21, 0
	v_ldexp_f32 v13, v13, s3
	v_cmp_eq_u64_e32 vcc, s[20:21], v[10:11]
	v_mul_f32_e32 v13, v12, v13
	s_or_b64 s[18:19], vcc, s[18:19]
	v_mov_b32_e32 v12, v6
	v_fma_f32 v6, v2, v6, -v13
	s_andn2_b64 exec, exec, s[18:19]
	s_cbranch_execnz .LBB41_6
; %bb.7:
	s_or_b64 exec, exec, s[18:19]
.LBB41_8:
	s_or_b64 exec, exec, s[16:17]
.LBB41_9:
	s_andn2_saveexec_b64 s[14:15], s[14:15]
	s_cbranch_execz .LBB41_11
; %bb.10:
	s_waitcnt vmcnt(0)
	v_mov_b32_e32 v6, v2
.LBB41_11:
	s_or_b64 exec, exec, s[14:15]
.LBB41_12:
	s_or_b64 exec, exec, s[6:7]
.LBB41_13:
	s_or_b64 exec, exec, s[4:5]
	s_waitcnt vmcnt(0)
	v_trunc_f32_e32 v2, v7
	s_mov_b32 s3, 0x2f800000
	v_mul_f32_e64 v7, |v2|, s3
	v_floor_f32_e32 v7, v7
	s_mov_b32 s3, 0xcf800000
	v_cvt_u32_f32_e32 v10, v7
	v_fma_f32 v7, v7, s3, |v2|
	v_cvt_u32_f32_e32 v7, v7
	v_ashrrev_i32_e32 v2, 31, v2
	v_xor_b32_e32 v11, v10, v2
	v_xor_b32_e32 v7, v7, v2
	v_sub_co_u32_e32 v10, vcc, v7, v2
	v_subb_co_u32_e32 v11, vcc, v11, v2, vcc
	v_cmp_lt_i64_e32 vcc, -1, v[10:11]
	v_mov_b32_e32 v7, 0
	s_and_saveexec_b64 s[4:5], vcc
	s_cbranch_execz .LBB41_25
; %bb.14:
	v_cmp_lt_i64_e32 vcc, 0, v[10:11]
	v_mov_b32_e32 v7, 1.0
	s_and_saveexec_b64 s[6:7], vcc
	s_cbranch_execz .LBB41_24
; %bb.15:
	v_cmp_ne_u64_e32 vcc, 1, v[10:11]
	s_and_saveexec_b64 s[14:15], vcc
	s_xor_b64 s[14:15], exec, s[14:15]
	s_cbranch_execz .LBB41_21
; %bb.16:
	s_mov_b64 s[16:17], 0x81
	v_cmp_gt_u64_e32 vcc, s[16:17], v[10:11]
	v_mov_b32_e32 v7, 0x7fc00000
	s_and_saveexec_b64 s[16:17], vcc
	s_cbranch_execz .LBB41_20
; %bb.17:
	s_mov_b64 s[20:21], 1
	s_mov_b64 s[18:19], 0
	v_mov_b32_e32 v2, 1.0
	v_mov_b32_e32 v7, v3
.LBB41_18:                              ; =>This Inner Loop Header: Depth=1
	s_flbit_i32_b32 s3, s21
	s_min_u32 s3, s3, 32
	s_lshl_b64 s[24:25], s[20:21], s3
	s_min_u32 s23, s24, 1
	s_or_b32 s23, s25, s23
	v_cvt_f32_u32_e32 v12, s23
	s_sub_i32 s3, 32, s3
	s_add_u32 s20, s20, 1
	s_addc_u32 s21, s21, 0
	v_ldexp_f32 v12, v12, s3
	v_cmp_eq_u64_e32 vcc, s[20:21], v[10:11]
	v_mul_f32_e32 v12, v2, v12
	s_or_b64 s[18:19], vcc, s[18:19]
	v_mov_b32_e32 v2, v7
	v_fma_f32 v7, v3, v7, -v12
	s_andn2_b64 exec, exec, s[18:19]
	s_cbranch_execnz .LBB41_18
; %bb.19:
	s_or_b64 exec, exec, s[18:19]
.LBB41_20:
	s_or_b64 exec, exec, s[16:17]
.LBB41_21:
	s_andn2_saveexec_b64 s[14:15], s[14:15]
; %bb.22:
	v_mov_b32_e32 v7, v3
; %bb.23:
	s_or_b64 exec, exec, s[14:15]
.LBB41_24:
	s_or_b64 exec, exec, s[6:7]
.LBB41_25:
	s_or_b64 exec, exec, s[4:5]
	v_trunc_f32_e32 v2, v8
	s_mov_b32 s3, 0x2f800000
	v_mul_f32_e64 v3, |v2|, s3
	v_floor_f32_e32 v3, v3
	s_mov_b32 s3, 0xcf800000
	v_cvt_u32_f32_e32 v8, v3
	v_fma_f32 v3, v3, s3, |v2|
	v_cvt_u32_f32_e32 v3, v3
	v_ashrrev_i32_e32 v10, 31, v2
	v_xor_b32_e32 v8, v8, v10
	v_xor_b32_e32 v2, v3, v10
	v_sub_co_u32_e32 v2, vcc, v2, v10
	v_subb_co_u32_e32 v3, vcc, v8, v10, vcc
	v_cmp_lt_i64_e32 vcc, -1, v[2:3]
	v_mov_b32_e32 v8, 0
	s_and_saveexec_b64 s[4:5], vcc
	s_cbranch_execz .LBB41_37
; %bb.26:
	v_cmp_lt_i64_e32 vcc, 0, v[2:3]
	v_mov_b32_e32 v8, 1.0
	s_and_saveexec_b64 s[6:7], vcc
	s_cbranch_execz .LBB41_36
; %bb.27:
	v_cmp_ne_u64_e32 vcc, 1, v[2:3]
	s_and_saveexec_b64 s[14:15], vcc
	s_xor_b64 s[14:15], exec, s[14:15]
	s_cbranch_execz .LBB41_33
; %bb.28:
	s_mov_b64 s[16:17], 0x81
	v_cmp_gt_u64_e32 vcc, s[16:17], v[2:3]
	v_mov_b32_e32 v8, 0x7fc00000
	s_and_saveexec_b64 s[16:17], vcc
	s_cbranch_execz .LBB41_32
; %bb.29:
	s_mov_b64 s[20:21], 1
	s_mov_b64 s[18:19], 0
	v_mov_b32_e32 v10, 1.0
	v_mov_b32_e32 v8, v4
.LBB41_30:                              ; =>This Inner Loop Header: Depth=1
	s_flbit_i32_b32 s3, s21
	s_min_u32 s3, s3, 32
	s_lshl_b64 s[24:25], s[20:21], s3
	s_min_u32 s23, s24, 1
	s_or_b32 s23, s25, s23
	v_cvt_f32_u32_e32 v11, s23
	s_sub_i32 s3, 32, s3
	s_add_u32 s20, s20, 1
	s_addc_u32 s21, s21, 0
	v_ldexp_f32 v11, v11, s3
	v_cmp_eq_u64_e32 vcc, s[20:21], v[2:3]
	v_mul_f32_e32 v11, v10, v11
	s_or_b64 s[18:19], vcc, s[18:19]
	v_mov_b32_e32 v10, v8
	v_fma_f32 v8, v4, v8, -v11
	s_andn2_b64 exec, exec, s[18:19]
	s_cbranch_execnz .LBB41_30
; %bb.31:
	s_or_b64 exec, exec, s[18:19]
.LBB41_32:
	s_or_b64 exec, exec, s[16:17]
.LBB41_33:
	s_andn2_saveexec_b64 s[14:15], s[14:15]
; %bb.34:
	v_mov_b32_e32 v8, v4
; %bb.35:
	s_or_b64 exec, exec, s[14:15]
.LBB41_36:
	s_or_b64 exec, exec, s[6:7]
.LBB41_37:
	s_or_b64 exec, exec, s[4:5]
	v_trunc_f32_e32 v2, v9
	s_mov_b32 s3, 0x2f800000
	v_mul_f32_e64 v3, |v2|, s3
	v_floor_f32_e32 v3, v3
	s_mov_b32 s3, 0xcf800000
	v_cvt_u32_f32_e32 v4, v3
	v_fma_f32 v3, v3, s3, |v2|
	v_cvt_u32_f32_e32 v3, v3
	v_ashrrev_i32_e32 v9, 31, v2
	v_xor_b32_e32 v4, v4, v9
	v_xor_b32_e32 v2, v3, v9
	v_sub_co_u32_e32 v2, vcc, v2, v9
	v_subb_co_u32_e32 v3, vcc, v4, v9, vcc
	v_cmp_lt_i64_e32 vcc, -1, v[2:3]
	v_mov_b32_e32 v9, 0
	s_and_saveexec_b64 s[4:5], vcc
	s_cbranch_execz .LBB41_49
; %bb.38:
	v_cmp_lt_i64_e32 vcc, 0, v[2:3]
	v_mov_b32_e32 v9, 1.0
	s_and_saveexec_b64 s[6:7], vcc
	s_cbranch_execz .LBB41_48
; %bb.39:
	v_cmp_ne_u64_e32 vcc, 1, v[2:3]
	s_and_saveexec_b64 s[14:15], vcc
	s_xor_b64 s[14:15], exec, s[14:15]
	s_cbranch_execz .LBB41_45
; %bb.40:
	s_mov_b64 s[16:17], 0x81
	v_cmp_gt_u64_e32 vcc, s[16:17], v[2:3]
	v_mov_b32_e32 v9, 0x7fc00000
	s_and_saveexec_b64 s[16:17], vcc
	s_cbranch_execz .LBB41_44
; %bb.41:
	s_mov_b64 s[20:21], 1
	s_mov_b64 s[18:19], 0
	v_mov_b32_e32 v4, 1.0
	v_mov_b32_e32 v9, v5
.LBB41_42:                              ; =>This Inner Loop Header: Depth=1
	s_flbit_i32_b32 s3, s21
	s_min_u32 s3, s3, 32
	s_lshl_b64 s[24:25], s[20:21], s3
	s_min_u32 s23, s24, 1
	s_or_b32 s23, s25, s23
	v_cvt_f32_u32_e32 v10, s23
	s_sub_i32 s3, 32, s3
	s_add_u32 s20, s20, 1
	s_addc_u32 s21, s21, 0
	v_ldexp_f32 v10, v10, s3
	v_cmp_eq_u64_e32 vcc, s[20:21], v[2:3]
	v_mul_f32_e32 v10, v4, v10
	s_or_b64 s[18:19], vcc, s[18:19]
	v_mov_b32_e32 v4, v9
	v_fma_f32 v9, v5, v9, -v10
	s_andn2_b64 exec, exec, s[18:19]
	s_cbranch_execnz .LBB41_42
; %bb.43:
	s_or_b64 exec, exec, s[18:19]
.LBB41_44:
	s_or_b64 exec, exec, s[16:17]
                                        ; implicit-def: $vgpr5
.LBB41_45:
	s_andn2_saveexec_b64 s[14:15], s[14:15]
; %bb.46:
	v_mov_b32_e32 v9, v5
; %bb.47:
	s_or_b64 exec, exec, s[14:15]
.LBB41_48:
	s_or_b64 exec, exec, s[6:7]
.LBB41_49:
	s_or_b64 exec, exec, s[4:5]
	s_add_u32 s0, s8, s0
	s_addc_u32 s1, s9, s1
	global_store_dwordx4 v1, v[6:9], s[0:1]
	s_mov_b64 s[0:1], 0
.LBB41_50:
	s_and_b64 vcc, exec, s[0:1]
	s_cbranch_vccz .LBB41_107
; %bb.51:
	v_cmp_gt_i32_e32 vcc, s22, v0
	v_mov_b32_e32 v12, 0
	v_or_b32_e32 v6, s2, v0
	v_mov_b32_e32 v8, 0
	v_mov_b32_e32 v11, 0
	;; [unrolled: 1-line block ×3, first 2 shown]
	s_and_saveexec_b64 s[4:5], vcc
	s_cbranch_execz .LBB41_53
; %bb.52:
	v_mov_b32_e32 v7, 0
	v_lshlrev_b64 v[2:3], 2, v[6:7]
	v_mov_b32_e32 v1, s13
	v_add_co_u32_e64 v4, s[0:1], s12, v2
	v_addc_co_u32_e64 v5, s[0:1], v1, v3, s[0:1]
	v_mov_b32_e32 v1, s11
	v_add_co_u32_e64 v2, s[0:1], s10, v2
	v_addc_co_u32_e64 v3, s[0:1], v1, v3, s[0:1]
	global_load_dword v8, v[2:3], off
	global_load_dword v11, v[4:5], off
	v_or_b32_e32 v2, 0x100, v0
.LBB41_53:
	s_or_b64 exec, exec, s[4:5]
	v_cmp_gt_i32_e64 s[0:1], s22, v2
	v_mov_b32_e32 v9, 0
	s_and_saveexec_b64 s[4:5], s[0:1]
	s_cbranch_execz .LBB41_55
; %bb.54:
	v_add_u32_e32 v4, s2, v2
	v_mov_b32_e32 v5, 0
	v_lshlrev_b64 v[4:5], 2, v[4:5]
	v_mov_b32_e32 v1, s13
	v_add_co_u32_e64 v14, s[0:1], s12, v4
	v_addc_co_u32_e64 v15, s[0:1], v1, v5, s[0:1]
	v_mov_b32_e32 v1, s11
	v_add_co_u32_e64 v4, s[0:1], s10, v4
	v_addc_co_u32_e64 v5, s[0:1], v1, v5, s[0:1]
	global_load_dword v12, v[4:5], off
	global_load_dword v9, v[14:15], off
	v_add_u32_e32 v2, 0x100, v2
.LBB41_55:
	s_or_b64 exec, exec, s[4:5]
	v_cmp_gt_i32_e64 s[0:1], s22, v2
	v_mov_b32_e32 v1, 0
	v_mov_b32_e32 v7, 0
	;; [unrolled: 1-line block ×3, first 2 shown]
	s_and_saveexec_b64 s[4:5], s[0:1]
	s_cbranch_execz .LBB41_57
; %bb.56:
	v_add_u32_e32 v4, s2, v2
	v_mov_b32_e32 v5, 0
	v_lshlrev_b64 v[4:5], 2, v[4:5]
	v_mov_b32_e32 v3, s13
	v_add_co_u32_e64 v14, s[0:1], s12, v4
	v_addc_co_u32_e64 v15, s[0:1], v3, v5, s[0:1]
	v_mov_b32_e32 v3, s11
	v_add_co_u32_e64 v4, s[0:1], s10, v4
	v_addc_co_u32_e64 v5, s[0:1], v3, v5, s[0:1]
	global_load_dword v7, v[4:5], off
	global_load_dword v13, v[14:15], off
	v_add_u32_e32 v2, 0x100, v2
.LBB41_57:
	s_or_b64 exec, exec, s[4:5]
	v_cmp_gt_i32_e64 s[0:1], s22, v2
	v_mov_b32_e32 v10, 0
	s_and_saveexec_b64 s[4:5], s[0:1]
	s_cbranch_execz .LBB41_59
; %bb.58:
	v_add_u32_e32 v2, s2, v2
	v_mov_b32_e32 v3, 0
	v_lshlrev_b64 v[2:3], 2, v[2:3]
	v_mov_b32_e32 v1, s13
	v_add_co_u32_e64 v4, s[0:1], s12, v2
	v_addc_co_u32_e64 v5, s[0:1], v1, v3, s[0:1]
	v_mov_b32_e32 v1, s11
	v_add_co_u32_e64 v2, s[0:1], s10, v2
	v_addc_co_u32_e64 v3, s[0:1], v1, v3, s[0:1]
	global_load_dword v1, v[2:3], off
	global_load_dword v10, v[4:5], off
.LBB41_59:
	s_or_b64 exec, exec, s[4:5]
                                        ; implicit-def: $vgpr2_vgpr3_vgpr4_vgpr5
	s_and_saveexec_b64 s[4:5], vcc
	s_cbranch_execz .LBB41_73
; %bb.60:
	s_waitcnt vmcnt(0)
	v_trunc_f32_e32 v2, v11
	s_mov_b32 s0, 0x2f800000
	v_mul_f32_e64 v3, |v2|, s0
	v_floor_f32_e32 v3, v3
	s_mov_b32 s0, 0xcf800000
	v_cvt_u32_f32_e32 v4, v3
	v_fma_f32 v3, v3, s0, |v2|
	v_cvt_u32_f32_e32 v3, v3
	v_ashrrev_i32_e32 v2, 31, v2
	v_xor_b32_e32 v5, v4, v2
	v_xor_b32_e32 v3, v3, v2
	v_sub_co_u32_e64 v4, s[0:1], v3, v2
	v_subb_co_u32_e64 v5, s[0:1], v5, v2, s[0:1]
	v_cmp_lt_i64_e64 s[0:1], -1, v[4:5]
	v_mov_b32_e32 v2, 0
	s_and_saveexec_b64 s[6:7], s[0:1]
	s_cbranch_execz .LBB41_72
; %bb.61:
	v_cmp_lt_i64_e64 s[0:1], 0, v[4:5]
	v_mov_b32_e32 v2, 1.0
	s_and_saveexec_b64 s[10:11], s[0:1]
	s_cbranch_execz .LBB41_71
; %bb.62:
	v_cmp_ne_u64_e64 s[0:1], 1, v[4:5]
                                        ; implicit-def: $vgpr2
	s_and_saveexec_b64 s[12:13], s[0:1]
	s_xor_b64 s[12:13], exec, s[12:13]
	s_cbranch_execz .LBB41_68
; %bb.63:
	s_mov_b64 s[0:1], 0x81
	v_cmp_gt_u64_e64 s[0:1], s[0:1], v[4:5]
	v_mov_b32_e32 v2, 0x7fc00000
	s_and_saveexec_b64 s[14:15], s[0:1]
	s_cbranch_execz .LBB41_67
; %bb.64:
	s_mov_b64 s[18:19], 1
	s_mov_b64 s[16:17], 0
	v_mov_b32_e32 v3, 1.0
	v_mov_b32_e32 v2, v8
.LBB41_65:                              ; =>This Inner Loop Header: Depth=1
	s_flbit_i32_b32 s0, s19
	s_min_u32 s3, s0, 32
	s_lshl_b64 s[0:1], s[18:19], s3
	s_min_u32 s0, s0, 1
	s_or_b32 s0, s1, s0
	v_cvt_f32_u32_e32 v11, s0
	s_sub_i32 s3, 32, s3
	s_add_u32 s18, s18, 1
	s_addc_u32 s19, s19, 0
	v_ldexp_f32 v11, v11, s3
	v_cmp_eq_u64_e64 s[0:1], s[18:19], v[4:5]
	v_mul_f32_e32 v11, v3, v11
	s_or_b64 s[16:17], s[0:1], s[16:17]
	v_mov_b32_e32 v3, v2
	v_fma_f32 v2, v8, v2, -v11
	s_andn2_b64 exec, exec, s[16:17]
	s_cbranch_execnz .LBB41_65
; %bb.66:
	s_or_b64 exec, exec, s[16:17]
.LBB41_67:
	s_or_b64 exec, exec, s[14:15]
                                        ; implicit-def: $vgpr8
.LBB41_68:
	s_andn2_saveexec_b64 s[0:1], s[12:13]
; %bb.69:
	v_mov_b32_e32 v2, v8
; %bb.70:
	s_or_b64 exec, exec, s[0:1]
.LBB41_71:
	s_or_b64 exec, exec, s[10:11]
.LBB41_72:
	s_or_b64 exec, exec, s[6:7]
.LBB41_73:
	s_or_b64 exec, exec, s[4:5]
	s_waitcnt vmcnt(0)
	v_or_b32_e32 v11, 0x100, v0
	v_cmp_gt_i32_e64 s[0:1], s22, v11
	s_and_saveexec_b64 s[4:5], s[0:1]
	s_cbranch_execz .LBB41_87
; %bb.74:
	v_trunc_f32_e32 v3, v9
	s_mov_b32 s0, 0x2f800000
	v_mul_f32_e64 v8, |v3|, s0
	v_floor_f32_e32 v8, v8
	s_mov_b32 s0, 0xcf800000
	v_cvt_u32_f32_e32 v9, v8
	v_fma_f32 v8, v8, s0, |v3|
	v_cvt_u32_f32_e32 v8, v8
	v_ashrrev_i32_e32 v3, 31, v3
	v_xor_b32_e32 v9, v9, v3
	v_xor_b32_e32 v8, v8, v3
	v_sub_co_u32_e64 v8, s[0:1], v8, v3
	v_subb_co_u32_e64 v9, s[0:1], v9, v3, s[0:1]
	v_cmp_lt_i64_e64 s[0:1], -1, v[8:9]
	v_mov_b32_e32 v3, 0
	s_and_saveexec_b64 s[6:7], s[0:1]
	s_cbranch_execz .LBB41_86
; %bb.75:
	v_cmp_lt_i64_e64 s[0:1], 0, v[8:9]
	v_mov_b32_e32 v3, 1.0
	s_and_saveexec_b64 s[10:11], s[0:1]
	s_cbranch_execz .LBB41_85
; %bb.76:
	v_cmp_ne_u64_e64 s[0:1], 1, v[8:9]
	s_and_saveexec_b64 s[12:13], s[0:1]
	s_xor_b64 s[12:13], exec, s[12:13]
	s_cbranch_execz .LBB41_82
; %bb.77:
	s_mov_b64 s[0:1], 0x81
	v_cmp_gt_u64_e64 s[0:1], s[0:1], v[8:9]
	v_mov_b32_e32 v3, 0x7fc00000
	s_and_saveexec_b64 s[14:15], s[0:1]
	s_cbranch_execz .LBB41_81
; %bb.78:
	s_mov_b64 s[18:19], 1
	s_mov_b64 s[16:17], 0
	v_mov_b32_e32 v14, 1.0
	v_mov_b32_e32 v3, v12
.LBB41_79:                              ; =>This Inner Loop Header: Depth=1
	s_flbit_i32_b32 s0, s19
	s_min_u32 s3, s0, 32
	s_lshl_b64 s[0:1], s[18:19], s3
	s_min_u32 s0, s0, 1
	s_or_b32 s0, s1, s0
	v_cvt_f32_u32_e32 v15, s0
	s_sub_i32 s3, 32, s3
	s_add_u32 s18, s18, 1
	s_addc_u32 s19, s19, 0
	v_ldexp_f32 v15, v15, s3
	v_cmp_eq_u64_e64 s[0:1], s[18:19], v[8:9]
	v_mul_f32_e32 v15, v14, v15
	s_or_b64 s[16:17], s[0:1], s[16:17]
	v_mov_b32_e32 v14, v3
	v_fma_f32 v3, v12, v3, -v15
	s_andn2_b64 exec, exec, s[16:17]
	s_cbranch_execnz .LBB41_79
; %bb.80:
	s_or_b64 exec, exec, s[16:17]
.LBB41_81:
	s_or_b64 exec, exec, s[14:15]
                                        ; implicit-def: $vgpr12
.LBB41_82:
	s_andn2_saveexec_b64 s[0:1], s[12:13]
; %bb.83:
	v_mov_b32_e32 v3, v12
; %bb.84:
	s_or_b64 exec, exec, s[0:1]
.LBB41_85:
	s_or_b64 exec, exec, s[10:11]
.LBB41_86:
	s_or_b64 exec, exec, s[6:7]
.LBB41_87:
	s_or_b64 exec, exec, s[4:5]
	v_or_b32_e32 v8, 0x200, v0
	v_cmp_gt_i32_e64 s[0:1], s22, v8
	s_and_saveexec_b64 s[4:5], s[0:1]
	s_cbranch_execz .LBB41_101
; %bb.88:
	v_trunc_f32_e32 v4, v13
	s_mov_b32 s0, 0x2f800000
	v_mul_f32_e64 v8, |v4|, s0
	v_floor_f32_e32 v8, v8
	s_mov_b32 s0, 0xcf800000
	v_cvt_u32_f32_e32 v9, v8
	v_fma_f32 v8, v8, s0, |v4|
	v_cvt_u32_f32_e32 v8, v8
	v_ashrrev_i32_e32 v4, 31, v4
	v_xor_b32_e32 v9, v9, v4
	v_xor_b32_e32 v8, v8, v4
	v_sub_co_u32_e64 v8, s[0:1], v8, v4
	v_subb_co_u32_e64 v9, s[0:1], v9, v4, s[0:1]
	v_cmp_lt_i64_e64 s[0:1], -1, v[8:9]
	v_mov_b32_e32 v4, 0
	s_and_saveexec_b64 s[6:7], s[0:1]
	s_cbranch_execz .LBB41_100
; %bb.89:
	v_cmp_lt_i64_e64 s[0:1], 0, v[8:9]
	v_mov_b32_e32 v4, 1.0
	s_and_saveexec_b64 s[10:11], s[0:1]
	s_cbranch_execz .LBB41_99
; %bb.90:
	v_cmp_ne_u64_e64 s[0:1], 1, v[8:9]
	s_and_saveexec_b64 s[12:13], s[0:1]
	s_xor_b64 s[12:13], exec, s[12:13]
	s_cbranch_execz .LBB41_96
; %bb.91:
	s_mov_b64 s[0:1], 0x81
	v_cmp_gt_u64_e64 s[0:1], s[0:1], v[8:9]
	v_mov_b32_e32 v4, 0x7fc00000
	s_and_saveexec_b64 s[14:15], s[0:1]
	s_cbranch_execz .LBB41_95
; %bb.92:
	s_mov_b64 s[18:19], 1
	s_mov_b64 s[16:17], 0
	v_mov_b32_e32 v12, 1.0
	v_mov_b32_e32 v4, v7
.LBB41_93:                              ; =>This Inner Loop Header: Depth=1
	s_flbit_i32_b32 s0, s19
	s_min_u32 s3, s0, 32
	s_lshl_b64 s[0:1], s[18:19], s3
	s_min_u32 s0, s0, 1
	s_or_b32 s0, s1, s0
	v_cvt_f32_u32_e32 v13, s0
	s_sub_i32 s3, 32, s3
	s_add_u32 s18, s18, 1
	s_addc_u32 s19, s19, 0
	v_ldexp_f32 v13, v13, s3
	v_cmp_eq_u64_e64 s[0:1], s[18:19], v[8:9]
	v_mul_f32_e32 v13, v12, v13
	s_or_b64 s[16:17], s[0:1], s[16:17]
	v_mov_b32_e32 v12, v4
	v_fma_f32 v4, v7, v4, -v13
	s_andn2_b64 exec, exec, s[16:17]
	s_cbranch_execnz .LBB41_93
; %bb.94:
	s_or_b64 exec, exec, s[16:17]
.LBB41_95:
	s_or_b64 exec, exec, s[14:15]
                                        ; implicit-def: $vgpr7
.LBB41_96:
	s_andn2_saveexec_b64 s[0:1], s[12:13]
; %bb.97:
	v_mov_b32_e32 v4, v7
; %bb.98:
	s_or_b64 exec, exec, s[0:1]
.LBB41_99:
	s_or_b64 exec, exec, s[10:11]
.LBB41_100:
	s_or_b64 exec, exec, s[6:7]
.LBB41_101:
	s_or_b64 exec, exec, s[4:5]
	v_or_b32_e32 v7, 0x300, v0
	v_cmp_gt_i32_e64 s[0:1], s22, v7
	s_and_saveexec_b64 s[4:5], s[0:1]
	s_cbranch_execnz .LBB41_108
; %bb.102:
	s_or_b64 exec, exec, s[4:5]
	s_and_saveexec_b64 s[0:1], vcc
	s_xor_b64 s[0:1], exec, s[0:1]
	s_cbranch_execnz .LBB41_121
.LBB41_103:
	s_or_b64 exec, exec, s[0:1]
	v_cmp_gt_i32_e32 vcc, s22, v0
	s_and_saveexec_b64 s[0:1], vcc
	s_cbranch_execnz .LBB41_122
.LBB41_104:
	s_or_b64 exec, exec, s[0:1]
	v_cmp_gt_i32_e32 vcc, s22, v0
	s_and_saveexec_b64 s[0:1], vcc
	s_cbranch_execnz .LBB41_123
.LBB41_105:
	s_or_b64 exec, exec, s[0:1]
	v_cmp_gt_i32_e32 vcc, s22, v0
	s_and_saveexec_b64 s[0:1], vcc
	s_cbranch_execz .LBB41_107
.LBB41_106:
	v_add_u32_e32 v0, s2, v0
	v_mov_b32_e32 v1, 0
	v_lshlrev_b64 v[0:1], 2, v[0:1]
	v_mov_b32_e32 v2, s9
	v_add_co_u32_e32 v0, vcc, s8, v0
	v_addc_co_u32_e32 v1, vcc, v2, v1, vcc
	global_store_dword v[0:1], v5, off
.LBB41_107:
	s_endpgm
.LBB41_108:
	v_trunc_f32_e32 v5, v10
	s_mov_b32 s0, 0x2f800000
	v_mul_f32_e64 v7, |v5|, s0
	v_floor_f32_e32 v7, v7
	s_mov_b32 s0, 0xcf800000
	v_cvt_u32_f32_e32 v8, v7
	v_fma_f32 v7, v7, s0, |v5|
	v_cvt_u32_f32_e32 v7, v7
	v_ashrrev_i32_e32 v5, 31, v5
	v_xor_b32_e32 v9, v8, v5
	v_xor_b32_e32 v7, v7, v5
	v_sub_co_u32_e64 v8, s[0:1], v7, v5
	v_subb_co_u32_e64 v9, s[0:1], v9, v5, s[0:1]
	v_cmp_lt_i64_e64 s[0:1], -1, v[8:9]
	v_mov_b32_e32 v5, 0
	s_and_saveexec_b64 s[6:7], s[0:1]
	s_cbranch_execz .LBB41_120
; %bb.109:
	v_cmp_lt_i64_e64 s[0:1], 0, v[8:9]
	v_mov_b32_e32 v5, 1.0
	s_and_saveexec_b64 s[10:11], s[0:1]
	s_cbranch_execz .LBB41_119
; %bb.110:
	v_cmp_ne_u64_e64 s[0:1], 1, v[8:9]
	s_and_saveexec_b64 s[12:13], s[0:1]
	s_xor_b64 s[12:13], exec, s[12:13]
	s_cbranch_execz .LBB41_116
; %bb.111:
	s_mov_b64 s[0:1], 0x81
	v_cmp_gt_u64_e64 s[0:1], s[0:1], v[8:9]
	v_mov_b32_e32 v5, 0x7fc00000
	s_and_saveexec_b64 s[14:15], s[0:1]
	s_cbranch_execz .LBB41_115
; %bb.112:
	s_mov_b64 s[18:19], 1
	s_mov_b64 s[16:17], 0
	v_mov_b32_e32 v7, 1.0
	v_mov_b32_e32 v5, v1
.LBB41_113:                             ; =>This Inner Loop Header: Depth=1
	s_flbit_i32_b32 s0, s19
	s_min_u32 s3, s0, 32
	s_lshl_b64 s[0:1], s[18:19], s3
	s_min_u32 s0, s0, 1
	s_or_b32 s0, s1, s0
	v_cvt_f32_u32_e32 v10, s0
	s_sub_i32 s3, 32, s3
	s_add_u32 s18, s18, 1
	s_addc_u32 s19, s19, 0
	v_ldexp_f32 v10, v10, s3
	v_cmp_eq_u64_e64 s[0:1], s[18:19], v[8:9]
	v_mul_f32_e32 v10, v7, v10
	s_or_b64 s[16:17], s[0:1], s[16:17]
	v_mov_b32_e32 v7, v5
	v_fma_f32 v5, v1, v5, -v10
	s_andn2_b64 exec, exec, s[16:17]
	s_cbranch_execnz .LBB41_113
; %bb.114:
	s_or_b64 exec, exec, s[16:17]
.LBB41_115:
	s_or_b64 exec, exec, s[14:15]
                                        ; implicit-def: $vgpr1
.LBB41_116:
	s_andn2_saveexec_b64 s[0:1], s[12:13]
; %bb.117:
	v_mov_b32_e32 v5, v1
; %bb.118:
	s_or_b64 exec, exec, s[0:1]
.LBB41_119:
	s_or_b64 exec, exec, s[10:11]
.LBB41_120:
	s_or_b64 exec, exec, s[6:7]
	s_or_b64 exec, exec, s[4:5]
	s_and_saveexec_b64 s[0:1], vcc
	s_xor_b64 s[0:1], exec, s[0:1]
	s_cbranch_execz .LBB41_103
.LBB41_121:
	v_mov_b32_e32 v7, 0
	v_lshlrev_b64 v[0:1], 2, v[6:7]
	v_mov_b32_e32 v6, s9
	v_add_co_u32_e32 v0, vcc, s8, v0
	v_addc_co_u32_e32 v1, vcc, v6, v1, vcc
	global_store_dword v[0:1], v2, off
	v_mov_b32_e32 v0, v11
	s_or_b64 exec, exec, s[0:1]
	v_cmp_gt_i32_e32 vcc, s22, v0
	s_and_saveexec_b64 s[0:1], vcc
	s_cbranch_execz .LBB41_104
.LBB41_122:
	v_add_u32_e32 v6, s2, v0
	v_mov_b32_e32 v7, 0
	v_lshlrev_b64 v[6:7], 2, v[6:7]
	v_mov_b32_e32 v1, s9
	v_add_co_u32_e32 v6, vcc, s8, v6
	v_addc_co_u32_e32 v7, vcc, v1, v7, vcc
	v_add_u32_e32 v0, 0x100, v0
	global_store_dword v[6:7], v3, off
	s_or_b64 exec, exec, s[0:1]
	v_cmp_gt_i32_e32 vcc, s22, v0
	s_and_saveexec_b64 s[0:1], vcc
	s_cbranch_execz .LBB41_105
.LBB41_123:
	v_add_u32_e32 v2, s2, v0
	v_mov_b32_e32 v3, 0
	v_lshlrev_b64 v[2:3], 2, v[2:3]
	v_mov_b32_e32 v1, s9
	v_add_co_u32_e32 v2, vcc, s8, v2
	v_addc_co_u32_e32 v3, vcc, v1, v3, vcc
	v_add_u32_e32 v0, 0x100, v0
	global_store_dword v[2:3], v4, off
	s_or_b64 exec, exec, s[0:1]
	v_cmp_gt_i32_e32 vcc, s22, v0
	s_and_saveexec_b64 s[0:1], vcc
	s_cbranch_execnz .LBB41_106
	s_branch .LBB41_107
	.section	.rodata,"a",@progbits
	.p2align	6, 0x0
	.amdhsa_kernel _ZN2at6native29vectorized_elementwise_kernelILi8ENS0_13BinaryFunctorIfffZZZNS0_12_GLOBAL__N_133hermite_polynomial_he_kernel_cudaERNS_18TensorIteratorBaseEENKUlvE_clEvENKUlvE0_clEvEUlffE_EESt5arrayIPcLm3EEEEviT0_T1_
		.amdhsa_group_segment_fixed_size 0
		.amdhsa_private_segment_fixed_size 0
		.amdhsa_kernarg_size 32
		.amdhsa_user_sgpr_count 6
		.amdhsa_user_sgpr_private_segment_buffer 1
		.amdhsa_user_sgpr_dispatch_ptr 0
		.amdhsa_user_sgpr_queue_ptr 0
		.amdhsa_user_sgpr_kernarg_segment_ptr 1
		.amdhsa_user_sgpr_dispatch_id 0
		.amdhsa_user_sgpr_flat_scratch_init 0
		.amdhsa_user_sgpr_kernarg_preload_length 0
		.amdhsa_user_sgpr_kernarg_preload_offset 0
		.amdhsa_user_sgpr_private_segment_size 0
		.amdhsa_uses_dynamic_stack 0
		.amdhsa_system_sgpr_private_segment_wavefront_offset 0
		.amdhsa_system_sgpr_workgroup_id_x 1
		.amdhsa_system_sgpr_workgroup_id_y 0
		.amdhsa_system_sgpr_workgroup_id_z 0
		.amdhsa_system_sgpr_workgroup_info 0
		.amdhsa_system_vgpr_workitem_id 0
		.amdhsa_next_free_vgpr 16
		.amdhsa_next_free_sgpr 26
		.amdhsa_accum_offset 16
		.amdhsa_reserve_vcc 1
		.amdhsa_reserve_flat_scratch 0
		.amdhsa_float_round_mode_32 0
		.amdhsa_float_round_mode_16_64 0
		.amdhsa_float_denorm_mode_32 3
		.amdhsa_float_denorm_mode_16_64 3
		.amdhsa_dx10_clamp 1
		.amdhsa_ieee_mode 1
		.amdhsa_fp16_overflow 0
		.amdhsa_tg_split 0
		.amdhsa_exception_fp_ieee_invalid_op 0
		.amdhsa_exception_fp_denorm_src 0
		.amdhsa_exception_fp_ieee_div_zero 0
		.amdhsa_exception_fp_ieee_overflow 0
		.amdhsa_exception_fp_ieee_underflow 0
		.amdhsa_exception_fp_ieee_inexact 0
		.amdhsa_exception_int_div_zero 0
	.end_amdhsa_kernel
	.section	.text._ZN2at6native29vectorized_elementwise_kernelILi8ENS0_13BinaryFunctorIfffZZZNS0_12_GLOBAL__N_133hermite_polynomial_he_kernel_cudaERNS_18TensorIteratorBaseEENKUlvE_clEvENKUlvE0_clEvEUlffE_EESt5arrayIPcLm3EEEEviT0_T1_,"axG",@progbits,_ZN2at6native29vectorized_elementwise_kernelILi8ENS0_13BinaryFunctorIfffZZZNS0_12_GLOBAL__N_133hermite_polynomial_he_kernel_cudaERNS_18TensorIteratorBaseEENKUlvE_clEvENKUlvE0_clEvEUlffE_EESt5arrayIPcLm3EEEEviT0_T1_,comdat
.Lfunc_end41:
	.size	_ZN2at6native29vectorized_elementwise_kernelILi8ENS0_13BinaryFunctorIfffZZZNS0_12_GLOBAL__N_133hermite_polynomial_he_kernel_cudaERNS_18TensorIteratorBaseEENKUlvE_clEvENKUlvE0_clEvEUlffE_EESt5arrayIPcLm3EEEEviT0_T1_, .Lfunc_end41-_ZN2at6native29vectorized_elementwise_kernelILi8ENS0_13BinaryFunctorIfffZZZNS0_12_GLOBAL__N_133hermite_polynomial_he_kernel_cudaERNS_18TensorIteratorBaseEENKUlvE_clEvENKUlvE0_clEvEUlffE_EESt5arrayIPcLm3EEEEviT0_T1_
                                        ; -- End function
	.section	.AMDGPU.csdata,"",@progbits
; Kernel info:
; codeLenInByte = 3184
; NumSgprs: 30
; NumVgprs: 16
; NumAgprs: 0
; TotalNumVgprs: 16
; ScratchSize: 0
; MemoryBound: 0
; FloatMode: 240
; IeeeMode: 1
; LDSByteSize: 0 bytes/workgroup (compile time only)
; SGPRBlocks: 3
; VGPRBlocks: 1
; NumSGPRsForWavesPerEU: 30
; NumVGPRsForWavesPerEU: 16
; AccumOffset: 16
; Occupancy: 8
; WaveLimiterHint : 0
; COMPUTE_PGM_RSRC2:SCRATCH_EN: 0
; COMPUTE_PGM_RSRC2:USER_SGPR: 6
; COMPUTE_PGM_RSRC2:TRAP_HANDLER: 0
; COMPUTE_PGM_RSRC2:TGID_X_EN: 1
; COMPUTE_PGM_RSRC2:TGID_Y_EN: 0
; COMPUTE_PGM_RSRC2:TGID_Z_EN: 0
; COMPUTE_PGM_RSRC2:TIDIG_COMP_CNT: 0
; COMPUTE_PGM_RSRC3_GFX90A:ACCUM_OFFSET: 3
; COMPUTE_PGM_RSRC3_GFX90A:TG_SPLIT: 0
	.section	.text._ZN2at6native29vectorized_elementwise_kernelILi4ENS0_13BinaryFunctorIfffZZZNS0_12_GLOBAL__N_133hermite_polynomial_he_kernel_cudaERNS_18TensorIteratorBaseEENKUlvE_clEvENKUlvE0_clEvEUlffE_EESt5arrayIPcLm3EEEEviT0_T1_,"axG",@progbits,_ZN2at6native29vectorized_elementwise_kernelILi4ENS0_13BinaryFunctorIfffZZZNS0_12_GLOBAL__N_133hermite_polynomial_he_kernel_cudaERNS_18TensorIteratorBaseEENKUlvE_clEvENKUlvE0_clEvEUlffE_EESt5arrayIPcLm3EEEEviT0_T1_,comdat
	.globl	_ZN2at6native29vectorized_elementwise_kernelILi4ENS0_13BinaryFunctorIfffZZZNS0_12_GLOBAL__N_133hermite_polynomial_he_kernel_cudaERNS_18TensorIteratorBaseEENKUlvE_clEvENKUlvE0_clEvEUlffE_EESt5arrayIPcLm3EEEEviT0_T1_ ; -- Begin function _ZN2at6native29vectorized_elementwise_kernelILi4ENS0_13BinaryFunctorIfffZZZNS0_12_GLOBAL__N_133hermite_polynomial_he_kernel_cudaERNS_18TensorIteratorBaseEENKUlvE_clEvENKUlvE0_clEvEUlffE_EESt5arrayIPcLm3EEEEviT0_T1_
	.p2align	8
	.type	_ZN2at6native29vectorized_elementwise_kernelILi4ENS0_13BinaryFunctorIfffZZZNS0_12_GLOBAL__N_133hermite_polynomial_he_kernel_cudaERNS_18TensorIteratorBaseEENKUlvE_clEvENKUlvE0_clEvEUlffE_EESt5arrayIPcLm3EEEEviT0_T1_,@function
_ZN2at6native29vectorized_elementwise_kernelILi4ENS0_13BinaryFunctorIfffZZZNS0_12_GLOBAL__N_133hermite_polynomial_he_kernel_cudaERNS_18TensorIteratorBaseEENKUlvE_clEvENKUlvE0_clEvEUlffE_EESt5arrayIPcLm3EEEEviT0_T1_: ; @_ZN2at6native29vectorized_elementwise_kernelILi4ENS0_13BinaryFunctorIfffZZZNS0_12_GLOBAL__N_133hermite_polynomial_he_kernel_cudaERNS_18TensorIteratorBaseEENKUlvE_clEvENKUlvE0_clEvEUlffE_EESt5arrayIPcLm3EEEEviT0_T1_
; %bb.0:
	s_load_dword s0, s[4:5], 0x0
	s_load_dwordx4 s[8:11], s[4:5], 0x8
	s_load_dwordx2 s[12:13], s[4:5], 0x18
	s_lshl_b32 s2, s6, 10
	s_waitcnt lgkmcnt(0)
	s_sub_i32 s22, s0, s2
	s_cmpk_gt_i32 s22, 0x3ff
	s_mov_b64 s[0:1], -1
	s_cbranch_scc0 .LBB42_50
; %bb.1:
	s_ashr_i32 s3, s2, 31
	s_lshl_b64 s[0:1], s[2:3], 2
	s_add_u32 s4, s10, s0
	s_addc_u32 s5, s11, s1
	s_add_u32 s6, s12, s0
	v_lshlrev_b32_e32 v1, 4, v0
	s_addc_u32 s7, s13, s1
	global_load_dwordx4 v[6:9], v1, s[6:7]
	global_load_dwordx4 v[2:5], v1, s[4:5]
	s_mov_b32 s3, 0x2f800000
	s_mov_b32 s4, 0xcf800000
	s_waitcnt vmcnt(1)
	v_trunc_f32_e32 v10, v6
	v_mul_f32_e64 v6, |v10|, s3
	v_floor_f32_e32 v6, v6
	v_fma_f32 v11, v6, s4, |v10|
	v_cvt_u32_f32_e32 v11, v11
	v_cvt_u32_f32_e32 v12, v6
	v_ashrrev_i32_e32 v13, 31, v10
	v_mov_b32_e32 v6, 0
	v_xor_b32_e32 v10, v11, v13
	v_xor_b32_e32 v12, v12, v13
	v_sub_co_u32_e32 v10, vcc, v10, v13
	v_subb_co_u32_e32 v11, vcc, v12, v13, vcc
	v_cmp_lt_i64_e32 vcc, -1, v[10:11]
	s_and_saveexec_b64 s[4:5], vcc
	s_cbranch_execz .LBB42_13
; %bb.2:
	v_cmp_lt_i64_e32 vcc, 0, v[10:11]
	v_mov_b32_e32 v6, 1.0
	s_and_saveexec_b64 s[6:7], vcc
	s_cbranch_execz .LBB42_12
; %bb.3:
	v_cmp_ne_u64_e32 vcc, 1, v[10:11]
                                        ; implicit-def: $vgpr6
	s_and_saveexec_b64 s[14:15], vcc
	s_xor_b64 s[14:15], exec, s[14:15]
	s_cbranch_execz .LBB42_9
; %bb.4:
	s_mov_b64 s[16:17], 0x81
	v_cmp_gt_u64_e32 vcc, s[16:17], v[10:11]
	v_mov_b32_e32 v6, 0x7fc00000
	s_and_saveexec_b64 s[16:17], vcc
	s_cbranch_execz .LBB42_8
; %bb.5:
	s_mov_b64 s[20:21], 1
	s_mov_b64 s[18:19], 0
	v_mov_b32_e32 v12, 1.0
	s_waitcnt vmcnt(0)
	v_mov_b32_e32 v6, v2
.LBB42_6:                               ; =>This Inner Loop Header: Depth=1
	s_flbit_i32_b32 s3, s21
	s_min_u32 s3, s3, 32
	s_lshl_b64 s[24:25], s[20:21], s3
	s_min_u32 s23, s24, 1
	s_or_b32 s23, s25, s23
	v_cvt_f32_u32_e32 v13, s23
	s_sub_i32 s3, 32, s3
	s_add_u32 s20, s20, 1
	s_addc_u32 s21, s21, 0
	v_ldexp_f32 v13, v13, s3
	v_cmp_eq_u64_e32 vcc, s[20:21], v[10:11]
	v_mul_f32_e32 v13, v12, v13
	s_or_b64 s[18:19], vcc, s[18:19]
	v_mov_b32_e32 v12, v6
	v_fma_f32 v6, v2, v6, -v13
	s_andn2_b64 exec, exec, s[18:19]
	s_cbranch_execnz .LBB42_6
; %bb.7:
	s_or_b64 exec, exec, s[18:19]
.LBB42_8:
	s_or_b64 exec, exec, s[16:17]
.LBB42_9:
	s_andn2_saveexec_b64 s[14:15], s[14:15]
	s_cbranch_execz .LBB42_11
; %bb.10:
	s_waitcnt vmcnt(0)
	v_mov_b32_e32 v6, v2
.LBB42_11:
	s_or_b64 exec, exec, s[14:15]
.LBB42_12:
	s_or_b64 exec, exec, s[6:7]
.LBB42_13:
	s_or_b64 exec, exec, s[4:5]
	s_waitcnt vmcnt(0)
	v_trunc_f32_e32 v2, v7
	s_mov_b32 s3, 0x2f800000
	v_mul_f32_e64 v7, |v2|, s3
	v_floor_f32_e32 v7, v7
	s_mov_b32 s3, 0xcf800000
	v_cvt_u32_f32_e32 v10, v7
	v_fma_f32 v7, v7, s3, |v2|
	v_cvt_u32_f32_e32 v7, v7
	v_ashrrev_i32_e32 v2, 31, v2
	v_xor_b32_e32 v11, v10, v2
	v_xor_b32_e32 v7, v7, v2
	v_sub_co_u32_e32 v10, vcc, v7, v2
	v_subb_co_u32_e32 v11, vcc, v11, v2, vcc
	v_cmp_lt_i64_e32 vcc, -1, v[10:11]
	v_mov_b32_e32 v7, 0
	s_and_saveexec_b64 s[4:5], vcc
	s_cbranch_execz .LBB42_25
; %bb.14:
	v_cmp_lt_i64_e32 vcc, 0, v[10:11]
	v_mov_b32_e32 v7, 1.0
	s_and_saveexec_b64 s[6:7], vcc
	s_cbranch_execz .LBB42_24
; %bb.15:
	v_cmp_ne_u64_e32 vcc, 1, v[10:11]
	s_and_saveexec_b64 s[14:15], vcc
	s_xor_b64 s[14:15], exec, s[14:15]
	s_cbranch_execz .LBB42_21
; %bb.16:
	s_mov_b64 s[16:17], 0x81
	v_cmp_gt_u64_e32 vcc, s[16:17], v[10:11]
	v_mov_b32_e32 v7, 0x7fc00000
	s_and_saveexec_b64 s[16:17], vcc
	s_cbranch_execz .LBB42_20
; %bb.17:
	s_mov_b64 s[20:21], 1
	s_mov_b64 s[18:19], 0
	v_mov_b32_e32 v2, 1.0
	v_mov_b32_e32 v7, v3
.LBB42_18:                              ; =>This Inner Loop Header: Depth=1
	s_flbit_i32_b32 s3, s21
	s_min_u32 s3, s3, 32
	s_lshl_b64 s[24:25], s[20:21], s3
	s_min_u32 s23, s24, 1
	s_or_b32 s23, s25, s23
	v_cvt_f32_u32_e32 v12, s23
	s_sub_i32 s3, 32, s3
	s_add_u32 s20, s20, 1
	s_addc_u32 s21, s21, 0
	v_ldexp_f32 v12, v12, s3
	v_cmp_eq_u64_e32 vcc, s[20:21], v[10:11]
	v_mul_f32_e32 v12, v2, v12
	s_or_b64 s[18:19], vcc, s[18:19]
	v_mov_b32_e32 v2, v7
	v_fma_f32 v7, v3, v7, -v12
	s_andn2_b64 exec, exec, s[18:19]
	s_cbranch_execnz .LBB42_18
; %bb.19:
	s_or_b64 exec, exec, s[18:19]
.LBB42_20:
	s_or_b64 exec, exec, s[16:17]
.LBB42_21:
	s_andn2_saveexec_b64 s[14:15], s[14:15]
; %bb.22:
	v_mov_b32_e32 v7, v3
; %bb.23:
	s_or_b64 exec, exec, s[14:15]
.LBB42_24:
	s_or_b64 exec, exec, s[6:7]
.LBB42_25:
	s_or_b64 exec, exec, s[4:5]
	v_trunc_f32_e32 v2, v8
	s_mov_b32 s3, 0x2f800000
	v_mul_f32_e64 v3, |v2|, s3
	v_floor_f32_e32 v3, v3
	s_mov_b32 s3, 0xcf800000
	v_cvt_u32_f32_e32 v8, v3
	v_fma_f32 v3, v3, s3, |v2|
	v_cvt_u32_f32_e32 v3, v3
	v_ashrrev_i32_e32 v10, 31, v2
	v_xor_b32_e32 v8, v8, v10
	v_xor_b32_e32 v2, v3, v10
	v_sub_co_u32_e32 v2, vcc, v2, v10
	v_subb_co_u32_e32 v3, vcc, v8, v10, vcc
	v_cmp_lt_i64_e32 vcc, -1, v[2:3]
	v_mov_b32_e32 v8, 0
	s_and_saveexec_b64 s[4:5], vcc
	s_cbranch_execz .LBB42_37
; %bb.26:
	v_cmp_lt_i64_e32 vcc, 0, v[2:3]
	v_mov_b32_e32 v8, 1.0
	s_and_saveexec_b64 s[6:7], vcc
	s_cbranch_execz .LBB42_36
; %bb.27:
	v_cmp_ne_u64_e32 vcc, 1, v[2:3]
	s_and_saveexec_b64 s[14:15], vcc
	s_xor_b64 s[14:15], exec, s[14:15]
	s_cbranch_execz .LBB42_33
; %bb.28:
	s_mov_b64 s[16:17], 0x81
	v_cmp_gt_u64_e32 vcc, s[16:17], v[2:3]
	v_mov_b32_e32 v8, 0x7fc00000
	s_and_saveexec_b64 s[16:17], vcc
	s_cbranch_execz .LBB42_32
; %bb.29:
	s_mov_b64 s[20:21], 1
	s_mov_b64 s[18:19], 0
	v_mov_b32_e32 v10, 1.0
	v_mov_b32_e32 v8, v4
.LBB42_30:                              ; =>This Inner Loop Header: Depth=1
	s_flbit_i32_b32 s3, s21
	s_min_u32 s3, s3, 32
	s_lshl_b64 s[24:25], s[20:21], s3
	s_min_u32 s23, s24, 1
	s_or_b32 s23, s25, s23
	v_cvt_f32_u32_e32 v11, s23
	s_sub_i32 s3, 32, s3
	s_add_u32 s20, s20, 1
	s_addc_u32 s21, s21, 0
	v_ldexp_f32 v11, v11, s3
	v_cmp_eq_u64_e32 vcc, s[20:21], v[2:3]
	v_mul_f32_e32 v11, v10, v11
	s_or_b64 s[18:19], vcc, s[18:19]
	v_mov_b32_e32 v10, v8
	v_fma_f32 v8, v4, v8, -v11
	s_andn2_b64 exec, exec, s[18:19]
	s_cbranch_execnz .LBB42_30
; %bb.31:
	s_or_b64 exec, exec, s[18:19]
.LBB42_32:
	s_or_b64 exec, exec, s[16:17]
.LBB42_33:
	s_andn2_saveexec_b64 s[14:15], s[14:15]
; %bb.34:
	v_mov_b32_e32 v8, v4
; %bb.35:
	s_or_b64 exec, exec, s[14:15]
.LBB42_36:
	s_or_b64 exec, exec, s[6:7]
.LBB42_37:
	s_or_b64 exec, exec, s[4:5]
	v_trunc_f32_e32 v2, v9
	s_mov_b32 s3, 0x2f800000
	v_mul_f32_e64 v3, |v2|, s3
	v_floor_f32_e32 v3, v3
	s_mov_b32 s3, 0xcf800000
	v_cvt_u32_f32_e32 v4, v3
	v_fma_f32 v3, v3, s3, |v2|
	v_cvt_u32_f32_e32 v3, v3
	v_ashrrev_i32_e32 v9, 31, v2
	v_xor_b32_e32 v4, v4, v9
	v_xor_b32_e32 v2, v3, v9
	v_sub_co_u32_e32 v2, vcc, v2, v9
	v_subb_co_u32_e32 v3, vcc, v4, v9, vcc
	v_cmp_lt_i64_e32 vcc, -1, v[2:3]
	v_mov_b32_e32 v9, 0
	s_and_saveexec_b64 s[4:5], vcc
	s_cbranch_execz .LBB42_49
; %bb.38:
	v_cmp_lt_i64_e32 vcc, 0, v[2:3]
	v_mov_b32_e32 v9, 1.0
	s_and_saveexec_b64 s[6:7], vcc
	s_cbranch_execz .LBB42_48
; %bb.39:
	v_cmp_ne_u64_e32 vcc, 1, v[2:3]
	s_and_saveexec_b64 s[14:15], vcc
	s_xor_b64 s[14:15], exec, s[14:15]
	s_cbranch_execz .LBB42_45
; %bb.40:
	s_mov_b64 s[16:17], 0x81
	v_cmp_gt_u64_e32 vcc, s[16:17], v[2:3]
	v_mov_b32_e32 v9, 0x7fc00000
	s_and_saveexec_b64 s[16:17], vcc
	s_cbranch_execz .LBB42_44
; %bb.41:
	s_mov_b64 s[20:21], 1
	s_mov_b64 s[18:19], 0
	v_mov_b32_e32 v4, 1.0
	v_mov_b32_e32 v9, v5
.LBB42_42:                              ; =>This Inner Loop Header: Depth=1
	s_flbit_i32_b32 s3, s21
	s_min_u32 s3, s3, 32
	s_lshl_b64 s[24:25], s[20:21], s3
	s_min_u32 s23, s24, 1
	s_or_b32 s23, s25, s23
	v_cvt_f32_u32_e32 v10, s23
	s_sub_i32 s3, 32, s3
	s_add_u32 s20, s20, 1
	s_addc_u32 s21, s21, 0
	v_ldexp_f32 v10, v10, s3
	v_cmp_eq_u64_e32 vcc, s[20:21], v[2:3]
	v_mul_f32_e32 v10, v4, v10
	s_or_b64 s[18:19], vcc, s[18:19]
	v_mov_b32_e32 v4, v9
	v_fma_f32 v9, v5, v9, -v10
	s_andn2_b64 exec, exec, s[18:19]
	s_cbranch_execnz .LBB42_42
; %bb.43:
	s_or_b64 exec, exec, s[18:19]
.LBB42_44:
	s_or_b64 exec, exec, s[16:17]
                                        ; implicit-def: $vgpr5
.LBB42_45:
	s_andn2_saveexec_b64 s[14:15], s[14:15]
; %bb.46:
	v_mov_b32_e32 v9, v5
; %bb.47:
	s_or_b64 exec, exec, s[14:15]
.LBB42_48:
	s_or_b64 exec, exec, s[6:7]
.LBB42_49:
	s_or_b64 exec, exec, s[4:5]
	s_add_u32 s0, s8, s0
	s_addc_u32 s1, s9, s1
	global_store_dwordx4 v1, v[6:9], s[0:1]
	s_mov_b64 s[0:1], 0
.LBB42_50:
	s_and_b64 vcc, exec, s[0:1]
	s_cbranch_vccz .LBB42_107
; %bb.51:
	v_cmp_gt_i32_e32 vcc, s22, v0
	v_mov_b32_e32 v12, 0
	v_or_b32_e32 v6, s2, v0
	v_mov_b32_e32 v8, 0
	v_mov_b32_e32 v11, 0
	;; [unrolled: 1-line block ×3, first 2 shown]
	s_and_saveexec_b64 s[4:5], vcc
	s_cbranch_execz .LBB42_53
; %bb.52:
	v_mov_b32_e32 v7, 0
	v_lshlrev_b64 v[2:3], 2, v[6:7]
	v_mov_b32_e32 v1, s13
	v_add_co_u32_e64 v4, s[0:1], s12, v2
	v_addc_co_u32_e64 v5, s[0:1], v1, v3, s[0:1]
	v_mov_b32_e32 v1, s11
	v_add_co_u32_e64 v2, s[0:1], s10, v2
	v_addc_co_u32_e64 v3, s[0:1], v1, v3, s[0:1]
	global_load_dword v8, v[2:3], off
	global_load_dword v11, v[4:5], off
	v_or_b32_e32 v2, 0x100, v0
.LBB42_53:
	s_or_b64 exec, exec, s[4:5]
	v_cmp_gt_i32_e64 s[0:1], s22, v2
	v_mov_b32_e32 v9, 0
	s_and_saveexec_b64 s[4:5], s[0:1]
	s_cbranch_execz .LBB42_55
; %bb.54:
	v_add_u32_e32 v4, s2, v2
	v_mov_b32_e32 v5, 0
	v_lshlrev_b64 v[4:5], 2, v[4:5]
	v_mov_b32_e32 v1, s13
	v_add_co_u32_e64 v14, s[0:1], s12, v4
	v_addc_co_u32_e64 v15, s[0:1], v1, v5, s[0:1]
	v_mov_b32_e32 v1, s11
	v_add_co_u32_e64 v4, s[0:1], s10, v4
	v_addc_co_u32_e64 v5, s[0:1], v1, v5, s[0:1]
	global_load_dword v12, v[4:5], off
	global_load_dword v9, v[14:15], off
	v_add_u32_e32 v2, 0x100, v2
.LBB42_55:
	s_or_b64 exec, exec, s[4:5]
	v_cmp_gt_i32_e64 s[0:1], s22, v2
	v_mov_b32_e32 v1, 0
	v_mov_b32_e32 v7, 0
	;; [unrolled: 1-line block ×3, first 2 shown]
	s_and_saveexec_b64 s[4:5], s[0:1]
	s_cbranch_execz .LBB42_57
; %bb.56:
	v_add_u32_e32 v4, s2, v2
	v_mov_b32_e32 v5, 0
	v_lshlrev_b64 v[4:5], 2, v[4:5]
	v_mov_b32_e32 v3, s13
	v_add_co_u32_e64 v14, s[0:1], s12, v4
	v_addc_co_u32_e64 v15, s[0:1], v3, v5, s[0:1]
	v_mov_b32_e32 v3, s11
	v_add_co_u32_e64 v4, s[0:1], s10, v4
	v_addc_co_u32_e64 v5, s[0:1], v3, v5, s[0:1]
	global_load_dword v7, v[4:5], off
	global_load_dword v13, v[14:15], off
	v_add_u32_e32 v2, 0x100, v2
.LBB42_57:
	s_or_b64 exec, exec, s[4:5]
	v_cmp_gt_i32_e64 s[0:1], s22, v2
	v_mov_b32_e32 v10, 0
	s_and_saveexec_b64 s[4:5], s[0:1]
	s_cbranch_execz .LBB42_59
; %bb.58:
	v_add_u32_e32 v2, s2, v2
	v_mov_b32_e32 v3, 0
	v_lshlrev_b64 v[2:3], 2, v[2:3]
	v_mov_b32_e32 v1, s13
	v_add_co_u32_e64 v4, s[0:1], s12, v2
	v_addc_co_u32_e64 v5, s[0:1], v1, v3, s[0:1]
	v_mov_b32_e32 v1, s11
	v_add_co_u32_e64 v2, s[0:1], s10, v2
	v_addc_co_u32_e64 v3, s[0:1], v1, v3, s[0:1]
	global_load_dword v1, v[2:3], off
	global_load_dword v10, v[4:5], off
.LBB42_59:
	s_or_b64 exec, exec, s[4:5]
                                        ; implicit-def: $vgpr2_vgpr3_vgpr4_vgpr5
	s_and_saveexec_b64 s[4:5], vcc
	s_cbranch_execz .LBB42_73
; %bb.60:
	s_waitcnt vmcnt(0)
	v_trunc_f32_e32 v2, v11
	s_mov_b32 s0, 0x2f800000
	v_mul_f32_e64 v3, |v2|, s0
	v_floor_f32_e32 v3, v3
	s_mov_b32 s0, 0xcf800000
	v_cvt_u32_f32_e32 v4, v3
	v_fma_f32 v3, v3, s0, |v2|
	v_cvt_u32_f32_e32 v3, v3
	v_ashrrev_i32_e32 v2, 31, v2
	v_xor_b32_e32 v5, v4, v2
	v_xor_b32_e32 v3, v3, v2
	v_sub_co_u32_e64 v4, s[0:1], v3, v2
	v_subb_co_u32_e64 v5, s[0:1], v5, v2, s[0:1]
	v_cmp_lt_i64_e64 s[0:1], -1, v[4:5]
	v_mov_b32_e32 v2, 0
	s_and_saveexec_b64 s[6:7], s[0:1]
	s_cbranch_execz .LBB42_72
; %bb.61:
	v_cmp_lt_i64_e64 s[0:1], 0, v[4:5]
	v_mov_b32_e32 v2, 1.0
	s_and_saveexec_b64 s[10:11], s[0:1]
	s_cbranch_execz .LBB42_71
; %bb.62:
	v_cmp_ne_u64_e64 s[0:1], 1, v[4:5]
                                        ; implicit-def: $vgpr2
	s_and_saveexec_b64 s[12:13], s[0:1]
	s_xor_b64 s[12:13], exec, s[12:13]
	s_cbranch_execz .LBB42_68
; %bb.63:
	s_mov_b64 s[0:1], 0x81
	v_cmp_gt_u64_e64 s[0:1], s[0:1], v[4:5]
	v_mov_b32_e32 v2, 0x7fc00000
	s_and_saveexec_b64 s[14:15], s[0:1]
	s_cbranch_execz .LBB42_67
; %bb.64:
	s_mov_b64 s[18:19], 1
	s_mov_b64 s[16:17], 0
	v_mov_b32_e32 v3, 1.0
	v_mov_b32_e32 v2, v8
.LBB42_65:                              ; =>This Inner Loop Header: Depth=1
	s_flbit_i32_b32 s0, s19
	s_min_u32 s3, s0, 32
	s_lshl_b64 s[0:1], s[18:19], s3
	s_min_u32 s0, s0, 1
	s_or_b32 s0, s1, s0
	v_cvt_f32_u32_e32 v11, s0
	s_sub_i32 s3, 32, s3
	s_add_u32 s18, s18, 1
	s_addc_u32 s19, s19, 0
	v_ldexp_f32 v11, v11, s3
	v_cmp_eq_u64_e64 s[0:1], s[18:19], v[4:5]
	v_mul_f32_e32 v11, v3, v11
	s_or_b64 s[16:17], s[0:1], s[16:17]
	v_mov_b32_e32 v3, v2
	v_fma_f32 v2, v8, v2, -v11
	s_andn2_b64 exec, exec, s[16:17]
	s_cbranch_execnz .LBB42_65
; %bb.66:
	s_or_b64 exec, exec, s[16:17]
.LBB42_67:
	s_or_b64 exec, exec, s[14:15]
                                        ; implicit-def: $vgpr8
.LBB42_68:
	s_andn2_saveexec_b64 s[0:1], s[12:13]
; %bb.69:
	v_mov_b32_e32 v2, v8
; %bb.70:
	s_or_b64 exec, exec, s[0:1]
.LBB42_71:
	s_or_b64 exec, exec, s[10:11]
.LBB42_72:
	s_or_b64 exec, exec, s[6:7]
.LBB42_73:
	s_or_b64 exec, exec, s[4:5]
	s_waitcnt vmcnt(0)
	v_or_b32_e32 v11, 0x100, v0
	v_cmp_gt_i32_e64 s[0:1], s22, v11
	s_and_saveexec_b64 s[4:5], s[0:1]
	s_cbranch_execz .LBB42_87
; %bb.74:
	v_trunc_f32_e32 v3, v9
	s_mov_b32 s0, 0x2f800000
	v_mul_f32_e64 v8, |v3|, s0
	v_floor_f32_e32 v8, v8
	s_mov_b32 s0, 0xcf800000
	v_cvt_u32_f32_e32 v9, v8
	v_fma_f32 v8, v8, s0, |v3|
	v_cvt_u32_f32_e32 v8, v8
	v_ashrrev_i32_e32 v3, 31, v3
	v_xor_b32_e32 v9, v9, v3
	v_xor_b32_e32 v8, v8, v3
	v_sub_co_u32_e64 v8, s[0:1], v8, v3
	v_subb_co_u32_e64 v9, s[0:1], v9, v3, s[0:1]
	v_cmp_lt_i64_e64 s[0:1], -1, v[8:9]
	v_mov_b32_e32 v3, 0
	s_and_saveexec_b64 s[6:7], s[0:1]
	s_cbranch_execz .LBB42_86
; %bb.75:
	v_cmp_lt_i64_e64 s[0:1], 0, v[8:9]
	v_mov_b32_e32 v3, 1.0
	s_and_saveexec_b64 s[10:11], s[0:1]
	s_cbranch_execz .LBB42_85
; %bb.76:
	v_cmp_ne_u64_e64 s[0:1], 1, v[8:9]
	s_and_saveexec_b64 s[12:13], s[0:1]
	s_xor_b64 s[12:13], exec, s[12:13]
	s_cbranch_execz .LBB42_82
; %bb.77:
	s_mov_b64 s[0:1], 0x81
	v_cmp_gt_u64_e64 s[0:1], s[0:1], v[8:9]
	v_mov_b32_e32 v3, 0x7fc00000
	s_and_saveexec_b64 s[14:15], s[0:1]
	s_cbranch_execz .LBB42_81
; %bb.78:
	s_mov_b64 s[18:19], 1
	s_mov_b64 s[16:17], 0
	v_mov_b32_e32 v14, 1.0
	v_mov_b32_e32 v3, v12
.LBB42_79:                              ; =>This Inner Loop Header: Depth=1
	s_flbit_i32_b32 s0, s19
	s_min_u32 s3, s0, 32
	s_lshl_b64 s[0:1], s[18:19], s3
	s_min_u32 s0, s0, 1
	s_or_b32 s0, s1, s0
	v_cvt_f32_u32_e32 v15, s0
	s_sub_i32 s3, 32, s3
	s_add_u32 s18, s18, 1
	s_addc_u32 s19, s19, 0
	v_ldexp_f32 v15, v15, s3
	v_cmp_eq_u64_e64 s[0:1], s[18:19], v[8:9]
	v_mul_f32_e32 v15, v14, v15
	s_or_b64 s[16:17], s[0:1], s[16:17]
	v_mov_b32_e32 v14, v3
	v_fma_f32 v3, v12, v3, -v15
	s_andn2_b64 exec, exec, s[16:17]
	s_cbranch_execnz .LBB42_79
; %bb.80:
	s_or_b64 exec, exec, s[16:17]
.LBB42_81:
	s_or_b64 exec, exec, s[14:15]
                                        ; implicit-def: $vgpr12
.LBB42_82:
	s_andn2_saveexec_b64 s[0:1], s[12:13]
; %bb.83:
	v_mov_b32_e32 v3, v12
; %bb.84:
	s_or_b64 exec, exec, s[0:1]
.LBB42_85:
	s_or_b64 exec, exec, s[10:11]
.LBB42_86:
	s_or_b64 exec, exec, s[6:7]
.LBB42_87:
	s_or_b64 exec, exec, s[4:5]
	v_or_b32_e32 v8, 0x200, v0
	v_cmp_gt_i32_e64 s[0:1], s22, v8
	s_and_saveexec_b64 s[4:5], s[0:1]
	s_cbranch_execz .LBB42_101
; %bb.88:
	v_trunc_f32_e32 v4, v13
	s_mov_b32 s0, 0x2f800000
	v_mul_f32_e64 v8, |v4|, s0
	v_floor_f32_e32 v8, v8
	s_mov_b32 s0, 0xcf800000
	v_cvt_u32_f32_e32 v9, v8
	v_fma_f32 v8, v8, s0, |v4|
	v_cvt_u32_f32_e32 v8, v8
	v_ashrrev_i32_e32 v4, 31, v4
	v_xor_b32_e32 v9, v9, v4
	v_xor_b32_e32 v8, v8, v4
	v_sub_co_u32_e64 v8, s[0:1], v8, v4
	v_subb_co_u32_e64 v9, s[0:1], v9, v4, s[0:1]
	v_cmp_lt_i64_e64 s[0:1], -1, v[8:9]
	v_mov_b32_e32 v4, 0
	s_and_saveexec_b64 s[6:7], s[0:1]
	s_cbranch_execz .LBB42_100
; %bb.89:
	v_cmp_lt_i64_e64 s[0:1], 0, v[8:9]
	v_mov_b32_e32 v4, 1.0
	s_and_saveexec_b64 s[10:11], s[0:1]
	s_cbranch_execz .LBB42_99
; %bb.90:
	v_cmp_ne_u64_e64 s[0:1], 1, v[8:9]
	s_and_saveexec_b64 s[12:13], s[0:1]
	s_xor_b64 s[12:13], exec, s[12:13]
	s_cbranch_execz .LBB42_96
; %bb.91:
	s_mov_b64 s[0:1], 0x81
	v_cmp_gt_u64_e64 s[0:1], s[0:1], v[8:9]
	v_mov_b32_e32 v4, 0x7fc00000
	s_and_saveexec_b64 s[14:15], s[0:1]
	s_cbranch_execz .LBB42_95
; %bb.92:
	s_mov_b64 s[18:19], 1
	s_mov_b64 s[16:17], 0
	v_mov_b32_e32 v12, 1.0
	v_mov_b32_e32 v4, v7
.LBB42_93:                              ; =>This Inner Loop Header: Depth=1
	s_flbit_i32_b32 s0, s19
	s_min_u32 s3, s0, 32
	s_lshl_b64 s[0:1], s[18:19], s3
	s_min_u32 s0, s0, 1
	s_or_b32 s0, s1, s0
	v_cvt_f32_u32_e32 v13, s0
	s_sub_i32 s3, 32, s3
	s_add_u32 s18, s18, 1
	s_addc_u32 s19, s19, 0
	v_ldexp_f32 v13, v13, s3
	v_cmp_eq_u64_e64 s[0:1], s[18:19], v[8:9]
	v_mul_f32_e32 v13, v12, v13
	s_or_b64 s[16:17], s[0:1], s[16:17]
	v_mov_b32_e32 v12, v4
	v_fma_f32 v4, v7, v4, -v13
	s_andn2_b64 exec, exec, s[16:17]
	s_cbranch_execnz .LBB42_93
; %bb.94:
	s_or_b64 exec, exec, s[16:17]
.LBB42_95:
	s_or_b64 exec, exec, s[14:15]
                                        ; implicit-def: $vgpr7
.LBB42_96:
	s_andn2_saveexec_b64 s[0:1], s[12:13]
; %bb.97:
	v_mov_b32_e32 v4, v7
; %bb.98:
	s_or_b64 exec, exec, s[0:1]
.LBB42_99:
	s_or_b64 exec, exec, s[10:11]
.LBB42_100:
	s_or_b64 exec, exec, s[6:7]
.LBB42_101:
	s_or_b64 exec, exec, s[4:5]
	v_or_b32_e32 v7, 0x300, v0
	v_cmp_gt_i32_e64 s[0:1], s22, v7
	s_and_saveexec_b64 s[4:5], s[0:1]
	s_cbranch_execnz .LBB42_108
; %bb.102:
	s_or_b64 exec, exec, s[4:5]
	s_and_saveexec_b64 s[0:1], vcc
	s_xor_b64 s[0:1], exec, s[0:1]
	s_cbranch_execnz .LBB42_121
.LBB42_103:
	s_or_b64 exec, exec, s[0:1]
	v_cmp_gt_i32_e32 vcc, s22, v0
	s_and_saveexec_b64 s[0:1], vcc
	s_cbranch_execnz .LBB42_122
.LBB42_104:
	s_or_b64 exec, exec, s[0:1]
	v_cmp_gt_i32_e32 vcc, s22, v0
	s_and_saveexec_b64 s[0:1], vcc
	s_cbranch_execnz .LBB42_123
.LBB42_105:
	s_or_b64 exec, exec, s[0:1]
	v_cmp_gt_i32_e32 vcc, s22, v0
	s_and_saveexec_b64 s[0:1], vcc
	s_cbranch_execz .LBB42_107
.LBB42_106:
	v_add_u32_e32 v0, s2, v0
	v_mov_b32_e32 v1, 0
	v_lshlrev_b64 v[0:1], 2, v[0:1]
	v_mov_b32_e32 v2, s9
	v_add_co_u32_e32 v0, vcc, s8, v0
	v_addc_co_u32_e32 v1, vcc, v2, v1, vcc
	global_store_dword v[0:1], v5, off
.LBB42_107:
	s_endpgm
.LBB42_108:
	v_trunc_f32_e32 v5, v10
	s_mov_b32 s0, 0x2f800000
	v_mul_f32_e64 v7, |v5|, s0
	v_floor_f32_e32 v7, v7
	s_mov_b32 s0, 0xcf800000
	v_cvt_u32_f32_e32 v8, v7
	v_fma_f32 v7, v7, s0, |v5|
	v_cvt_u32_f32_e32 v7, v7
	v_ashrrev_i32_e32 v5, 31, v5
	v_xor_b32_e32 v9, v8, v5
	v_xor_b32_e32 v7, v7, v5
	v_sub_co_u32_e64 v8, s[0:1], v7, v5
	v_subb_co_u32_e64 v9, s[0:1], v9, v5, s[0:1]
	v_cmp_lt_i64_e64 s[0:1], -1, v[8:9]
	v_mov_b32_e32 v5, 0
	s_and_saveexec_b64 s[6:7], s[0:1]
	s_cbranch_execz .LBB42_120
; %bb.109:
	v_cmp_lt_i64_e64 s[0:1], 0, v[8:9]
	v_mov_b32_e32 v5, 1.0
	s_and_saveexec_b64 s[10:11], s[0:1]
	s_cbranch_execz .LBB42_119
; %bb.110:
	v_cmp_ne_u64_e64 s[0:1], 1, v[8:9]
	s_and_saveexec_b64 s[12:13], s[0:1]
	s_xor_b64 s[12:13], exec, s[12:13]
	s_cbranch_execz .LBB42_116
; %bb.111:
	s_mov_b64 s[0:1], 0x81
	v_cmp_gt_u64_e64 s[0:1], s[0:1], v[8:9]
	v_mov_b32_e32 v5, 0x7fc00000
	s_and_saveexec_b64 s[14:15], s[0:1]
	s_cbranch_execz .LBB42_115
; %bb.112:
	s_mov_b64 s[18:19], 1
	s_mov_b64 s[16:17], 0
	v_mov_b32_e32 v7, 1.0
	v_mov_b32_e32 v5, v1
.LBB42_113:                             ; =>This Inner Loop Header: Depth=1
	s_flbit_i32_b32 s0, s19
	s_min_u32 s3, s0, 32
	s_lshl_b64 s[0:1], s[18:19], s3
	s_min_u32 s0, s0, 1
	s_or_b32 s0, s1, s0
	v_cvt_f32_u32_e32 v10, s0
	s_sub_i32 s3, 32, s3
	s_add_u32 s18, s18, 1
	s_addc_u32 s19, s19, 0
	v_ldexp_f32 v10, v10, s3
	v_cmp_eq_u64_e64 s[0:1], s[18:19], v[8:9]
	v_mul_f32_e32 v10, v7, v10
	s_or_b64 s[16:17], s[0:1], s[16:17]
	v_mov_b32_e32 v7, v5
	v_fma_f32 v5, v1, v5, -v10
	s_andn2_b64 exec, exec, s[16:17]
	s_cbranch_execnz .LBB42_113
; %bb.114:
	s_or_b64 exec, exec, s[16:17]
.LBB42_115:
	s_or_b64 exec, exec, s[14:15]
                                        ; implicit-def: $vgpr1
.LBB42_116:
	s_andn2_saveexec_b64 s[0:1], s[12:13]
; %bb.117:
	v_mov_b32_e32 v5, v1
; %bb.118:
	s_or_b64 exec, exec, s[0:1]
.LBB42_119:
	s_or_b64 exec, exec, s[10:11]
.LBB42_120:
	s_or_b64 exec, exec, s[6:7]
	s_or_b64 exec, exec, s[4:5]
	s_and_saveexec_b64 s[0:1], vcc
	s_xor_b64 s[0:1], exec, s[0:1]
	s_cbranch_execz .LBB42_103
.LBB42_121:
	v_mov_b32_e32 v7, 0
	v_lshlrev_b64 v[0:1], 2, v[6:7]
	v_mov_b32_e32 v6, s9
	v_add_co_u32_e32 v0, vcc, s8, v0
	v_addc_co_u32_e32 v1, vcc, v6, v1, vcc
	global_store_dword v[0:1], v2, off
	v_mov_b32_e32 v0, v11
	s_or_b64 exec, exec, s[0:1]
	v_cmp_gt_i32_e32 vcc, s22, v0
	s_and_saveexec_b64 s[0:1], vcc
	s_cbranch_execz .LBB42_104
.LBB42_122:
	v_add_u32_e32 v6, s2, v0
	v_mov_b32_e32 v7, 0
	v_lshlrev_b64 v[6:7], 2, v[6:7]
	v_mov_b32_e32 v1, s9
	v_add_co_u32_e32 v6, vcc, s8, v6
	v_addc_co_u32_e32 v7, vcc, v1, v7, vcc
	v_add_u32_e32 v0, 0x100, v0
	global_store_dword v[6:7], v3, off
	s_or_b64 exec, exec, s[0:1]
	v_cmp_gt_i32_e32 vcc, s22, v0
	s_and_saveexec_b64 s[0:1], vcc
	s_cbranch_execz .LBB42_105
.LBB42_123:
	v_add_u32_e32 v2, s2, v0
	v_mov_b32_e32 v3, 0
	v_lshlrev_b64 v[2:3], 2, v[2:3]
	v_mov_b32_e32 v1, s9
	v_add_co_u32_e32 v2, vcc, s8, v2
	v_addc_co_u32_e32 v3, vcc, v1, v3, vcc
	v_add_u32_e32 v0, 0x100, v0
	global_store_dword v[2:3], v4, off
	s_or_b64 exec, exec, s[0:1]
	v_cmp_gt_i32_e32 vcc, s22, v0
	s_and_saveexec_b64 s[0:1], vcc
	s_cbranch_execnz .LBB42_106
	s_branch .LBB42_107
	.section	.rodata,"a",@progbits
	.p2align	6, 0x0
	.amdhsa_kernel _ZN2at6native29vectorized_elementwise_kernelILi4ENS0_13BinaryFunctorIfffZZZNS0_12_GLOBAL__N_133hermite_polynomial_he_kernel_cudaERNS_18TensorIteratorBaseEENKUlvE_clEvENKUlvE0_clEvEUlffE_EESt5arrayIPcLm3EEEEviT0_T1_
		.amdhsa_group_segment_fixed_size 0
		.amdhsa_private_segment_fixed_size 0
		.amdhsa_kernarg_size 32
		.amdhsa_user_sgpr_count 6
		.amdhsa_user_sgpr_private_segment_buffer 1
		.amdhsa_user_sgpr_dispatch_ptr 0
		.amdhsa_user_sgpr_queue_ptr 0
		.amdhsa_user_sgpr_kernarg_segment_ptr 1
		.amdhsa_user_sgpr_dispatch_id 0
		.amdhsa_user_sgpr_flat_scratch_init 0
		.amdhsa_user_sgpr_kernarg_preload_length 0
		.amdhsa_user_sgpr_kernarg_preload_offset 0
		.amdhsa_user_sgpr_private_segment_size 0
		.amdhsa_uses_dynamic_stack 0
		.amdhsa_system_sgpr_private_segment_wavefront_offset 0
		.amdhsa_system_sgpr_workgroup_id_x 1
		.amdhsa_system_sgpr_workgroup_id_y 0
		.amdhsa_system_sgpr_workgroup_id_z 0
		.amdhsa_system_sgpr_workgroup_info 0
		.amdhsa_system_vgpr_workitem_id 0
		.amdhsa_next_free_vgpr 16
		.amdhsa_next_free_sgpr 26
		.amdhsa_accum_offset 16
		.amdhsa_reserve_vcc 1
		.amdhsa_reserve_flat_scratch 0
		.amdhsa_float_round_mode_32 0
		.amdhsa_float_round_mode_16_64 0
		.amdhsa_float_denorm_mode_32 3
		.amdhsa_float_denorm_mode_16_64 3
		.amdhsa_dx10_clamp 1
		.amdhsa_ieee_mode 1
		.amdhsa_fp16_overflow 0
		.amdhsa_tg_split 0
		.amdhsa_exception_fp_ieee_invalid_op 0
		.amdhsa_exception_fp_denorm_src 0
		.amdhsa_exception_fp_ieee_div_zero 0
		.amdhsa_exception_fp_ieee_overflow 0
		.amdhsa_exception_fp_ieee_underflow 0
		.amdhsa_exception_fp_ieee_inexact 0
		.amdhsa_exception_int_div_zero 0
	.end_amdhsa_kernel
	.section	.text._ZN2at6native29vectorized_elementwise_kernelILi4ENS0_13BinaryFunctorIfffZZZNS0_12_GLOBAL__N_133hermite_polynomial_he_kernel_cudaERNS_18TensorIteratorBaseEENKUlvE_clEvENKUlvE0_clEvEUlffE_EESt5arrayIPcLm3EEEEviT0_T1_,"axG",@progbits,_ZN2at6native29vectorized_elementwise_kernelILi4ENS0_13BinaryFunctorIfffZZZNS0_12_GLOBAL__N_133hermite_polynomial_he_kernel_cudaERNS_18TensorIteratorBaseEENKUlvE_clEvENKUlvE0_clEvEUlffE_EESt5arrayIPcLm3EEEEviT0_T1_,comdat
.Lfunc_end42:
	.size	_ZN2at6native29vectorized_elementwise_kernelILi4ENS0_13BinaryFunctorIfffZZZNS0_12_GLOBAL__N_133hermite_polynomial_he_kernel_cudaERNS_18TensorIteratorBaseEENKUlvE_clEvENKUlvE0_clEvEUlffE_EESt5arrayIPcLm3EEEEviT0_T1_, .Lfunc_end42-_ZN2at6native29vectorized_elementwise_kernelILi4ENS0_13BinaryFunctorIfffZZZNS0_12_GLOBAL__N_133hermite_polynomial_he_kernel_cudaERNS_18TensorIteratorBaseEENKUlvE_clEvENKUlvE0_clEvEUlffE_EESt5arrayIPcLm3EEEEviT0_T1_
                                        ; -- End function
	.section	.AMDGPU.csdata,"",@progbits
; Kernel info:
; codeLenInByte = 3184
; NumSgprs: 30
; NumVgprs: 16
; NumAgprs: 0
; TotalNumVgprs: 16
; ScratchSize: 0
; MemoryBound: 0
; FloatMode: 240
; IeeeMode: 1
; LDSByteSize: 0 bytes/workgroup (compile time only)
; SGPRBlocks: 3
; VGPRBlocks: 1
; NumSGPRsForWavesPerEU: 30
; NumVGPRsForWavesPerEU: 16
; AccumOffset: 16
; Occupancy: 8
; WaveLimiterHint : 0
; COMPUTE_PGM_RSRC2:SCRATCH_EN: 0
; COMPUTE_PGM_RSRC2:USER_SGPR: 6
; COMPUTE_PGM_RSRC2:TRAP_HANDLER: 0
; COMPUTE_PGM_RSRC2:TGID_X_EN: 1
; COMPUTE_PGM_RSRC2:TGID_Y_EN: 0
; COMPUTE_PGM_RSRC2:TGID_Z_EN: 0
; COMPUTE_PGM_RSRC2:TIDIG_COMP_CNT: 0
; COMPUTE_PGM_RSRC3_GFX90A:ACCUM_OFFSET: 3
; COMPUTE_PGM_RSRC3_GFX90A:TG_SPLIT: 0
	.section	.text._ZN2at6native29vectorized_elementwise_kernelILi2ENS0_13BinaryFunctorIfffZZZNS0_12_GLOBAL__N_133hermite_polynomial_he_kernel_cudaERNS_18TensorIteratorBaseEENKUlvE_clEvENKUlvE0_clEvEUlffE_EESt5arrayIPcLm3EEEEviT0_T1_,"axG",@progbits,_ZN2at6native29vectorized_elementwise_kernelILi2ENS0_13BinaryFunctorIfffZZZNS0_12_GLOBAL__N_133hermite_polynomial_he_kernel_cudaERNS_18TensorIteratorBaseEENKUlvE_clEvENKUlvE0_clEvEUlffE_EESt5arrayIPcLm3EEEEviT0_T1_,comdat
	.globl	_ZN2at6native29vectorized_elementwise_kernelILi2ENS0_13BinaryFunctorIfffZZZNS0_12_GLOBAL__N_133hermite_polynomial_he_kernel_cudaERNS_18TensorIteratorBaseEENKUlvE_clEvENKUlvE0_clEvEUlffE_EESt5arrayIPcLm3EEEEviT0_T1_ ; -- Begin function _ZN2at6native29vectorized_elementwise_kernelILi2ENS0_13BinaryFunctorIfffZZZNS0_12_GLOBAL__N_133hermite_polynomial_he_kernel_cudaERNS_18TensorIteratorBaseEENKUlvE_clEvENKUlvE0_clEvEUlffE_EESt5arrayIPcLm3EEEEviT0_T1_
	.p2align	8
	.type	_ZN2at6native29vectorized_elementwise_kernelILi2ENS0_13BinaryFunctorIfffZZZNS0_12_GLOBAL__N_133hermite_polynomial_he_kernel_cudaERNS_18TensorIteratorBaseEENKUlvE_clEvENKUlvE0_clEvEUlffE_EESt5arrayIPcLm3EEEEviT0_T1_,@function
_ZN2at6native29vectorized_elementwise_kernelILi2ENS0_13BinaryFunctorIfffZZZNS0_12_GLOBAL__N_133hermite_polynomial_he_kernel_cudaERNS_18TensorIteratorBaseEENKUlvE_clEvENKUlvE0_clEvEUlffE_EESt5arrayIPcLm3EEEEviT0_T1_: ; @_ZN2at6native29vectorized_elementwise_kernelILi2ENS0_13BinaryFunctorIfffZZZNS0_12_GLOBAL__N_133hermite_polynomial_he_kernel_cudaERNS_18TensorIteratorBaseEENKUlvE_clEvENKUlvE0_clEvEUlffE_EESt5arrayIPcLm3EEEEviT0_T1_
; %bb.0:
	s_load_dword s0, s[4:5], 0x0
	s_load_dwordx4 s[8:11], s[4:5], 0x8
	s_load_dwordx2 s[12:13], s[4:5], 0x18
	s_lshl_b32 s2, s6, 10
	s_waitcnt lgkmcnt(0)
	s_sub_i32 s22, s0, s2
	s_cmpk_gt_i32 s22, 0x3ff
	s_mov_b64 s[0:1], -1
	s_cbranch_scc0 .LBB43_50
; %bb.1:
	s_ashr_i32 s3, s2, 31
	s_lshl_b64 s[0:1], s[2:3], 2
	s_add_u32 s4, s10, s0
	s_addc_u32 s5, s11, s1
	s_add_u32 s6, s12, s0
	v_lshlrev_b32_e32 v1, 3, v0
	s_addc_u32 s7, s13, s1
	global_load_dwordx2 v[4:5], v1, s[6:7]
	global_load_dwordx2 v[8:9], v1, s[4:5]
	global_load_dwordx2 v[2:3], v1, s[4:5] offset:2048
	global_load_dwordx2 v[6:7], v1, s[6:7] offset:2048
	s_mov_b32 s3, 0x2f800000
	s_mov_b32 s4, 0xcf800000
	s_waitcnt vmcnt(3)
	v_trunc_f32_e32 v10, v4
	v_mul_f32_e64 v4, |v10|, s3
	v_floor_f32_e32 v4, v4
	v_fma_f32 v11, v4, s4, |v10|
	v_cvt_u32_f32_e32 v11, v11
	v_cvt_u32_f32_e32 v12, v4
	v_ashrrev_i32_e32 v13, 31, v10
	v_mov_b32_e32 v4, 0
	v_xor_b32_e32 v10, v11, v13
	v_xor_b32_e32 v12, v12, v13
	v_sub_co_u32_e32 v10, vcc, v10, v13
	v_subb_co_u32_e32 v11, vcc, v12, v13, vcc
	v_cmp_lt_i64_e32 vcc, -1, v[10:11]
	s_and_saveexec_b64 s[4:5], vcc
	s_cbranch_execz .LBB43_13
; %bb.2:
	v_cmp_lt_i64_e32 vcc, 0, v[10:11]
	v_mov_b32_e32 v4, 1.0
	s_and_saveexec_b64 s[6:7], vcc
	s_cbranch_execz .LBB43_12
; %bb.3:
	v_cmp_ne_u64_e32 vcc, 1, v[10:11]
                                        ; implicit-def: $vgpr4
	s_and_saveexec_b64 s[14:15], vcc
	s_xor_b64 s[14:15], exec, s[14:15]
	s_cbranch_execz .LBB43_9
; %bb.4:
	s_mov_b64 s[16:17], 0x81
	v_cmp_gt_u64_e32 vcc, s[16:17], v[10:11]
	v_mov_b32_e32 v4, 0x7fc00000
	s_and_saveexec_b64 s[16:17], vcc
	s_cbranch_execz .LBB43_8
; %bb.5:
	s_mov_b64 s[20:21], 1
	s_mov_b64 s[18:19], 0
	v_mov_b32_e32 v12, 1.0
	s_waitcnt vmcnt(2)
	v_mov_b32_e32 v4, v8
.LBB43_6:                               ; =>This Inner Loop Header: Depth=1
	s_flbit_i32_b32 s3, s21
	s_min_u32 s3, s3, 32
	s_lshl_b64 s[24:25], s[20:21], s3
	s_min_u32 s23, s24, 1
	s_or_b32 s23, s25, s23
	v_cvt_f32_u32_e32 v13, s23
	s_sub_i32 s3, 32, s3
	s_add_u32 s20, s20, 1
	s_addc_u32 s21, s21, 0
	v_ldexp_f32 v13, v13, s3
	v_cmp_eq_u64_e32 vcc, s[20:21], v[10:11]
	v_mul_f32_e32 v13, v12, v13
	s_or_b64 s[18:19], vcc, s[18:19]
	v_mov_b32_e32 v12, v4
	v_fma_f32 v4, v8, v4, -v13
	s_andn2_b64 exec, exec, s[18:19]
	s_cbranch_execnz .LBB43_6
; %bb.7:
	s_or_b64 exec, exec, s[18:19]
.LBB43_8:
	s_or_b64 exec, exec, s[16:17]
.LBB43_9:
	s_andn2_saveexec_b64 s[14:15], s[14:15]
	s_cbranch_execz .LBB43_11
; %bb.10:
	s_waitcnt vmcnt(2)
	v_mov_b32_e32 v4, v8
.LBB43_11:
	s_or_b64 exec, exec, s[14:15]
.LBB43_12:
	s_or_b64 exec, exec, s[6:7]
.LBB43_13:
	s_or_b64 exec, exec, s[4:5]
	v_trunc_f32_e32 v5, v5
	s_mov_b32 s3, 0x2f800000
	s_waitcnt vmcnt(2)
	v_mul_f32_e64 v8, |v5|, s3
	v_floor_f32_e32 v8, v8
	s_mov_b32 s3, 0xcf800000
	v_cvt_u32_f32_e32 v10, v8
	v_fma_f32 v8, v8, s3, |v5|
	v_cvt_u32_f32_e32 v8, v8
	v_ashrrev_i32_e32 v5, 31, v5
	v_xor_b32_e32 v11, v10, v5
	v_xor_b32_e32 v8, v8, v5
	v_sub_co_u32_e32 v10, vcc, v8, v5
	v_subb_co_u32_e32 v11, vcc, v11, v5, vcc
	v_cmp_lt_i64_e32 vcc, -1, v[10:11]
	v_mov_b32_e32 v5, 0
	s_and_saveexec_b64 s[4:5], vcc
	s_cbranch_execz .LBB43_25
; %bb.14:
	v_cmp_lt_i64_e32 vcc, 0, v[10:11]
	v_mov_b32_e32 v5, 1.0
	s_and_saveexec_b64 s[6:7], vcc
	s_cbranch_execz .LBB43_24
; %bb.15:
	v_cmp_ne_u64_e32 vcc, 1, v[10:11]
	s_and_saveexec_b64 s[14:15], vcc
	s_xor_b64 s[14:15], exec, s[14:15]
	s_cbranch_execz .LBB43_21
; %bb.16:
	s_mov_b64 s[16:17], 0x81
	v_cmp_gt_u64_e32 vcc, s[16:17], v[10:11]
	v_mov_b32_e32 v5, 0x7fc00000
	s_and_saveexec_b64 s[16:17], vcc
	s_cbranch_execz .LBB43_20
; %bb.17:
	s_mov_b64 s[20:21], 1
	s_mov_b64 s[18:19], 0
	v_mov_b32_e32 v8, 1.0
	v_mov_b32_e32 v5, v9
.LBB43_18:                              ; =>This Inner Loop Header: Depth=1
	s_flbit_i32_b32 s3, s21
	s_min_u32 s3, s3, 32
	s_lshl_b64 s[24:25], s[20:21], s3
	s_min_u32 s23, s24, 1
	s_or_b32 s23, s25, s23
	v_cvt_f32_u32_e32 v12, s23
	s_sub_i32 s3, 32, s3
	s_add_u32 s20, s20, 1
	s_addc_u32 s21, s21, 0
	v_ldexp_f32 v12, v12, s3
	v_cmp_eq_u64_e32 vcc, s[20:21], v[10:11]
	v_mul_f32_e32 v12, v8, v12
	s_or_b64 s[18:19], vcc, s[18:19]
	v_mov_b32_e32 v8, v5
	v_fma_f32 v5, v9, v5, -v12
	s_andn2_b64 exec, exec, s[18:19]
	s_cbranch_execnz .LBB43_18
; %bb.19:
	s_or_b64 exec, exec, s[18:19]
.LBB43_20:
	s_or_b64 exec, exec, s[16:17]
                                        ; implicit-def: $vgpr9
.LBB43_21:
	s_andn2_saveexec_b64 s[14:15], s[14:15]
; %bb.22:
	v_mov_b32_e32 v5, v9
; %bb.23:
	s_or_b64 exec, exec, s[14:15]
.LBB43_24:
	s_or_b64 exec, exec, s[6:7]
.LBB43_25:
	s_or_b64 exec, exec, s[4:5]
	s_waitcnt vmcnt(0)
	v_trunc_f32_e32 v6, v6
	s_mov_b32 s3, 0x2f800000
	v_mul_f32_e64 v8, |v6|, s3
	v_floor_f32_e32 v8, v8
	s_mov_b32 s3, 0xcf800000
	v_cvt_u32_f32_e32 v9, v8
	v_fma_f32 v8, v8, s3, |v6|
	v_cvt_u32_f32_e32 v8, v8
	v_ashrrev_i32_e32 v6, 31, v6
	v_xor_b32_e32 v9, v9, v6
	v_xor_b32_e32 v8, v8, v6
	v_sub_co_u32_e32 v8, vcc, v8, v6
	v_subb_co_u32_e32 v9, vcc, v9, v6, vcc
	v_cmp_lt_i64_e32 vcc, -1, v[8:9]
	v_mov_b32_e32 v6, 0
	s_and_saveexec_b64 s[4:5], vcc
	s_cbranch_execz .LBB43_37
; %bb.26:
	v_cmp_lt_i64_e32 vcc, 0, v[8:9]
	v_mov_b32_e32 v6, 1.0
	s_and_saveexec_b64 s[6:7], vcc
	s_cbranch_execz .LBB43_36
; %bb.27:
	v_cmp_ne_u64_e32 vcc, 1, v[8:9]
                                        ; implicit-def: $vgpr6
	s_and_saveexec_b64 s[14:15], vcc
	s_xor_b64 s[14:15], exec, s[14:15]
	s_cbranch_execz .LBB43_33
; %bb.28:
	s_mov_b64 s[16:17], 0x81
	v_cmp_gt_u64_e32 vcc, s[16:17], v[8:9]
	v_mov_b32_e32 v6, 0x7fc00000
	s_and_saveexec_b64 s[16:17], vcc
	s_cbranch_execz .LBB43_32
; %bb.29:
	s_mov_b64 s[20:21], 1
	s_mov_b64 s[18:19], 0
	v_mov_b32_e32 v10, 1.0
	v_mov_b32_e32 v6, v2
.LBB43_30:                              ; =>This Inner Loop Header: Depth=1
	s_flbit_i32_b32 s3, s21
	s_min_u32 s3, s3, 32
	s_lshl_b64 s[24:25], s[20:21], s3
	s_min_u32 s23, s24, 1
	s_or_b32 s23, s25, s23
	v_cvt_f32_u32_e32 v11, s23
	s_sub_i32 s3, 32, s3
	s_add_u32 s20, s20, 1
	s_addc_u32 s21, s21, 0
	v_ldexp_f32 v11, v11, s3
	v_cmp_eq_u64_e32 vcc, s[20:21], v[8:9]
	v_mul_f32_e32 v11, v10, v11
	s_or_b64 s[18:19], vcc, s[18:19]
	v_mov_b32_e32 v10, v6
	v_fma_f32 v6, v2, v6, -v11
	s_andn2_b64 exec, exec, s[18:19]
	s_cbranch_execnz .LBB43_30
; %bb.31:
	s_or_b64 exec, exec, s[18:19]
.LBB43_32:
	s_or_b64 exec, exec, s[16:17]
.LBB43_33:
	s_andn2_saveexec_b64 s[14:15], s[14:15]
; %bb.34:
	v_mov_b32_e32 v6, v2
; %bb.35:
	s_or_b64 exec, exec, s[14:15]
.LBB43_36:
	s_or_b64 exec, exec, s[6:7]
.LBB43_37:
	s_or_b64 exec, exec, s[4:5]
	v_trunc_f32_e32 v2, v7
	s_mov_b32 s3, 0x2f800000
	v_mul_f32_e64 v7, |v2|, s3
	v_floor_f32_e32 v7, v7
	s_mov_b32 s3, 0xcf800000
	v_cvt_u32_f32_e32 v8, v7
	v_fma_f32 v7, v7, s3, |v2|
	v_cvt_u32_f32_e32 v7, v7
	v_ashrrev_i32_e32 v2, 31, v2
	v_xor_b32_e32 v9, v8, v2
	v_xor_b32_e32 v7, v7, v2
	v_sub_co_u32_e32 v8, vcc, v7, v2
	v_subb_co_u32_e32 v9, vcc, v9, v2, vcc
	v_cmp_lt_i64_e32 vcc, -1, v[8:9]
	v_mov_b32_e32 v7, 0
	s_and_saveexec_b64 s[4:5], vcc
	s_cbranch_execz .LBB43_49
; %bb.38:
	v_cmp_lt_i64_e32 vcc, 0, v[8:9]
	v_mov_b32_e32 v7, 1.0
	s_and_saveexec_b64 s[6:7], vcc
	s_cbranch_execz .LBB43_48
; %bb.39:
	v_cmp_ne_u64_e32 vcc, 1, v[8:9]
	s_and_saveexec_b64 s[14:15], vcc
	s_xor_b64 s[14:15], exec, s[14:15]
	s_cbranch_execz .LBB43_45
; %bb.40:
	s_mov_b64 s[16:17], 0x81
	v_cmp_gt_u64_e32 vcc, s[16:17], v[8:9]
	v_mov_b32_e32 v7, 0x7fc00000
	s_and_saveexec_b64 s[16:17], vcc
	s_cbranch_execz .LBB43_44
; %bb.41:
	s_mov_b64 s[20:21], 1
	s_mov_b64 s[18:19], 0
	v_mov_b32_e32 v2, 1.0
	v_mov_b32_e32 v7, v3
.LBB43_42:                              ; =>This Inner Loop Header: Depth=1
	s_flbit_i32_b32 s3, s21
	s_min_u32 s3, s3, 32
	s_lshl_b64 s[24:25], s[20:21], s3
	s_min_u32 s23, s24, 1
	s_or_b32 s23, s25, s23
	v_cvt_f32_u32_e32 v10, s23
	s_sub_i32 s3, 32, s3
	s_add_u32 s20, s20, 1
	s_addc_u32 s21, s21, 0
	v_ldexp_f32 v10, v10, s3
	v_cmp_eq_u64_e32 vcc, s[20:21], v[8:9]
	v_mul_f32_e32 v10, v2, v10
	s_or_b64 s[18:19], vcc, s[18:19]
	v_mov_b32_e32 v2, v7
	v_fma_f32 v7, v3, v7, -v10
	s_andn2_b64 exec, exec, s[18:19]
	s_cbranch_execnz .LBB43_42
; %bb.43:
	s_or_b64 exec, exec, s[18:19]
.LBB43_44:
	s_or_b64 exec, exec, s[16:17]
                                        ; implicit-def: $vgpr3
.LBB43_45:
	s_andn2_saveexec_b64 s[14:15], s[14:15]
; %bb.46:
	v_mov_b32_e32 v7, v3
; %bb.47:
	s_or_b64 exec, exec, s[14:15]
.LBB43_48:
	s_or_b64 exec, exec, s[6:7]
.LBB43_49:
	s_or_b64 exec, exec, s[4:5]
	s_add_u32 s0, s8, s0
	s_addc_u32 s1, s9, s1
	global_store_dwordx2 v1, v[4:5], s[0:1]
	global_store_dwordx2 v1, v[6:7], s[0:1] offset:2048
	s_mov_b64 s[0:1], 0
.LBB43_50:
	s_and_b64 vcc, exec, s[0:1]
	s_cbranch_vccz .LBB43_107
; %bb.51:
	v_cmp_gt_i32_e32 vcc, s22, v0
	v_mov_b32_e32 v12, 0
	v_or_b32_e32 v6, s2, v0
	v_mov_b32_e32 v8, 0
	v_mov_b32_e32 v11, 0
	;; [unrolled: 1-line block ×3, first 2 shown]
	s_and_saveexec_b64 s[4:5], vcc
	s_cbranch_execz .LBB43_53
; %bb.52:
	v_mov_b32_e32 v7, 0
	v_lshlrev_b64 v[2:3], 2, v[6:7]
	v_mov_b32_e32 v1, s13
	v_add_co_u32_e64 v4, s[0:1], s12, v2
	v_addc_co_u32_e64 v5, s[0:1], v1, v3, s[0:1]
	v_mov_b32_e32 v1, s11
	v_add_co_u32_e64 v2, s[0:1], s10, v2
	v_addc_co_u32_e64 v3, s[0:1], v1, v3, s[0:1]
	global_load_dword v8, v[2:3], off
	global_load_dword v11, v[4:5], off
	v_or_b32_e32 v2, 0x100, v0
.LBB43_53:
	s_or_b64 exec, exec, s[4:5]
	v_cmp_gt_i32_e64 s[0:1], s22, v2
	v_mov_b32_e32 v9, 0
	s_and_saveexec_b64 s[4:5], s[0:1]
	s_cbranch_execz .LBB43_55
; %bb.54:
	v_add_u32_e32 v4, s2, v2
	v_mov_b32_e32 v5, 0
	v_lshlrev_b64 v[4:5], 2, v[4:5]
	v_mov_b32_e32 v1, s13
	v_add_co_u32_e64 v14, s[0:1], s12, v4
	v_addc_co_u32_e64 v15, s[0:1], v1, v5, s[0:1]
	v_mov_b32_e32 v1, s11
	v_add_co_u32_e64 v4, s[0:1], s10, v4
	v_addc_co_u32_e64 v5, s[0:1], v1, v5, s[0:1]
	global_load_dword v12, v[4:5], off
	global_load_dword v9, v[14:15], off
	v_add_u32_e32 v2, 0x100, v2
.LBB43_55:
	s_or_b64 exec, exec, s[4:5]
	v_cmp_gt_i32_e64 s[0:1], s22, v2
	v_mov_b32_e32 v1, 0
	v_mov_b32_e32 v7, 0
	;; [unrolled: 1-line block ×3, first 2 shown]
	s_and_saveexec_b64 s[4:5], s[0:1]
	s_cbranch_execz .LBB43_57
; %bb.56:
	v_add_u32_e32 v4, s2, v2
	v_mov_b32_e32 v5, 0
	v_lshlrev_b64 v[4:5], 2, v[4:5]
	v_mov_b32_e32 v3, s13
	v_add_co_u32_e64 v14, s[0:1], s12, v4
	v_addc_co_u32_e64 v15, s[0:1], v3, v5, s[0:1]
	v_mov_b32_e32 v3, s11
	v_add_co_u32_e64 v4, s[0:1], s10, v4
	v_addc_co_u32_e64 v5, s[0:1], v3, v5, s[0:1]
	global_load_dword v7, v[4:5], off
	global_load_dword v13, v[14:15], off
	v_add_u32_e32 v2, 0x100, v2
.LBB43_57:
	s_or_b64 exec, exec, s[4:5]
	v_cmp_gt_i32_e64 s[0:1], s22, v2
	v_mov_b32_e32 v10, 0
	s_and_saveexec_b64 s[4:5], s[0:1]
	s_cbranch_execz .LBB43_59
; %bb.58:
	v_add_u32_e32 v2, s2, v2
	v_mov_b32_e32 v3, 0
	v_lshlrev_b64 v[2:3], 2, v[2:3]
	v_mov_b32_e32 v1, s13
	v_add_co_u32_e64 v4, s[0:1], s12, v2
	v_addc_co_u32_e64 v5, s[0:1], v1, v3, s[0:1]
	v_mov_b32_e32 v1, s11
	v_add_co_u32_e64 v2, s[0:1], s10, v2
	v_addc_co_u32_e64 v3, s[0:1], v1, v3, s[0:1]
	global_load_dword v1, v[2:3], off
	global_load_dword v10, v[4:5], off
.LBB43_59:
	s_or_b64 exec, exec, s[4:5]
                                        ; implicit-def: $vgpr2_vgpr3_vgpr4_vgpr5
	s_and_saveexec_b64 s[4:5], vcc
	s_cbranch_execz .LBB43_73
; %bb.60:
	s_waitcnt vmcnt(0)
	v_trunc_f32_e32 v2, v11
	s_mov_b32 s0, 0x2f800000
	v_mul_f32_e64 v3, |v2|, s0
	v_floor_f32_e32 v3, v3
	s_mov_b32 s0, 0xcf800000
	v_cvt_u32_f32_e32 v4, v3
	v_fma_f32 v3, v3, s0, |v2|
	v_cvt_u32_f32_e32 v3, v3
	v_ashrrev_i32_e32 v2, 31, v2
	v_xor_b32_e32 v5, v4, v2
	v_xor_b32_e32 v3, v3, v2
	v_sub_co_u32_e64 v4, s[0:1], v3, v2
	v_subb_co_u32_e64 v5, s[0:1], v5, v2, s[0:1]
	v_cmp_lt_i64_e64 s[0:1], -1, v[4:5]
	v_mov_b32_e32 v2, 0
	s_and_saveexec_b64 s[6:7], s[0:1]
	s_cbranch_execz .LBB43_72
; %bb.61:
	v_cmp_lt_i64_e64 s[0:1], 0, v[4:5]
	v_mov_b32_e32 v2, 1.0
	s_and_saveexec_b64 s[10:11], s[0:1]
	s_cbranch_execz .LBB43_71
; %bb.62:
	v_cmp_ne_u64_e64 s[0:1], 1, v[4:5]
                                        ; implicit-def: $vgpr2
	s_and_saveexec_b64 s[12:13], s[0:1]
	s_xor_b64 s[12:13], exec, s[12:13]
	s_cbranch_execz .LBB43_68
; %bb.63:
	s_mov_b64 s[0:1], 0x81
	v_cmp_gt_u64_e64 s[0:1], s[0:1], v[4:5]
	v_mov_b32_e32 v2, 0x7fc00000
	s_and_saveexec_b64 s[14:15], s[0:1]
	s_cbranch_execz .LBB43_67
; %bb.64:
	s_mov_b64 s[18:19], 1
	s_mov_b64 s[16:17], 0
	v_mov_b32_e32 v3, 1.0
	v_mov_b32_e32 v2, v8
.LBB43_65:                              ; =>This Inner Loop Header: Depth=1
	s_flbit_i32_b32 s0, s19
	s_min_u32 s3, s0, 32
	s_lshl_b64 s[0:1], s[18:19], s3
	s_min_u32 s0, s0, 1
	s_or_b32 s0, s1, s0
	v_cvt_f32_u32_e32 v11, s0
	s_sub_i32 s3, 32, s3
	s_add_u32 s18, s18, 1
	s_addc_u32 s19, s19, 0
	v_ldexp_f32 v11, v11, s3
	v_cmp_eq_u64_e64 s[0:1], s[18:19], v[4:5]
	v_mul_f32_e32 v11, v3, v11
	s_or_b64 s[16:17], s[0:1], s[16:17]
	v_mov_b32_e32 v3, v2
	v_fma_f32 v2, v8, v2, -v11
	s_andn2_b64 exec, exec, s[16:17]
	s_cbranch_execnz .LBB43_65
; %bb.66:
	s_or_b64 exec, exec, s[16:17]
.LBB43_67:
	s_or_b64 exec, exec, s[14:15]
                                        ; implicit-def: $vgpr8
.LBB43_68:
	s_andn2_saveexec_b64 s[0:1], s[12:13]
; %bb.69:
	v_mov_b32_e32 v2, v8
; %bb.70:
	s_or_b64 exec, exec, s[0:1]
.LBB43_71:
	s_or_b64 exec, exec, s[10:11]
.LBB43_72:
	s_or_b64 exec, exec, s[6:7]
.LBB43_73:
	s_or_b64 exec, exec, s[4:5]
	s_waitcnt vmcnt(0)
	v_or_b32_e32 v11, 0x100, v0
	v_cmp_gt_i32_e64 s[0:1], s22, v11
	s_and_saveexec_b64 s[4:5], s[0:1]
	s_cbranch_execz .LBB43_87
; %bb.74:
	v_trunc_f32_e32 v3, v9
	s_mov_b32 s0, 0x2f800000
	v_mul_f32_e64 v8, |v3|, s0
	v_floor_f32_e32 v8, v8
	s_mov_b32 s0, 0xcf800000
	v_cvt_u32_f32_e32 v9, v8
	v_fma_f32 v8, v8, s0, |v3|
	v_cvt_u32_f32_e32 v8, v8
	v_ashrrev_i32_e32 v3, 31, v3
	v_xor_b32_e32 v9, v9, v3
	v_xor_b32_e32 v8, v8, v3
	v_sub_co_u32_e64 v8, s[0:1], v8, v3
	v_subb_co_u32_e64 v9, s[0:1], v9, v3, s[0:1]
	v_cmp_lt_i64_e64 s[0:1], -1, v[8:9]
	v_mov_b32_e32 v3, 0
	s_and_saveexec_b64 s[6:7], s[0:1]
	s_cbranch_execz .LBB43_86
; %bb.75:
	v_cmp_lt_i64_e64 s[0:1], 0, v[8:9]
	v_mov_b32_e32 v3, 1.0
	s_and_saveexec_b64 s[10:11], s[0:1]
	s_cbranch_execz .LBB43_85
; %bb.76:
	v_cmp_ne_u64_e64 s[0:1], 1, v[8:9]
	s_and_saveexec_b64 s[12:13], s[0:1]
	s_xor_b64 s[12:13], exec, s[12:13]
	s_cbranch_execz .LBB43_82
; %bb.77:
	s_mov_b64 s[0:1], 0x81
	v_cmp_gt_u64_e64 s[0:1], s[0:1], v[8:9]
	v_mov_b32_e32 v3, 0x7fc00000
	s_and_saveexec_b64 s[14:15], s[0:1]
	s_cbranch_execz .LBB43_81
; %bb.78:
	s_mov_b64 s[18:19], 1
	s_mov_b64 s[16:17], 0
	v_mov_b32_e32 v14, 1.0
	v_mov_b32_e32 v3, v12
.LBB43_79:                              ; =>This Inner Loop Header: Depth=1
	s_flbit_i32_b32 s0, s19
	s_min_u32 s3, s0, 32
	s_lshl_b64 s[0:1], s[18:19], s3
	s_min_u32 s0, s0, 1
	s_or_b32 s0, s1, s0
	v_cvt_f32_u32_e32 v15, s0
	s_sub_i32 s3, 32, s3
	s_add_u32 s18, s18, 1
	s_addc_u32 s19, s19, 0
	v_ldexp_f32 v15, v15, s3
	v_cmp_eq_u64_e64 s[0:1], s[18:19], v[8:9]
	v_mul_f32_e32 v15, v14, v15
	s_or_b64 s[16:17], s[0:1], s[16:17]
	v_mov_b32_e32 v14, v3
	v_fma_f32 v3, v12, v3, -v15
	s_andn2_b64 exec, exec, s[16:17]
	s_cbranch_execnz .LBB43_79
; %bb.80:
	s_or_b64 exec, exec, s[16:17]
.LBB43_81:
	s_or_b64 exec, exec, s[14:15]
                                        ; implicit-def: $vgpr12
.LBB43_82:
	s_andn2_saveexec_b64 s[0:1], s[12:13]
; %bb.83:
	v_mov_b32_e32 v3, v12
; %bb.84:
	s_or_b64 exec, exec, s[0:1]
.LBB43_85:
	s_or_b64 exec, exec, s[10:11]
.LBB43_86:
	s_or_b64 exec, exec, s[6:7]
.LBB43_87:
	s_or_b64 exec, exec, s[4:5]
	v_or_b32_e32 v8, 0x200, v0
	v_cmp_gt_i32_e64 s[0:1], s22, v8
	s_and_saveexec_b64 s[4:5], s[0:1]
	s_cbranch_execz .LBB43_101
; %bb.88:
	v_trunc_f32_e32 v4, v13
	s_mov_b32 s0, 0x2f800000
	v_mul_f32_e64 v8, |v4|, s0
	v_floor_f32_e32 v8, v8
	s_mov_b32 s0, 0xcf800000
	v_cvt_u32_f32_e32 v9, v8
	v_fma_f32 v8, v8, s0, |v4|
	v_cvt_u32_f32_e32 v8, v8
	v_ashrrev_i32_e32 v4, 31, v4
	v_xor_b32_e32 v9, v9, v4
	v_xor_b32_e32 v8, v8, v4
	v_sub_co_u32_e64 v8, s[0:1], v8, v4
	v_subb_co_u32_e64 v9, s[0:1], v9, v4, s[0:1]
	v_cmp_lt_i64_e64 s[0:1], -1, v[8:9]
	v_mov_b32_e32 v4, 0
	s_and_saveexec_b64 s[6:7], s[0:1]
	s_cbranch_execz .LBB43_100
; %bb.89:
	v_cmp_lt_i64_e64 s[0:1], 0, v[8:9]
	v_mov_b32_e32 v4, 1.0
	s_and_saveexec_b64 s[10:11], s[0:1]
	s_cbranch_execz .LBB43_99
; %bb.90:
	v_cmp_ne_u64_e64 s[0:1], 1, v[8:9]
	s_and_saveexec_b64 s[12:13], s[0:1]
	s_xor_b64 s[12:13], exec, s[12:13]
	s_cbranch_execz .LBB43_96
; %bb.91:
	s_mov_b64 s[0:1], 0x81
	v_cmp_gt_u64_e64 s[0:1], s[0:1], v[8:9]
	v_mov_b32_e32 v4, 0x7fc00000
	s_and_saveexec_b64 s[14:15], s[0:1]
	s_cbranch_execz .LBB43_95
; %bb.92:
	s_mov_b64 s[18:19], 1
	s_mov_b64 s[16:17], 0
	v_mov_b32_e32 v12, 1.0
	v_mov_b32_e32 v4, v7
.LBB43_93:                              ; =>This Inner Loop Header: Depth=1
	s_flbit_i32_b32 s0, s19
	s_min_u32 s3, s0, 32
	s_lshl_b64 s[0:1], s[18:19], s3
	s_min_u32 s0, s0, 1
	s_or_b32 s0, s1, s0
	v_cvt_f32_u32_e32 v13, s0
	s_sub_i32 s3, 32, s3
	s_add_u32 s18, s18, 1
	s_addc_u32 s19, s19, 0
	v_ldexp_f32 v13, v13, s3
	v_cmp_eq_u64_e64 s[0:1], s[18:19], v[8:9]
	v_mul_f32_e32 v13, v12, v13
	s_or_b64 s[16:17], s[0:1], s[16:17]
	v_mov_b32_e32 v12, v4
	v_fma_f32 v4, v7, v4, -v13
	s_andn2_b64 exec, exec, s[16:17]
	s_cbranch_execnz .LBB43_93
; %bb.94:
	s_or_b64 exec, exec, s[16:17]
.LBB43_95:
	s_or_b64 exec, exec, s[14:15]
                                        ; implicit-def: $vgpr7
.LBB43_96:
	s_andn2_saveexec_b64 s[0:1], s[12:13]
; %bb.97:
	v_mov_b32_e32 v4, v7
; %bb.98:
	s_or_b64 exec, exec, s[0:1]
.LBB43_99:
	s_or_b64 exec, exec, s[10:11]
.LBB43_100:
	s_or_b64 exec, exec, s[6:7]
.LBB43_101:
	s_or_b64 exec, exec, s[4:5]
	v_or_b32_e32 v7, 0x300, v0
	v_cmp_gt_i32_e64 s[0:1], s22, v7
	s_and_saveexec_b64 s[4:5], s[0:1]
	s_cbranch_execnz .LBB43_108
; %bb.102:
	s_or_b64 exec, exec, s[4:5]
	s_and_saveexec_b64 s[0:1], vcc
	s_xor_b64 s[0:1], exec, s[0:1]
	s_cbranch_execnz .LBB43_121
.LBB43_103:
	s_or_b64 exec, exec, s[0:1]
	v_cmp_gt_i32_e32 vcc, s22, v0
	s_and_saveexec_b64 s[0:1], vcc
	s_cbranch_execnz .LBB43_122
.LBB43_104:
	s_or_b64 exec, exec, s[0:1]
	v_cmp_gt_i32_e32 vcc, s22, v0
	s_and_saveexec_b64 s[0:1], vcc
	s_cbranch_execnz .LBB43_123
.LBB43_105:
	s_or_b64 exec, exec, s[0:1]
	v_cmp_gt_i32_e32 vcc, s22, v0
	s_and_saveexec_b64 s[0:1], vcc
	s_cbranch_execz .LBB43_107
.LBB43_106:
	v_add_u32_e32 v0, s2, v0
	v_mov_b32_e32 v1, 0
	v_lshlrev_b64 v[0:1], 2, v[0:1]
	v_mov_b32_e32 v2, s9
	v_add_co_u32_e32 v0, vcc, s8, v0
	v_addc_co_u32_e32 v1, vcc, v2, v1, vcc
	global_store_dword v[0:1], v5, off
.LBB43_107:
	s_endpgm
.LBB43_108:
	v_trunc_f32_e32 v5, v10
	s_mov_b32 s0, 0x2f800000
	v_mul_f32_e64 v7, |v5|, s0
	v_floor_f32_e32 v7, v7
	s_mov_b32 s0, 0xcf800000
	v_cvt_u32_f32_e32 v8, v7
	v_fma_f32 v7, v7, s0, |v5|
	v_cvt_u32_f32_e32 v7, v7
	v_ashrrev_i32_e32 v5, 31, v5
	v_xor_b32_e32 v9, v8, v5
	v_xor_b32_e32 v7, v7, v5
	v_sub_co_u32_e64 v8, s[0:1], v7, v5
	v_subb_co_u32_e64 v9, s[0:1], v9, v5, s[0:1]
	v_cmp_lt_i64_e64 s[0:1], -1, v[8:9]
	v_mov_b32_e32 v5, 0
	s_and_saveexec_b64 s[6:7], s[0:1]
	s_cbranch_execz .LBB43_120
; %bb.109:
	v_cmp_lt_i64_e64 s[0:1], 0, v[8:9]
	v_mov_b32_e32 v5, 1.0
	s_and_saveexec_b64 s[10:11], s[0:1]
	s_cbranch_execz .LBB43_119
; %bb.110:
	v_cmp_ne_u64_e64 s[0:1], 1, v[8:9]
	s_and_saveexec_b64 s[12:13], s[0:1]
	s_xor_b64 s[12:13], exec, s[12:13]
	s_cbranch_execz .LBB43_116
; %bb.111:
	s_mov_b64 s[0:1], 0x81
	v_cmp_gt_u64_e64 s[0:1], s[0:1], v[8:9]
	v_mov_b32_e32 v5, 0x7fc00000
	s_and_saveexec_b64 s[14:15], s[0:1]
	s_cbranch_execz .LBB43_115
; %bb.112:
	s_mov_b64 s[18:19], 1
	s_mov_b64 s[16:17], 0
	v_mov_b32_e32 v7, 1.0
	v_mov_b32_e32 v5, v1
.LBB43_113:                             ; =>This Inner Loop Header: Depth=1
	s_flbit_i32_b32 s0, s19
	s_min_u32 s3, s0, 32
	s_lshl_b64 s[0:1], s[18:19], s3
	s_min_u32 s0, s0, 1
	s_or_b32 s0, s1, s0
	v_cvt_f32_u32_e32 v10, s0
	s_sub_i32 s3, 32, s3
	s_add_u32 s18, s18, 1
	s_addc_u32 s19, s19, 0
	v_ldexp_f32 v10, v10, s3
	v_cmp_eq_u64_e64 s[0:1], s[18:19], v[8:9]
	v_mul_f32_e32 v10, v7, v10
	s_or_b64 s[16:17], s[0:1], s[16:17]
	v_mov_b32_e32 v7, v5
	v_fma_f32 v5, v1, v5, -v10
	s_andn2_b64 exec, exec, s[16:17]
	s_cbranch_execnz .LBB43_113
; %bb.114:
	s_or_b64 exec, exec, s[16:17]
.LBB43_115:
	s_or_b64 exec, exec, s[14:15]
                                        ; implicit-def: $vgpr1
.LBB43_116:
	s_andn2_saveexec_b64 s[0:1], s[12:13]
; %bb.117:
	v_mov_b32_e32 v5, v1
; %bb.118:
	s_or_b64 exec, exec, s[0:1]
.LBB43_119:
	s_or_b64 exec, exec, s[10:11]
.LBB43_120:
	s_or_b64 exec, exec, s[6:7]
	s_or_b64 exec, exec, s[4:5]
	s_and_saveexec_b64 s[0:1], vcc
	s_xor_b64 s[0:1], exec, s[0:1]
	s_cbranch_execz .LBB43_103
.LBB43_121:
	v_mov_b32_e32 v7, 0
	v_lshlrev_b64 v[0:1], 2, v[6:7]
	v_mov_b32_e32 v6, s9
	v_add_co_u32_e32 v0, vcc, s8, v0
	v_addc_co_u32_e32 v1, vcc, v6, v1, vcc
	global_store_dword v[0:1], v2, off
	v_mov_b32_e32 v0, v11
	s_or_b64 exec, exec, s[0:1]
	v_cmp_gt_i32_e32 vcc, s22, v0
	s_and_saveexec_b64 s[0:1], vcc
	s_cbranch_execz .LBB43_104
.LBB43_122:
	v_add_u32_e32 v6, s2, v0
	v_mov_b32_e32 v7, 0
	v_lshlrev_b64 v[6:7], 2, v[6:7]
	v_mov_b32_e32 v1, s9
	v_add_co_u32_e32 v6, vcc, s8, v6
	v_addc_co_u32_e32 v7, vcc, v1, v7, vcc
	v_add_u32_e32 v0, 0x100, v0
	global_store_dword v[6:7], v3, off
	s_or_b64 exec, exec, s[0:1]
	v_cmp_gt_i32_e32 vcc, s22, v0
	s_and_saveexec_b64 s[0:1], vcc
	s_cbranch_execz .LBB43_105
.LBB43_123:
	v_add_u32_e32 v2, s2, v0
	v_mov_b32_e32 v3, 0
	v_lshlrev_b64 v[2:3], 2, v[2:3]
	v_mov_b32_e32 v1, s9
	v_add_co_u32_e32 v2, vcc, s8, v2
	v_addc_co_u32_e32 v3, vcc, v1, v3, vcc
	v_add_u32_e32 v0, 0x100, v0
	global_store_dword v[2:3], v4, off
	s_or_b64 exec, exec, s[0:1]
	v_cmp_gt_i32_e32 vcc, s22, v0
	s_and_saveexec_b64 s[0:1], vcc
	s_cbranch_execnz .LBB43_106
	s_branch .LBB43_107
	.section	.rodata,"a",@progbits
	.p2align	6, 0x0
	.amdhsa_kernel _ZN2at6native29vectorized_elementwise_kernelILi2ENS0_13BinaryFunctorIfffZZZNS0_12_GLOBAL__N_133hermite_polynomial_he_kernel_cudaERNS_18TensorIteratorBaseEENKUlvE_clEvENKUlvE0_clEvEUlffE_EESt5arrayIPcLm3EEEEviT0_T1_
		.amdhsa_group_segment_fixed_size 0
		.amdhsa_private_segment_fixed_size 0
		.amdhsa_kernarg_size 32
		.amdhsa_user_sgpr_count 6
		.amdhsa_user_sgpr_private_segment_buffer 1
		.amdhsa_user_sgpr_dispatch_ptr 0
		.amdhsa_user_sgpr_queue_ptr 0
		.amdhsa_user_sgpr_kernarg_segment_ptr 1
		.amdhsa_user_sgpr_dispatch_id 0
		.amdhsa_user_sgpr_flat_scratch_init 0
		.amdhsa_user_sgpr_kernarg_preload_length 0
		.amdhsa_user_sgpr_kernarg_preload_offset 0
		.amdhsa_user_sgpr_private_segment_size 0
		.amdhsa_uses_dynamic_stack 0
		.amdhsa_system_sgpr_private_segment_wavefront_offset 0
		.amdhsa_system_sgpr_workgroup_id_x 1
		.amdhsa_system_sgpr_workgroup_id_y 0
		.amdhsa_system_sgpr_workgroup_id_z 0
		.amdhsa_system_sgpr_workgroup_info 0
		.amdhsa_system_vgpr_workitem_id 0
		.amdhsa_next_free_vgpr 16
		.amdhsa_next_free_sgpr 26
		.amdhsa_accum_offset 16
		.amdhsa_reserve_vcc 1
		.amdhsa_reserve_flat_scratch 0
		.amdhsa_float_round_mode_32 0
		.amdhsa_float_round_mode_16_64 0
		.amdhsa_float_denorm_mode_32 3
		.amdhsa_float_denorm_mode_16_64 3
		.amdhsa_dx10_clamp 1
		.amdhsa_ieee_mode 1
		.amdhsa_fp16_overflow 0
		.amdhsa_tg_split 0
		.amdhsa_exception_fp_ieee_invalid_op 0
		.amdhsa_exception_fp_denorm_src 0
		.amdhsa_exception_fp_ieee_div_zero 0
		.amdhsa_exception_fp_ieee_overflow 0
		.amdhsa_exception_fp_ieee_underflow 0
		.amdhsa_exception_fp_ieee_inexact 0
		.amdhsa_exception_int_div_zero 0
	.end_amdhsa_kernel
	.section	.text._ZN2at6native29vectorized_elementwise_kernelILi2ENS0_13BinaryFunctorIfffZZZNS0_12_GLOBAL__N_133hermite_polynomial_he_kernel_cudaERNS_18TensorIteratorBaseEENKUlvE_clEvENKUlvE0_clEvEUlffE_EESt5arrayIPcLm3EEEEviT0_T1_,"axG",@progbits,_ZN2at6native29vectorized_elementwise_kernelILi2ENS0_13BinaryFunctorIfffZZZNS0_12_GLOBAL__N_133hermite_polynomial_he_kernel_cudaERNS_18TensorIteratorBaseEENKUlvE_clEvENKUlvE0_clEvEUlffE_EESt5arrayIPcLm3EEEEviT0_T1_,comdat
.Lfunc_end43:
	.size	_ZN2at6native29vectorized_elementwise_kernelILi2ENS0_13BinaryFunctorIfffZZZNS0_12_GLOBAL__N_133hermite_polynomial_he_kernel_cudaERNS_18TensorIteratorBaseEENKUlvE_clEvENKUlvE0_clEvEUlffE_EESt5arrayIPcLm3EEEEviT0_T1_, .Lfunc_end43-_ZN2at6native29vectorized_elementwise_kernelILi2ENS0_13BinaryFunctorIfffZZZNS0_12_GLOBAL__N_133hermite_polynomial_he_kernel_cudaERNS_18TensorIteratorBaseEENKUlvE_clEvENKUlvE0_clEvEUlffE_EESt5arrayIPcLm3EEEEviT0_T1_
                                        ; -- End function
	.section	.AMDGPU.csdata,"",@progbits
; Kernel info:
; codeLenInByte = 3212
; NumSgprs: 30
; NumVgprs: 16
; NumAgprs: 0
; TotalNumVgprs: 16
; ScratchSize: 0
; MemoryBound: 0
; FloatMode: 240
; IeeeMode: 1
; LDSByteSize: 0 bytes/workgroup (compile time only)
; SGPRBlocks: 3
; VGPRBlocks: 1
; NumSGPRsForWavesPerEU: 30
; NumVGPRsForWavesPerEU: 16
; AccumOffset: 16
; Occupancy: 8
; WaveLimiterHint : 1
; COMPUTE_PGM_RSRC2:SCRATCH_EN: 0
; COMPUTE_PGM_RSRC2:USER_SGPR: 6
; COMPUTE_PGM_RSRC2:TRAP_HANDLER: 0
; COMPUTE_PGM_RSRC2:TGID_X_EN: 1
; COMPUTE_PGM_RSRC2:TGID_Y_EN: 0
; COMPUTE_PGM_RSRC2:TGID_Z_EN: 0
; COMPUTE_PGM_RSRC2:TIDIG_COMP_CNT: 0
; COMPUTE_PGM_RSRC3_GFX90A:ACCUM_OFFSET: 3
; COMPUTE_PGM_RSRC3_GFX90A:TG_SPLIT: 0
	.section	.text._ZN2at6native27unrolled_elementwise_kernelINS0_13BinaryFunctorIfffZZZNS0_12_GLOBAL__N_133hermite_polynomial_he_kernel_cudaERNS_18TensorIteratorBaseEENKUlvE_clEvENKUlvE0_clEvEUlffE_EESt5arrayIPcLm3EELi4E23TrivialOffsetCalculatorILi2EjESD_ILi1EjENS0_6memory15LoadWithoutCastENSG_16StoreWithoutCastEEEviT_T0_T2_T3_T4_T5_,"axG",@progbits,_ZN2at6native27unrolled_elementwise_kernelINS0_13BinaryFunctorIfffZZZNS0_12_GLOBAL__N_133hermite_polynomial_he_kernel_cudaERNS_18TensorIteratorBaseEENKUlvE_clEvENKUlvE0_clEvEUlffE_EESt5arrayIPcLm3EELi4E23TrivialOffsetCalculatorILi2EjESD_ILi1EjENS0_6memory15LoadWithoutCastENSG_16StoreWithoutCastEEEviT_T0_T2_T3_T4_T5_,comdat
	.globl	_ZN2at6native27unrolled_elementwise_kernelINS0_13BinaryFunctorIfffZZZNS0_12_GLOBAL__N_133hermite_polynomial_he_kernel_cudaERNS_18TensorIteratorBaseEENKUlvE_clEvENKUlvE0_clEvEUlffE_EESt5arrayIPcLm3EELi4E23TrivialOffsetCalculatorILi2EjESD_ILi1EjENS0_6memory15LoadWithoutCastENSG_16StoreWithoutCastEEEviT_T0_T2_T3_T4_T5_ ; -- Begin function _ZN2at6native27unrolled_elementwise_kernelINS0_13BinaryFunctorIfffZZZNS0_12_GLOBAL__N_133hermite_polynomial_he_kernel_cudaERNS_18TensorIteratorBaseEENKUlvE_clEvENKUlvE0_clEvEUlffE_EESt5arrayIPcLm3EELi4E23TrivialOffsetCalculatorILi2EjESD_ILi1EjENS0_6memory15LoadWithoutCastENSG_16StoreWithoutCastEEEviT_T0_T2_T3_T4_T5_
	.p2align	8
	.type	_ZN2at6native27unrolled_elementwise_kernelINS0_13BinaryFunctorIfffZZZNS0_12_GLOBAL__N_133hermite_polynomial_he_kernel_cudaERNS_18TensorIteratorBaseEENKUlvE_clEvENKUlvE0_clEvEUlffE_EESt5arrayIPcLm3EELi4E23TrivialOffsetCalculatorILi2EjESD_ILi1EjENS0_6memory15LoadWithoutCastENSG_16StoreWithoutCastEEEviT_T0_T2_T3_T4_T5_,@function
_ZN2at6native27unrolled_elementwise_kernelINS0_13BinaryFunctorIfffZZZNS0_12_GLOBAL__N_133hermite_polynomial_he_kernel_cudaERNS_18TensorIteratorBaseEENKUlvE_clEvENKUlvE0_clEvEUlffE_EESt5arrayIPcLm3EELi4E23TrivialOffsetCalculatorILi2EjESD_ILi1EjENS0_6memory15LoadWithoutCastENSG_16StoreWithoutCastEEEviT_T0_T2_T3_T4_T5_: ; @_ZN2at6native27unrolled_elementwise_kernelINS0_13BinaryFunctorIfffZZZNS0_12_GLOBAL__N_133hermite_polynomial_he_kernel_cudaERNS_18TensorIteratorBaseEENKUlvE_clEvENKUlvE0_clEvEUlffE_EESt5arrayIPcLm3EELi4E23TrivialOffsetCalculatorILi2EjESD_ILi1EjENS0_6memory15LoadWithoutCastENSG_16StoreWithoutCastEEEviT_T0_T2_T3_T4_T5_
; %bb.0:
	s_load_dword s0, s[4:5], 0x0
	s_load_dwordx4 s[8:11], s[4:5], 0x8
	s_load_dwordx2 s[2:3], s[4:5], 0x18
	s_lshl_b32 s18, s6, 10
	v_mov_b32_e32 v12, 0
	s_waitcnt lgkmcnt(0)
	s_sub_i32 s19, s0, s18
	v_cmp_gt_i32_e32 vcc, s19, v0
	v_or_b32_e32 v6, s18, v0
	v_mov_b32_e32 v8, 0
	v_mov_b32_e32 v11, 0
	;; [unrolled: 1-line block ×3, first 2 shown]
	s_and_saveexec_b64 s[4:5], vcc
	s_cbranch_execz .LBB44_2
; %bb.1:
	v_mov_b32_e32 v7, 0
	v_lshlrev_b64 v[2:3], 2, v[6:7]
	v_mov_b32_e32 v1, s11
	v_add_co_u32_e64 v4, s[0:1], s10, v2
	v_addc_co_u32_e64 v5, s[0:1], v1, v3, s[0:1]
	v_mov_b32_e32 v1, s3
	v_add_co_u32_e64 v2, s[0:1], s2, v2
	v_addc_co_u32_e64 v3, s[0:1], v1, v3, s[0:1]
	global_load_dword v8, v[4:5], off
	global_load_dword v11, v[2:3], off
	v_or_b32_e32 v2, 0x100, v0
.LBB44_2:
	s_or_b64 exec, exec, s[4:5]
	v_cmp_gt_i32_e64 s[0:1], s19, v2
	v_mov_b32_e32 v9, 0
	s_and_saveexec_b64 s[4:5], s[0:1]
	s_cbranch_execz .LBB44_4
; %bb.3:
	v_add_u32_e32 v4, s18, v2
	v_mov_b32_e32 v5, 0
	v_lshlrev_b64 v[4:5], 2, v[4:5]
	v_mov_b32_e32 v1, s11
	v_add_co_u32_e64 v14, s[0:1], s10, v4
	v_addc_co_u32_e64 v15, s[0:1], v1, v5, s[0:1]
	v_mov_b32_e32 v1, s3
	v_add_co_u32_e64 v4, s[0:1], s2, v4
	v_addc_co_u32_e64 v5, s[0:1], v1, v5, s[0:1]
	global_load_dword v12, v[14:15], off
	global_load_dword v9, v[4:5], off
	v_add_u32_e32 v2, 0x100, v2
.LBB44_4:
	s_or_b64 exec, exec, s[4:5]
	v_cmp_gt_i32_e64 s[0:1], s19, v2
	v_mov_b32_e32 v1, 0
	v_mov_b32_e32 v7, 0
	;; [unrolled: 1-line block ×3, first 2 shown]
	s_and_saveexec_b64 s[4:5], s[0:1]
	s_cbranch_execz .LBB44_6
; %bb.5:
	v_add_u32_e32 v4, s18, v2
	v_mov_b32_e32 v5, 0
	v_lshlrev_b64 v[4:5], 2, v[4:5]
	v_mov_b32_e32 v3, s11
	v_add_co_u32_e64 v14, s[0:1], s10, v4
	v_addc_co_u32_e64 v15, s[0:1], v3, v5, s[0:1]
	v_mov_b32_e32 v3, s3
	v_add_co_u32_e64 v4, s[0:1], s2, v4
	v_addc_co_u32_e64 v5, s[0:1], v3, v5, s[0:1]
	global_load_dword v7, v[14:15], off
	global_load_dword v13, v[4:5], off
	v_add_u32_e32 v2, 0x100, v2
.LBB44_6:
	s_or_b64 exec, exec, s[4:5]
	v_cmp_gt_i32_e64 s[0:1], s19, v2
	v_mov_b32_e32 v10, 0
	s_and_saveexec_b64 s[4:5], s[0:1]
	s_cbranch_execz .LBB44_8
; %bb.7:
	v_add_u32_e32 v2, s18, v2
	v_mov_b32_e32 v3, 0
	v_lshlrev_b64 v[2:3], 2, v[2:3]
	v_mov_b32_e32 v1, s11
	v_add_co_u32_e64 v4, s[0:1], s10, v2
	v_addc_co_u32_e64 v5, s[0:1], v1, v3, s[0:1]
	v_mov_b32_e32 v1, s3
	v_add_co_u32_e64 v2, s[0:1], s2, v2
	v_addc_co_u32_e64 v3, s[0:1], v1, v3, s[0:1]
	global_load_dword v1, v[4:5], off
	global_load_dword v10, v[2:3], off
.LBB44_8:
	s_or_b64 exec, exec, s[4:5]
                                        ; implicit-def: $vgpr2_vgpr3_vgpr4_vgpr5
	s_and_saveexec_b64 s[2:3], vcc
	s_cbranch_execz .LBB44_22
; %bb.9:
	s_waitcnt vmcnt(0)
	v_trunc_f32_e32 v2, v11
	s_mov_b32 s0, 0x2f800000
	v_mul_f32_e64 v3, |v2|, s0
	v_floor_f32_e32 v3, v3
	s_mov_b32 s0, 0xcf800000
	v_cvt_u32_f32_e32 v4, v3
	v_fma_f32 v3, v3, s0, |v2|
	v_cvt_u32_f32_e32 v3, v3
	v_ashrrev_i32_e32 v2, 31, v2
	v_xor_b32_e32 v5, v4, v2
	v_xor_b32_e32 v3, v3, v2
	v_sub_co_u32_e64 v4, s[0:1], v3, v2
	v_subb_co_u32_e64 v5, s[0:1], v5, v2, s[0:1]
	v_cmp_lt_i64_e64 s[0:1], -1, v[4:5]
	v_mov_b32_e32 v2, 0
	s_and_saveexec_b64 s[4:5], s[0:1]
	s_cbranch_execz .LBB44_21
; %bb.10:
	v_cmp_lt_i64_e64 s[0:1], 0, v[4:5]
	v_mov_b32_e32 v2, 1.0
	s_and_saveexec_b64 s[6:7], s[0:1]
	s_cbranch_execz .LBB44_20
; %bb.11:
	v_cmp_ne_u64_e64 s[0:1], 1, v[4:5]
                                        ; implicit-def: $vgpr2
	s_and_saveexec_b64 s[10:11], s[0:1]
	s_xor_b64 s[10:11], exec, s[10:11]
	s_cbranch_execz .LBB44_17
; %bb.12:
	s_mov_b64 s[0:1], 0x81
	v_cmp_gt_u64_e64 s[0:1], s[0:1], v[4:5]
	v_mov_b32_e32 v2, 0x7fc00000
	s_and_saveexec_b64 s[12:13], s[0:1]
	s_cbranch_execz .LBB44_16
; %bb.13:
	s_mov_b64 s[16:17], 1
	s_mov_b64 s[14:15], 0
	v_mov_b32_e32 v3, 1.0
	v_mov_b32_e32 v2, v8
.LBB44_14:                              ; =>This Inner Loop Header: Depth=1
	s_flbit_i32_b32 s0, s17
	s_min_u32 s20, s0, 32
	s_lshl_b64 s[0:1], s[16:17], s20
	s_min_u32 s0, s0, 1
	s_or_b32 s0, s1, s0
	v_cvt_f32_u32_e32 v11, s0
	s_sub_i32 s20, 32, s20
	s_add_u32 s16, s16, 1
	s_addc_u32 s17, s17, 0
	v_ldexp_f32 v11, v11, s20
	v_cmp_eq_u64_e64 s[0:1], s[16:17], v[4:5]
	v_mul_f32_e32 v11, v3, v11
	s_or_b64 s[14:15], s[0:1], s[14:15]
	v_mov_b32_e32 v3, v2
	v_fma_f32 v2, v8, v2, -v11
	s_andn2_b64 exec, exec, s[14:15]
	s_cbranch_execnz .LBB44_14
; %bb.15:
	s_or_b64 exec, exec, s[14:15]
.LBB44_16:
	s_or_b64 exec, exec, s[12:13]
                                        ; implicit-def: $vgpr8
.LBB44_17:
	s_andn2_saveexec_b64 s[0:1], s[10:11]
; %bb.18:
	v_mov_b32_e32 v2, v8
; %bb.19:
	s_or_b64 exec, exec, s[0:1]
.LBB44_20:
	s_or_b64 exec, exec, s[6:7]
.LBB44_21:
	s_or_b64 exec, exec, s[4:5]
.LBB44_22:
	s_or_b64 exec, exec, s[2:3]
	s_waitcnt vmcnt(0)
	v_or_b32_e32 v11, 0x100, v0
	v_cmp_gt_i32_e64 s[0:1], s19, v11
	s_and_saveexec_b64 s[2:3], s[0:1]
	s_cbranch_execz .LBB44_36
; %bb.23:
	v_trunc_f32_e32 v3, v9
	s_mov_b32 s0, 0x2f800000
	v_mul_f32_e64 v8, |v3|, s0
	v_floor_f32_e32 v8, v8
	s_mov_b32 s0, 0xcf800000
	v_cvt_u32_f32_e32 v9, v8
	v_fma_f32 v8, v8, s0, |v3|
	v_cvt_u32_f32_e32 v8, v8
	v_ashrrev_i32_e32 v3, 31, v3
	v_xor_b32_e32 v9, v9, v3
	v_xor_b32_e32 v8, v8, v3
	v_sub_co_u32_e64 v8, s[0:1], v8, v3
	v_subb_co_u32_e64 v9, s[0:1], v9, v3, s[0:1]
	v_cmp_lt_i64_e64 s[0:1], -1, v[8:9]
	v_mov_b32_e32 v3, 0
	s_and_saveexec_b64 s[4:5], s[0:1]
	s_cbranch_execz .LBB44_35
; %bb.24:
	v_cmp_lt_i64_e64 s[0:1], 0, v[8:9]
	v_mov_b32_e32 v3, 1.0
	s_and_saveexec_b64 s[6:7], s[0:1]
	s_cbranch_execz .LBB44_34
; %bb.25:
	v_cmp_ne_u64_e64 s[0:1], 1, v[8:9]
	s_and_saveexec_b64 s[10:11], s[0:1]
	s_xor_b64 s[10:11], exec, s[10:11]
	s_cbranch_execz .LBB44_31
; %bb.26:
	s_mov_b64 s[0:1], 0x81
	v_cmp_gt_u64_e64 s[0:1], s[0:1], v[8:9]
	v_mov_b32_e32 v3, 0x7fc00000
	s_and_saveexec_b64 s[12:13], s[0:1]
	s_cbranch_execz .LBB44_30
; %bb.27:
	s_mov_b64 s[16:17], 1
	s_mov_b64 s[14:15], 0
	v_mov_b32_e32 v14, 1.0
	v_mov_b32_e32 v3, v12
.LBB44_28:                              ; =>This Inner Loop Header: Depth=1
	s_flbit_i32_b32 s0, s17
	s_min_u32 s20, s0, 32
	s_lshl_b64 s[0:1], s[16:17], s20
	s_min_u32 s0, s0, 1
	s_or_b32 s0, s1, s0
	v_cvt_f32_u32_e32 v15, s0
	s_sub_i32 s20, 32, s20
	s_add_u32 s16, s16, 1
	s_addc_u32 s17, s17, 0
	v_ldexp_f32 v15, v15, s20
	v_cmp_eq_u64_e64 s[0:1], s[16:17], v[8:9]
	v_mul_f32_e32 v15, v14, v15
	s_or_b64 s[14:15], s[0:1], s[14:15]
	v_mov_b32_e32 v14, v3
	v_fma_f32 v3, v12, v3, -v15
	s_andn2_b64 exec, exec, s[14:15]
	s_cbranch_execnz .LBB44_28
; %bb.29:
	s_or_b64 exec, exec, s[14:15]
.LBB44_30:
	s_or_b64 exec, exec, s[12:13]
                                        ; implicit-def: $vgpr12
.LBB44_31:
	s_andn2_saveexec_b64 s[0:1], s[10:11]
; %bb.32:
	v_mov_b32_e32 v3, v12
; %bb.33:
	s_or_b64 exec, exec, s[0:1]
.LBB44_34:
	s_or_b64 exec, exec, s[6:7]
.LBB44_35:
	s_or_b64 exec, exec, s[4:5]
.LBB44_36:
	s_or_b64 exec, exec, s[2:3]
	v_or_b32_e32 v8, 0x200, v0
	v_cmp_gt_i32_e64 s[0:1], s19, v8
	s_and_saveexec_b64 s[2:3], s[0:1]
	s_cbranch_execz .LBB44_50
; %bb.37:
	v_trunc_f32_e32 v4, v13
	s_mov_b32 s0, 0x2f800000
	v_mul_f32_e64 v8, |v4|, s0
	v_floor_f32_e32 v8, v8
	s_mov_b32 s0, 0xcf800000
	v_cvt_u32_f32_e32 v9, v8
	v_fma_f32 v8, v8, s0, |v4|
	v_cvt_u32_f32_e32 v8, v8
	v_ashrrev_i32_e32 v4, 31, v4
	v_xor_b32_e32 v9, v9, v4
	v_xor_b32_e32 v8, v8, v4
	v_sub_co_u32_e64 v8, s[0:1], v8, v4
	v_subb_co_u32_e64 v9, s[0:1], v9, v4, s[0:1]
	v_cmp_lt_i64_e64 s[0:1], -1, v[8:9]
	v_mov_b32_e32 v4, 0
	s_and_saveexec_b64 s[4:5], s[0:1]
	s_cbranch_execz .LBB44_49
; %bb.38:
	v_cmp_lt_i64_e64 s[0:1], 0, v[8:9]
	v_mov_b32_e32 v4, 1.0
	s_and_saveexec_b64 s[6:7], s[0:1]
	s_cbranch_execz .LBB44_48
; %bb.39:
	v_cmp_ne_u64_e64 s[0:1], 1, v[8:9]
	s_and_saveexec_b64 s[10:11], s[0:1]
	s_xor_b64 s[10:11], exec, s[10:11]
	s_cbranch_execz .LBB44_45
; %bb.40:
	s_mov_b64 s[0:1], 0x81
	v_cmp_gt_u64_e64 s[0:1], s[0:1], v[8:9]
	v_mov_b32_e32 v4, 0x7fc00000
	s_and_saveexec_b64 s[12:13], s[0:1]
	s_cbranch_execz .LBB44_44
; %bb.41:
	s_mov_b64 s[16:17], 1
	s_mov_b64 s[14:15], 0
	v_mov_b32_e32 v12, 1.0
	v_mov_b32_e32 v4, v7
.LBB44_42:                              ; =>This Inner Loop Header: Depth=1
	s_flbit_i32_b32 s0, s17
	s_min_u32 s20, s0, 32
	s_lshl_b64 s[0:1], s[16:17], s20
	s_min_u32 s0, s0, 1
	s_or_b32 s0, s1, s0
	v_cvt_f32_u32_e32 v13, s0
	s_sub_i32 s20, 32, s20
	s_add_u32 s16, s16, 1
	s_addc_u32 s17, s17, 0
	v_ldexp_f32 v13, v13, s20
	v_cmp_eq_u64_e64 s[0:1], s[16:17], v[8:9]
	v_mul_f32_e32 v13, v12, v13
	s_or_b64 s[14:15], s[0:1], s[14:15]
	v_mov_b32_e32 v12, v4
	v_fma_f32 v4, v7, v4, -v13
	s_andn2_b64 exec, exec, s[14:15]
	s_cbranch_execnz .LBB44_42
; %bb.43:
	s_or_b64 exec, exec, s[14:15]
.LBB44_44:
	s_or_b64 exec, exec, s[12:13]
                                        ; implicit-def: $vgpr7
.LBB44_45:
	s_andn2_saveexec_b64 s[0:1], s[10:11]
; %bb.46:
	v_mov_b32_e32 v4, v7
; %bb.47:
	s_or_b64 exec, exec, s[0:1]
.LBB44_48:
	s_or_b64 exec, exec, s[6:7]
.LBB44_49:
	s_or_b64 exec, exec, s[4:5]
.LBB44_50:
	s_or_b64 exec, exec, s[2:3]
	v_or_b32_e32 v7, 0x300, v0
	v_cmp_gt_i32_e64 s[0:1], s19, v7
	s_and_saveexec_b64 s[2:3], s[0:1]
	s_cbranch_execnz .LBB44_56
; %bb.51:
	s_or_b64 exec, exec, s[2:3]
	s_and_saveexec_b64 s[0:1], vcc
	s_xor_b64 s[0:1], exec, s[0:1]
	s_cbranch_execnz .LBB44_69
.LBB44_52:
	s_or_b64 exec, exec, s[0:1]
	v_cmp_gt_i32_e32 vcc, s19, v0
	s_and_saveexec_b64 s[0:1], vcc
	s_cbranch_execnz .LBB44_70
.LBB44_53:
	s_or_b64 exec, exec, s[0:1]
	v_cmp_gt_i32_e32 vcc, s19, v0
	s_and_saveexec_b64 s[0:1], vcc
	s_cbranch_execnz .LBB44_71
.LBB44_54:
	s_or_b64 exec, exec, s[0:1]
	v_cmp_gt_i32_e32 vcc, s19, v0
	s_and_saveexec_b64 s[0:1], vcc
	s_cbranch_execnz .LBB44_72
.LBB44_55:
	s_endpgm
.LBB44_56:
	v_trunc_f32_e32 v5, v10
	s_mov_b32 s0, 0x2f800000
	v_mul_f32_e64 v7, |v5|, s0
	v_floor_f32_e32 v7, v7
	s_mov_b32 s0, 0xcf800000
	v_cvt_u32_f32_e32 v8, v7
	v_fma_f32 v7, v7, s0, |v5|
	v_cvt_u32_f32_e32 v7, v7
	v_ashrrev_i32_e32 v5, 31, v5
	v_xor_b32_e32 v9, v8, v5
	v_xor_b32_e32 v7, v7, v5
	v_sub_co_u32_e64 v8, s[0:1], v7, v5
	v_subb_co_u32_e64 v9, s[0:1], v9, v5, s[0:1]
	v_cmp_lt_i64_e64 s[0:1], -1, v[8:9]
	v_mov_b32_e32 v5, 0
	s_and_saveexec_b64 s[4:5], s[0:1]
	s_cbranch_execz .LBB44_68
; %bb.57:
	v_cmp_lt_i64_e64 s[0:1], 0, v[8:9]
	v_mov_b32_e32 v5, 1.0
	s_and_saveexec_b64 s[6:7], s[0:1]
	s_cbranch_execz .LBB44_67
; %bb.58:
	v_cmp_ne_u64_e64 s[0:1], 1, v[8:9]
	s_and_saveexec_b64 s[10:11], s[0:1]
	s_xor_b64 s[10:11], exec, s[10:11]
	s_cbranch_execz .LBB44_64
; %bb.59:
	s_mov_b64 s[0:1], 0x81
	v_cmp_gt_u64_e64 s[0:1], s[0:1], v[8:9]
	v_mov_b32_e32 v5, 0x7fc00000
	s_and_saveexec_b64 s[12:13], s[0:1]
	s_cbranch_execz .LBB44_63
; %bb.60:
	s_mov_b64 s[16:17], 1
	s_mov_b64 s[14:15], 0
	v_mov_b32_e32 v7, 1.0
	v_mov_b32_e32 v5, v1
.LBB44_61:                              ; =>This Inner Loop Header: Depth=1
	s_flbit_i32_b32 s0, s17
	s_min_u32 s20, s0, 32
	s_lshl_b64 s[0:1], s[16:17], s20
	s_min_u32 s0, s0, 1
	s_or_b32 s0, s1, s0
	v_cvt_f32_u32_e32 v10, s0
	s_sub_i32 s20, 32, s20
	s_add_u32 s16, s16, 1
	s_addc_u32 s17, s17, 0
	v_ldexp_f32 v10, v10, s20
	v_cmp_eq_u64_e64 s[0:1], s[16:17], v[8:9]
	v_mul_f32_e32 v10, v7, v10
	s_or_b64 s[14:15], s[0:1], s[14:15]
	v_mov_b32_e32 v7, v5
	v_fma_f32 v5, v1, v5, -v10
	s_andn2_b64 exec, exec, s[14:15]
	s_cbranch_execnz .LBB44_61
; %bb.62:
	s_or_b64 exec, exec, s[14:15]
.LBB44_63:
	s_or_b64 exec, exec, s[12:13]
                                        ; implicit-def: $vgpr1
.LBB44_64:
	s_andn2_saveexec_b64 s[0:1], s[10:11]
; %bb.65:
	v_mov_b32_e32 v5, v1
; %bb.66:
	s_or_b64 exec, exec, s[0:1]
.LBB44_67:
	s_or_b64 exec, exec, s[6:7]
.LBB44_68:
	s_or_b64 exec, exec, s[4:5]
	s_or_b64 exec, exec, s[2:3]
	s_and_saveexec_b64 s[0:1], vcc
	s_xor_b64 s[0:1], exec, s[0:1]
	s_cbranch_execz .LBB44_52
.LBB44_69:
	v_mov_b32_e32 v7, 0
	v_lshlrev_b64 v[0:1], 2, v[6:7]
	v_mov_b32_e32 v6, s9
	v_add_co_u32_e32 v0, vcc, s8, v0
	v_addc_co_u32_e32 v1, vcc, v6, v1, vcc
	global_store_dword v[0:1], v2, off
	v_mov_b32_e32 v0, v11
	s_or_b64 exec, exec, s[0:1]
	v_cmp_gt_i32_e32 vcc, s19, v0
	s_and_saveexec_b64 s[0:1], vcc
	s_cbranch_execz .LBB44_53
.LBB44_70:
	v_add_u32_e32 v2, 0x100, v0
	v_add_u32_e32 v0, s18, v0
	v_mov_b32_e32 v1, 0
	v_lshlrev_b64 v[0:1], 2, v[0:1]
	v_mov_b32_e32 v6, s9
	v_add_co_u32_e32 v0, vcc, s8, v0
	v_addc_co_u32_e32 v1, vcc, v6, v1, vcc
	global_store_dword v[0:1], v3, off
	v_mov_b32_e32 v0, v2
	s_or_b64 exec, exec, s[0:1]
	v_cmp_gt_i32_e32 vcc, s19, v0
	s_and_saveexec_b64 s[0:1], vcc
	s_cbranch_execz .LBB44_54
.LBB44_71:
	v_add_u32_e32 v2, 0x100, v0
	v_add_u32_e32 v0, s18, v0
	v_mov_b32_e32 v1, 0
	v_lshlrev_b64 v[0:1], 2, v[0:1]
	v_mov_b32_e32 v3, s9
	v_add_co_u32_e32 v0, vcc, s8, v0
	v_addc_co_u32_e32 v1, vcc, v3, v1, vcc
	global_store_dword v[0:1], v4, off
	v_mov_b32_e32 v0, v2
	s_or_b64 exec, exec, s[0:1]
	v_cmp_gt_i32_e32 vcc, s19, v0
	s_and_saveexec_b64 s[0:1], vcc
	s_cbranch_execz .LBB44_55
.LBB44_72:
	v_add_u32_e32 v0, s18, v0
	v_mov_b32_e32 v1, 0
	v_lshlrev_b64 v[0:1], 2, v[0:1]
	v_mov_b32_e32 v2, s9
	v_add_co_u32_e32 v0, vcc, s8, v0
	v_addc_co_u32_e32 v1, vcc, v2, v1, vcc
	global_store_dword v[0:1], v5, off
	s_endpgm
	.section	.rodata,"a",@progbits
	.p2align	6, 0x0
	.amdhsa_kernel _ZN2at6native27unrolled_elementwise_kernelINS0_13BinaryFunctorIfffZZZNS0_12_GLOBAL__N_133hermite_polynomial_he_kernel_cudaERNS_18TensorIteratorBaseEENKUlvE_clEvENKUlvE0_clEvEUlffE_EESt5arrayIPcLm3EELi4E23TrivialOffsetCalculatorILi2EjESD_ILi1EjENS0_6memory15LoadWithoutCastENSG_16StoreWithoutCastEEEviT_T0_T2_T3_T4_T5_
		.amdhsa_group_segment_fixed_size 0
		.amdhsa_private_segment_fixed_size 0
		.amdhsa_kernarg_size 36
		.amdhsa_user_sgpr_count 6
		.amdhsa_user_sgpr_private_segment_buffer 1
		.amdhsa_user_sgpr_dispatch_ptr 0
		.amdhsa_user_sgpr_queue_ptr 0
		.amdhsa_user_sgpr_kernarg_segment_ptr 1
		.amdhsa_user_sgpr_dispatch_id 0
		.amdhsa_user_sgpr_flat_scratch_init 0
		.amdhsa_user_sgpr_kernarg_preload_length 0
		.amdhsa_user_sgpr_kernarg_preload_offset 0
		.amdhsa_user_sgpr_private_segment_size 0
		.amdhsa_uses_dynamic_stack 0
		.amdhsa_system_sgpr_private_segment_wavefront_offset 0
		.amdhsa_system_sgpr_workgroup_id_x 1
		.amdhsa_system_sgpr_workgroup_id_y 0
		.amdhsa_system_sgpr_workgroup_id_z 0
		.amdhsa_system_sgpr_workgroup_info 0
		.amdhsa_system_vgpr_workitem_id 0
		.amdhsa_next_free_vgpr 16
		.amdhsa_next_free_sgpr 21
		.amdhsa_accum_offset 16
		.amdhsa_reserve_vcc 1
		.amdhsa_reserve_flat_scratch 0
		.amdhsa_float_round_mode_32 0
		.amdhsa_float_round_mode_16_64 0
		.amdhsa_float_denorm_mode_32 3
		.amdhsa_float_denorm_mode_16_64 3
		.amdhsa_dx10_clamp 1
		.amdhsa_ieee_mode 1
		.amdhsa_fp16_overflow 0
		.amdhsa_tg_split 0
		.amdhsa_exception_fp_ieee_invalid_op 0
		.amdhsa_exception_fp_denorm_src 0
		.amdhsa_exception_fp_ieee_div_zero 0
		.amdhsa_exception_fp_ieee_overflow 0
		.amdhsa_exception_fp_ieee_underflow 0
		.amdhsa_exception_fp_ieee_inexact 0
		.amdhsa_exception_int_div_zero 0
	.end_amdhsa_kernel
	.section	.text._ZN2at6native27unrolled_elementwise_kernelINS0_13BinaryFunctorIfffZZZNS0_12_GLOBAL__N_133hermite_polynomial_he_kernel_cudaERNS_18TensorIteratorBaseEENKUlvE_clEvENKUlvE0_clEvEUlffE_EESt5arrayIPcLm3EELi4E23TrivialOffsetCalculatorILi2EjESD_ILi1EjENS0_6memory15LoadWithoutCastENSG_16StoreWithoutCastEEEviT_T0_T2_T3_T4_T5_,"axG",@progbits,_ZN2at6native27unrolled_elementwise_kernelINS0_13BinaryFunctorIfffZZZNS0_12_GLOBAL__N_133hermite_polynomial_he_kernel_cudaERNS_18TensorIteratorBaseEENKUlvE_clEvENKUlvE0_clEvEUlffE_EESt5arrayIPcLm3EELi4E23TrivialOffsetCalculatorILi2EjESD_ILi1EjENS0_6memory15LoadWithoutCastENSG_16StoreWithoutCastEEEviT_T0_T2_T3_T4_T5_,comdat
.Lfunc_end44:
	.size	_ZN2at6native27unrolled_elementwise_kernelINS0_13BinaryFunctorIfffZZZNS0_12_GLOBAL__N_133hermite_polynomial_he_kernel_cudaERNS_18TensorIteratorBaseEENKUlvE_clEvENKUlvE0_clEvEUlffE_EESt5arrayIPcLm3EELi4E23TrivialOffsetCalculatorILi2EjESD_ILi1EjENS0_6memory15LoadWithoutCastENSG_16StoreWithoutCastEEEviT_T0_T2_T3_T4_T5_, .Lfunc_end44-_ZN2at6native27unrolled_elementwise_kernelINS0_13BinaryFunctorIfffZZZNS0_12_GLOBAL__N_133hermite_polynomial_he_kernel_cudaERNS_18TensorIteratorBaseEENKUlvE_clEvENKUlvE0_clEvEUlffE_EESt5arrayIPcLm3EELi4E23TrivialOffsetCalculatorILi2EjESD_ILi1EjENS0_6memory15LoadWithoutCastENSG_16StoreWithoutCastEEEviT_T0_T2_T3_T4_T5_
                                        ; -- End function
	.section	.AMDGPU.csdata,"",@progbits
; Kernel info:
; codeLenInByte = 2032
; NumSgprs: 25
; NumVgprs: 16
; NumAgprs: 0
; TotalNumVgprs: 16
; ScratchSize: 0
; MemoryBound: 0
; FloatMode: 240
; IeeeMode: 1
; LDSByteSize: 0 bytes/workgroup (compile time only)
; SGPRBlocks: 3
; VGPRBlocks: 1
; NumSGPRsForWavesPerEU: 25
; NumVGPRsForWavesPerEU: 16
; AccumOffset: 16
; Occupancy: 8
; WaveLimiterHint : 0
; COMPUTE_PGM_RSRC2:SCRATCH_EN: 0
; COMPUTE_PGM_RSRC2:USER_SGPR: 6
; COMPUTE_PGM_RSRC2:TRAP_HANDLER: 0
; COMPUTE_PGM_RSRC2:TGID_X_EN: 1
; COMPUTE_PGM_RSRC2:TGID_Y_EN: 0
; COMPUTE_PGM_RSRC2:TGID_Z_EN: 0
; COMPUTE_PGM_RSRC2:TIDIG_COMP_CNT: 0
; COMPUTE_PGM_RSRC3_GFX90A:ACCUM_OFFSET: 3
; COMPUTE_PGM_RSRC3_GFX90A:TG_SPLIT: 0
	.section	.text._ZN2at6native32elementwise_kernel_manual_unrollILi128ELi4EZNS0_22gpu_kernel_impl_nocastINS0_13BinaryFunctorIfffZZZNS0_12_GLOBAL__N_133hermite_polynomial_he_kernel_cudaERNS_18TensorIteratorBaseEENKUlvE_clEvENKUlvE0_clEvEUlffE_EEEEvS6_RKT_EUlibE_EEviT1_,"axG",@progbits,_ZN2at6native32elementwise_kernel_manual_unrollILi128ELi4EZNS0_22gpu_kernel_impl_nocastINS0_13BinaryFunctorIfffZZZNS0_12_GLOBAL__N_133hermite_polynomial_he_kernel_cudaERNS_18TensorIteratorBaseEENKUlvE_clEvENKUlvE0_clEvEUlffE_EEEEvS6_RKT_EUlibE_EEviT1_,comdat
	.globl	_ZN2at6native32elementwise_kernel_manual_unrollILi128ELi4EZNS0_22gpu_kernel_impl_nocastINS0_13BinaryFunctorIfffZZZNS0_12_GLOBAL__N_133hermite_polynomial_he_kernel_cudaERNS_18TensorIteratorBaseEENKUlvE_clEvENKUlvE0_clEvEUlffE_EEEEvS6_RKT_EUlibE_EEviT1_ ; -- Begin function _ZN2at6native32elementwise_kernel_manual_unrollILi128ELi4EZNS0_22gpu_kernel_impl_nocastINS0_13BinaryFunctorIfffZZZNS0_12_GLOBAL__N_133hermite_polynomial_he_kernel_cudaERNS_18TensorIteratorBaseEENKUlvE_clEvENKUlvE0_clEvEUlffE_EEEEvS6_RKT_EUlibE_EEviT1_
	.p2align	8
	.type	_ZN2at6native32elementwise_kernel_manual_unrollILi128ELi4EZNS0_22gpu_kernel_impl_nocastINS0_13BinaryFunctorIfffZZZNS0_12_GLOBAL__N_133hermite_polynomial_he_kernel_cudaERNS_18TensorIteratorBaseEENKUlvE_clEvENKUlvE0_clEvEUlffE_EEEEvS6_RKT_EUlibE_EEviT1_,@function
_ZN2at6native32elementwise_kernel_manual_unrollILi128ELi4EZNS0_22gpu_kernel_impl_nocastINS0_13BinaryFunctorIfffZZZNS0_12_GLOBAL__N_133hermite_polynomial_he_kernel_cudaERNS_18TensorIteratorBaseEENKUlvE_clEvENKUlvE0_clEvEUlffE_EEEEvS6_RKT_EUlibE_EEviT1_: ; @_ZN2at6native32elementwise_kernel_manual_unrollILi128ELi4EZNS0_22gpu_kernel_impl_nocastINS0_13BinaryFunctorIfffZZZNS0_12_GLOBAL__N_133hermite_polynomial_he_kernel_cudaERNS_18TensorIteratorBaseEENKUlvE_clEvENKUlvE0_clEvEUlffE_EEEEvS6_RKT_EUlibE_EEviT1_
; %bb.0:
	s_load_dword s46, s[4:5], 0x0
	s_load_dword s33, s[4:5], 0x8
	s_or_b32 s4, s4, 8
	v_lshl_or_b32 v14, s6, 9, v0
	v_or_b32_e32 v24, 0x180, v14
	s_waitcnt lgkmcnt(0)
	v_cmp_le_i32_e32 vcc, s46, v24
	s_add_i32 s44, s33, -1
	s_cmp_gt_u32 s44, 1
	s_cselect_b64 s[6:7], -1, 0
	s_and_saveexec_b64 s[0:1], vcc
	s_xor_b64 s[16:17], exec, s[0:1]
	s_cbranch_execz .LBB45_98
; %bb.1:
	s_load_dwordx4 s[12:15], s[4:5], 0x4
	s_load_dwordx2 s[22:23], s[4:5], 0x14
	s_load_dwordx4 s[8:11], s[4:5], 0xc4
	s_load_dwordx2 s[20:21], s[4:5], 0xd4
	s_load_dwordx2 s[18:19], s[4:5], 0x198
	s_load_dwordx4 s[0:3], s[4:5], 0x188
	s_cmp_lg_u32 s33, 0
	s_cselect_b64 s[26:27], -1, 0
	s_min_u32 s45, s44, 15
	s_cmp_gt_u32 s33, 1
	s_cselect_b64 s[24:25], -1, 0
	v_cmp_gt_i32_e32 vcc, s46, v14
	s_and_saveexec_b64 s[28:29], vcc
	s_cbranch_execnz .LBB45_5
; %bb.2:
	s_or_b64 exec, exec, s[28:29]
	v_cmp_gt_i32_e32 vcc, s46, v14
	s_and_saveexec_b64 s[28:29], vcc
	s_cbranch_execnz .LBB45_28
.LBB45_3:
	s_or_b64 exec, exec, s[28:29]
	v_cmp_gt_i32_e32 vcc, s46, v14
	s_and_saveexec_b64 s[28:29], vcc
	s_cbranch_execnz .LBB45_51
.LBB45_4:
	s_or_b64 exec, exec, s[28:29]
	v_cmp_gt_i32_e32 vcc, s46, v14
	s_and_saveexec_b64 s[28:29], vcc
	s_cbranch_execnz .LBB45_74
	s_branch .LBB45_97
.LBB45_5:
	s_andn2_b64 vcc, exec, s[6:7]
	s_cbranch_vccnz .LBB45_12
; %bb.6:
	s_andn2_b64 vcc, exec, s[26:27]
	v_mov_b32_e32 v4, 0
	v_mov_b32_e32 v2, 0
	;; [unrolled: 1-line block ×3, first 2 shown]
	s_cbranch_vccnz .LBB45_11
; %bb.7:
	s_add_i32 s30, s45, 1
	s_and_b32 s34, s30, 30
	s_add_u32 s30, s4, 0xffffffec
	s_addc_u32 s31, s5, -1
	v_mov_b32_e32 v0, 0
	v_mov_b32_e32 v1, v14
	;; [unrolled: 1-line block ×4, first 2 shown]
.LBB45_8:                               ; =>This Inner Loop Header: Depth=1
	s_mov_b64 s[48:49], s[30:31]
	s_load_dwordx4 s[36:39], s[48:49], 0x18
	s_load_dwordx2 s[50:51], s[48:49], 0x28
	s_load_dwordx2 s[52:53], s[48:49], 0xe8
	s_load_dwordx4 s[40:43], s[48:49], 0xd8
	s_add_u32 s30, s48, 24
	s_waitcnt lgkmcnt(0)
	v_mul_hi_u32 v3, s37, v1
	v_add_u32_e32 v3, v1, v3
	v_lshrrev_b32_e32 v3, s38, v3
	v_mul_lo_u32 v5, v3, s36
	v_mul_hi_u32 v6, s50, v3
	v_sub_u32_e32 v1, v1, v5
	v_add_u32_e32 v5, v3, v6
	v_mul_lo_u32 v6, v1, s40
	v_mul_lo_u32 v7, v1, s41
	;; [unrolled: 1-line block ×3, first 2 shown]
	v_lshrrev_b32_e32 v1, s51, v5
	v_mul_lo_u32 v5, v1, s39
	v_sub_u32_e32 v3, v3, v5
	s_addc_u32 s31, s49, 0
	s_add_i32 s34, s34, -2
	v_mul_lo_u32 v5, v3, s43
	v_mul_lo_u32 v9, v3, s52
	;; [unrolled: 1-line block ×3, first 2 shown]
	s_cmp_lg_u32 s34, 0
	v_add3_u32 v0, v6, v0, v5
	v_add3_u32 v4, v8, v4, v3
	;; [unrolled: 1-line block ×3, first 2 shown]
	s_cbranch_scc1 .LBB45_8
; %bb.9:
	s_bitcmp1_b32 s45, 0
	s_cselect_b64 s[34:35], -1, 0
	s_and_b64 vcc, exec, s[34:35]
	s_cbranch_vccnz .LBB45_11
; %bb.10:
	s_load_dwordx2 s[34:35], s[30:31], 0x18
	s_load_dword s38, s[30:31], 0x20
	s_load_dword s39, s[30:31], 0xe0
	s_load_dwordx2 s[36:37], s[30:31], 0xd8
	s_waitcnt lgkmcnt(0)
	v_mul_hi_u32 v3, s35, v1
	v_add_u32_e32 v3, v1, v3
	v_lshrrev_b32_e32 v3, s38, v3
	v_mul_lo_u32 v3, v3, s34
	v_sub_u32_e32 v5, v1, v3
	v_mad_u64_u32 v[0:1], s[30:31], v5, s36, v[0:1]
	v_mad_u64_u32 v[2:3], s[30:31], v5, s37, v[2:3]
	;; [unrolled: 1-line block ×3, first 2 shown]
.LBB45_11:
	s_cbranch_execz .LBB45_13
	s_branch .LBB45_15
.LBB45_12:
                                        ; implicit-def: $vgpr4
                                        ; implicit-def: $vgpr2
                                        ; implicit-def: $vgpr0
.LBB45_13:
	s_waitcnt lgkmcnt(0)
	v_mul_hi_u32 v0, s13, v14
	v_add_u32_e32 v0, v14, v0
	v_lshrrev_b32_e32 v1, s14, v0
	v_mul_lo_u32 v0, v1, s12
	v_sub_u32_e32 v2, v14, v0
	v_mul_lo_u32 v0, v2, s8
	v_mul_lo_u32 v4, v2, s10
	s_andn2_b64 vcc, exec, s[24:25]
	v_mul_lo_u32 v2, v2, s9
	s_cbranch_vccnz .LBB45_15
; %bb.14:
	v_mul_hi_u32 v3, s22, v1
	v_add_u32_e32 v3, v1, v3
	v_lshrrev_b32_e32 v3, s23, v3
	v_mul_lo_u32 v3, v3, s15
	v_sub_u32_e32 v5, v1, v3
	v_mad_u64_u32 v[0:1], s[30:31], v5, s11, v[0:1]
	v_mad_u64_u32 v[2:3], s[30:31], v5, s20, v[2:3]
	;; [unrolled: 1-line block ×3, first 2 shown]
.LBB45_15:
	s_waitcnt lgkmcnt(0)
	global_load_dword v1, v4, s[18:19]
	s_mov_b32 s30, 0x2f800000
	s_mov_b32 s31, 0xcf800000
	s_waitcnt vmcnt(0)
	v_trunc_f32_e32 v1, v1
	v_mul_f32_e64 v3, |v1|, s30
	v_floor_f32_e32 v3, v3
	v_fma_f32 v4, v3, s31, |v1|
	v_cvt_u32_f32_e32 v4, v4
	v_cvt_u32_f32_e32 v3, v3
	v_ashrrev_i32_e32 v1, 31, v1
	v_xor_b32_e32 v4, v4, v1
	v_xor_b32_e32 v3, v3, v1
	v_sub_co_u32_e32 v4, vcc, v4, v1
	v_subb_co_u32_e32 v5, vcc, v3, v1, vcc
	v_cmp_lt_i64_e32 vcc, -1, v[4:5]
	v_mov_b32_e32 v3, 0
	s_and_saveexec_b64 s[30:31], vcc
	s_cbranch_execz .LBB45_27
; %bb.16:
	v_cmp_lt_i64_e32 vcc, 0, v[4:5]
	v_mov_b32_e32 v3, 1.0
	s_and_saveexec_b64 s[34:35], vcc
	s_cbranch_execz .LBB45_26
; %bb.17:
	global_load_dword v1, v2, s[2:3]
	v_cmp_ne_u64_e32 vcc, 1, v[4:5]
                                        ; implicit-def: $vgpr3
	s_and_saveexec_b64 s[36:37], vcc
	s_xor_b64 s[36:37], exec, s[36:37]
	s_cbranch_execz .LBB45_23
; %bb.18:
	s_mov_b64 s[38:39], 0x81
	v_cmp_gt_u64_e32 vcc, s[38:39], v[4:5]
	v_mov_b32_e32 v3, 0x7fc00000
	s_and_saveexec_b64 s[38:39], vcc
	s_cbranch_execz .LBB45_22
; %bb.19:
	s_mov_b64 s[42:43], 1
	s_mov_b64 s[40:41], 0
	v_mov_b32_e32 v2, 1.0
	s_waitcnt vmcnt(0)
	v_mov_b32_e32 v3, v1
.LBB45_20:                              ; =>This Inner Loop Header: Depth=1
	s_flbit_i32_b32 s47, s43
	s_min_u32 s47, s47, 32
	s_lshl_b64 s[48:49], s[42:43], s47
	s_min_u32 s48, s48, 1
	s_or_b32 s48, s49, s48
	v_cvt_f32_u32_e32 v6, s48
	s_sub_i32 s47, 32, s47
	s_add_u32 s42, s42, 1
	s_addc_u32 s43, s43, 0
	v_ldexp_f32 v6, v6, s47
	v_cmp_eq_u64_e32 vcc, s[42:43], v[4:5]
	v_mul_f32_e32 v6, v2, v6
	s_or_b64 s[40:41], vcc, s[40:41]
	v_mov_b32_e32 v2, v3
	v_fma_f32 v3, v1, v3, -v6
	s_andn2_b64 exec, exec, s[40:41]
	s_cbranch_execnz .LBB45_20
; %bb.21:
	s_or_b64 exec, exec, s[40:41]
.LBB45_22:
	s_or_b64 exec, exec, s[38:39]
                                        ; implicit-def: $vgpr1
.LBB45_23:
	s_andn2_saveexec_b64 s[36:37], s[36:37]
	s_cbranch_execz .LBB45_25
; %bb.24:
	s_waitcnt vmcnt(0)
	v_mov_b32_e32 v3, v1
.LBB45_25:
	s_or_b64 exec, exec, s[36:37]
.LBB45_26:
	s_or_b64 exec, exec, s[34:35]
.LBB45_27:
	s_or_b64 exec, exec, s[30:31]
	v_add_u32_e32 v14, 0x80, v14
	global_store_dword v0, v3, s[0:1]
	s_or_b64 exec, exec, s[28:29]
	v_cmp_gt_i32_e32 vcc, s46, v14
	s_and_saveexec_b64 s[28:29], vcc
	s_cbranch_execz .LBB45_3
.LBB45_28:
	s_andn2_b64 vcc, exec, s[6:7]
	s_cbranch_vccnz .LBB45_35
; %bb.29:
	s_andn2_b64 vcc, exec, s[26:27]
	v_mov_b32_e32 v4, 0
	v_mov_b32_e32 v2, 0
	v_mov_b32_e32 v0, 0
	s_cbranch_vccnz .LBB45_34
; %bb.30:
	s_add_i32 s30, s45, 1
	s_and_b32 s34, s30, 30
	s_add_u32 s30, s4, 0xffffffec
	s_addc_u32 s31, s5, -1
	v_mov_b32_e32 v0, 0
	s_waitcnt vmcnt(1)
	v_mov_b32_e32 v1, v14
	v_mov_b32_e32 v2, 0
	;; [unrolled: 1-line block ×3, first 2 shown]
.LBB45_31:                              ; =>This Inner Loop Header: Depth=1
	s_mov_b64 s[48:49], s[30:31]
	s_load_dwordx4 s[36:39], s[48:49], 0x18
	s_load_dwordx2 s[50:51], s[48:49], 0x28
	s_load_dwordx2 s[52:53], s[48:49], 0xe8
	s_load_dwordx4 s[40:43], s[48:49], 0xd8
	s_add_u32 s30, s48, 24
	s_waitcnt lgkmcnt(0)
	v_mul_hi_u32 v3, s37, v1
	v_add_u32_e32 v3, v1, v3
	v_lshrrev_b32_e32 v3, s38, v3
	v_mul_lo_u32 v5, v3, s36
	v_mul_hi_u32 v6, s50, v3
	v_sub_u32_e32 v1, v1, v5
	v_add_u32_e32 v5, v3, v6
	v_mul_lo_u32 v6, v1, s40
	v_mul_lo_u32 v7, v1, s41
	;; [unrolled: 1-line block ×3, first 2 shown]
	v_lshrrev_b32_e32 v1, s51, v5
	v_mul_lo_u32 v5, v1, s39
	v_sub_u32_e32 v3, v3, v5
	s_addc_u32 s31, s49, 0
	s_add_i32 s34, s34, -2
	v_mul_lo_u32 v5, v3, s43
	v_mul_lo_u32 v9, v3, s52
	;; [unrolled: 1-line block ×3, first 2 shown]
	s_cmp_eq_u32 s34, 0
	v_add3_u32 v0, v6, v0, v5
	v_add3_u32 v4, v8, v4, v3
	;; [unrolled: 1-line block ×3, first 2 shown]
	s_cbranch_scc0 .LBB45_31
; %bb.32:
	s_bitcmp1_b32 s45, 0
	s_cselect_b64 s[34:35], -1, 0
	s_and_b64 vcc, exec, s[34:35]
	s_cbranch_vccnz .LBB45_34
; %bb.33:
	s_load_dwordx2 s[34:35], s[30:31], 0x18
	s_load_dword s38, s[30:31], 0x20
	s_load_dword s39, s[30:31], 0xe0
	s_load_dwordx2 s[36:37], s[30:31], 0xd8
	s_waitcnt lgkmcnt(0)
	v_mul_hi_u32 v3, s35, v1
	v_add_u32_e32 v3, v1, v3
	v_lshrrev_b32_e32 v3, s38, v3
	v_mul_lo_u32 v3, v3, s34
	v_sub_u32_e32 v5, v1, v3
	v_mad_u64_u32 v[0:1], s[30:31], v5, s36, v[0:1]
	v_mad_u64_u32 v[2:3], s[30:31], v5, s37, v[2:3]
	;; [unrolled: 1-line block ×3, first 2 shown]
.LBB45_34:
	s_cbranch_execz .LBB45_36
	s_branch .LBB45_38
.LBB45_35:
                                        ; implicit-def: $vgpr4
                                        ; implicit-def: $vgpr2
                                        ; implicit-def: $vgpr0
.LBB45_36:
	s_waitcnt lgkmcnt(0)
	v_mul_hi_u32 v0, s13, v14
	v_add_u32_e32 v0, v14, v0
	s_waitcnt vmcnt(1)
	v_lshrrev_b32_e32 v1, s14, v0
	v_mul_lo_u32 v0, v1, s12
	v_sub_u32_e32 v2, v14, v0
	v_mul_lo_u32 v0, v2, s8
	v_mul_lo_u32 v4, v2, s10
	s_andn2_b64 vcc, exec, s[24:25]
	v_mul_lo_u32 v2, v2, s9
	s_cbranch_vccnz .LBB45_38
; %bb.37:
	v_mul_hi_u32 v3, s22, v1
	v_add_u32_e32 v3, v1, v3
	v_lshrrev_b32_e32 v3, s23, v3
	v_mul_lo_u32 v3, v3, s15
	v_sub_u32_e32 v5, v1, v3
	v_mad_u64_u32 v[0:1], s[30:31], v5, s11, v[0:1]
	v_mad_u64_u32 v[2:3], s[30:31], v5, s20, v[2:3]
	;; [unrolled: 1-line block ×3, first 2 shown]
.LBB45_38:
	s_waitcnt lgkmcnt(0)
	global_load_dword v1, v4, s[18:19]
	s_mov_b32 s30, 0x2f800000
	s_mov_b32 s31, 0xcf800000
	s_waitcnt vmcnt(0)
	v_trunc_f32_e32 v1, v1
	v_mul_f32_e64 v3, |v1|, s30
	v_floor_f32_e32 v3, v3
	v_fma_f32 v4, v3, s31, |v1|
	v_cvt_u32_f32_e32 v4, v4
	v_cvt_u32_f32_e32 v3, v3
	v_ashrrev_i32_e32 v1, 31, v1
	v_xor_b32_e32 v4, v4, v1
	v_xor_b32_e32 v3, v3, v1
	v_sub_co_u32_e32 v4, vcc, v4, v1
	v_subb_co_u32_e32 v5, vcc, v3, v1, vcc
	v_cmp_lt_i64_e32 vcc, -1, v[4:5]
	v_mov_b32_e32 v3, 0
	s_and_saveexec_b64 s[30:31], vcc
	s_cbranch_execz .LBB45_50
; %bb.39:
	v_cmp_lt_i64_e32 vcc, 0, v[4:5]
	v_mov_b32_e32 v3, 1.0
	s_and_saveexec_b64 s[34:35], vcc
	s_cbranch_execz .LBB45_49
; %bb.40:
	global_load_dword v1, v2, s[2:3]
	v_cmp_ne_u64_e32 vcc, 1, v[4:5]
                                        ; implicit-def: $vgpr3
	s_and_saveexec_b64 s[36:37], vcc
	s_xor_b64 s[36:37], exec, s[36:37]
	s_cbranch_execz .LBB45_46
; %bb.41:
	s_mov_b64 s[38:39], 0x81
	v_cmp_gt_u64_e32 vcc, s[38:39], v[4:5]
	v_mov_b32_e32 v3, 0x7fc00000
	s_and_saveexec_b64 s[38:39], vcc
	s_cbranch_execz .LBB45_45
; %bb.42:
	s_mov_b64 s[42:43], 1
	s_mov_b64 s[40:41], 0
	v_mov_b32_e32 v2, 1.0
	s_waitcnt vmcnt(0)
	v_mov_b32_e32 v3, v1
.LBB45_43:                              ; =>This Inner Loop Header: Depth=1
	s_flbit_i32_b32 s47, s43
	s_min_u32 s47, s47, 32
	s_lshl_b64 s[48:49], s[42:43], s47
	s_min_u32 s48, s48, 1
	s_or_b32 s48, s49, s48
	v_cvt_f32_u32_e32 v6, s48
	s_sub_i32 s47, 32, s47
	s_add_u32 s42, s42, 1
	s_addc_u32 s43, s43, 0
	v_ldexp_f32 v6, v6, s47
	v_cmp_eq_u64_e32 vcc, s[42:43], v[4:5]
	v_mul_f32_e32 v6, v2, v6
	s_or_b64 s[40:41], vcc, s[40:41]
	v_mov_b32_e32 v2, v3
	v_fma_f32 v3, v1, v3, -v6
	s_andn2_b64 exec, exec, s[40:41]
	s_cbranch_execnz .LBB45_43
; %bb.44:
	s_or_b64 exec, exec, s[40:41]
.LBB45_45:
	s_or_b64 exec, exec, s[38:39]
                                        ; implicit-def: $vgpr1
.LBB45_46:
	s_andn2_saveexec_b64 s[36:37], s[36:37]
	s_cbranch_execz .LBB45_48
; %bb.47:
	s_waitcnt vmcnt(0)
	v_mov_b32_e32 v3, v1
.LBB45_48:
	s_or_b64 exec, exec, s[36:37]
.LBB45_49:
	s_or_b64 exec, exec, s[34:35]
.LBB45_50:
	s_or_b64 exec, exec, s[30:31]
	v_add_u32_e32 v14, 0x80, v14
	global_store_dword v0, v3, s[0:1]
	s_or_b64 exec, exec, s[28:29]
	v_cmp_gt_i32_e32 vcc, s46, v14
	s_and_saveexec_b64 s[28:29], vcc
	s_cbranch_execz .LBB45_4
.LBB45_51:
	s_andn2_b64 vcc, exec, s[6:7]
	s_cbranch_vccnz .LBB45_58
; %bb.52:
	s_andn2_b64 vcc, exec, s[26:27]
	v_mov_b32_e32 v4, 0
	v_mov_b32_e32 v2, 0
	;; [unrolled: 1-line block ×3, first 2 shown]
	s_cbranch_vccnz .LBB45_57
; %bb.53:
	s_add_i32 s30, s45, 1
	s_and_b32 s34, s30, 30
	s_add_u32 s30, s4, 0xffffffec
	s_addc_u32 s31, s5, -1
	v_mov_b32_e32 v0, 0
	s_waitcnt vmcnt(1)
	v_mov_b32_e32 v1, v14
	v_mov_b32_e32 v2, 0
	;; [unrolled: 1-line block ×3, first 2 shown]
.LBB45_54:                              ; =>This Inner Loop Header: Depth=1
	s_mov_b64 s[48:49], s[30:31]
	s_load_dwordx4 s[36:39], s[48:49], 0x18
	s_load_dwordx2 s[50:51], s[48:49], 0x28
	s_load_dwordx2 s[52:53], s[48:49], 0xe8
	s_load_dwordx4 s[40:43], s[48:49], 0xd8
	s_add_u32 s30, s48, 24
	s_waitcnt lgkmcnt(0)
	v_mul_hi_u32 v3, s37, v1
	v_add_u32_e32 v3, v1, v3
	v_lshrrev_b32_e32 v3, s38, v3
	v_mul_lo_u32 v5, v3, s36
	v_mul_hi_u32 v6, s50, v3
	v_sub_u32_e32 v1, v1, v5
	v_add_u32_e32 v5, v3, v6
	v_mul_lo_u32 v6, v1, s40
	v_mul_lo_u32 v7, v1, s41
	;; [unrolled: 1-line block ×3, first 2 shown]
	v_lshrrev_b32_e32 v1, s51, v5
	v_mul_lo_u32 v5, v1, s39
	v_sub_u32_e32 v3, v3, v5
	s_addc_u32 s31, s49, 0
	s_add_i32 s34, s34, -2
	v_mul_lo_u32 v5, v3, s43
	v_mul_lo_u32 v9, v3, s52
	;; [unrolled: 1-line block ×3, first 2 shown]
	s_cmp_eq_u32 s34, 0
	v_add3_u32 v0, v6, v0, v5
	v_add3_u32 v4, v8, v4, v3
	;; [unrolled: 1-line block ×3, first 2 shown]
	s_cbranch_scc0 .LBB45_54
; %bb.55:
	s_bitcmp1_b32 s45, 0
	s_cselect_b64 s[34:35], -1, 0
	s_and_b64 vcc, exec, s[34:35]
	s_cbranch_vccnz .LBB45_57
; %bb.56:
	s_load_dwordx2 s[34:35], s[30:31], 0x18
	s_load_dword s38, s[30:31], 0x20
	s_load_dword s39, s[30:31], 0xe0
	s_load_dwordx2 s[36:37], s[30:31], 0xd8
	s_waitcnt lgkmcnt(0)
	v_mul_hi_u32 v3, s35, v1
	v_add_u32_e32 v3, v1, v3
	v_lshrrev_b32_e32 v3, s38, v3
	v_mul_lo_u32 v3, v3, s34
	v_sub_u32_e32 v5, v1, v3
	v_mad_u64_u32 v[0:1], s[30:31], v5, s36, v[0:1]
	v_mad_u64_u32 v[2:3], s[30:31], v5, s37, v[2:3]
	;; [unrolled: 1-line block ×3, first 2 shown]
.LBB45_57:
	s_cbranch_execz .LBB45_59
	s_branch .LBB45_61
.LBB45_58:
                                        ; implicit-def: $vgpr4
                                        ; implicit-def: $vgpr2
                                        ; implicit-def: $vgpr0
.LBB45_59:
	s_waitcnt lgkmcnt(0)
	v_mul_hi_u32 v0, s13, v14
	v_add_u32_e32 v0, v14, v0
	s_waitcnt vmcnt(1)
	v_lshrrev_b32_e32 v1, s14, v0
	v_mul_lo_u32 v0, v1, s12
	v_sub_u32_e32 v2, v14, v0
	v_mul_lo_u32 v0, v2, s8
	v_mul_lo_u32 v4, v2, s10
	s_andn2_b64 vcc, exec, s[24:25]
	v_mul_lo_u32 v2, v2, s9
	s_cbranch_vccnz .LBB45_61
; %bb.60:
	v_mul_hi_u32 v3, s22, v1
	v_add_u32_e32 v3, v1, v3
	v_lshrrev_b32_e32 v3, s23, v3
	v_mul_lo_u32 v3, v3, s15
	v_sub_u32_e32 v5, v1, v3
	v_mad_u64_u32 v[0:1], s[30:31], v5, s11, v[0:1]
	v_mad_u64_u32 v[2:3], s[30:31], v5, s20, v[2:3]
	;; [unrolled: 1-line block ×3, first 2 shown]
.LBB45_61:
	s_waitcnt lgkmcnt(0)
	global_load_dword v1, v4, s[18:19]
	s_mov_b32 s30, 0x2f800000
	s_mov_b32 s31, 0xcf800000
	s_waitcnt vmcnt(0)
	v_trunc_f32_e32 v1, v1
	v_mul_f32_e64 v3, |v1|, s30
	v_floor_f32_e32 v3, v3
	v_fma_f32 v4, v3, s31, |v1|
	v_cvt_u32_f32_e32 v4, v4
	v_cvt_u32_f32_e32 v3, v3
	v_ashrrev_i32_e32 v1, 31, v1
	v_xor_b32_e32 v4, v4, v1
	v_xor_b32_e32 v3, v3, v1
	v_sub_co_u32_e32 v4, vcc, v4, v1
	v_subb_co_u32_e32 v5, vcc, v3, v1, vcc
	v_cmp_lt_i64_e32 vcc, -1, v[4:5]
	v_mov_b32_e32 v3, 0
	s_and_saveexec_b64 s[30:31], vcc
	s_cbranch_execz .LBB45_73
; %bb.62:
	v_cmp_lt_i64_e32 vcc, 0, v[4:5]
	v_mov_b32_e32 v3, 1.0
	s_and_saveexec_b64 s[34:35], vcc
	s_cbranch_execz .LBB45_72
; %bb.63:
	global_load_dword v1, v2, s[2:3]
	v_cmp_ne_u64_e32 vcc, 1, v[4:5]
                                        ; implicit-def: $vgpr3
	s_and_saveexec_b64 s[36:37], vcc
	s_xor_b64 s[36:37], exec, s[36:37]
	s_cbranch_execz .LBB45_69
; %bb.64:
	s_mov_b64 s[38:39], 0x81
	v_cmp_gt_u64_e32 vcc, s[38:39], v[4:5]
	v_mov_b32_e32 v3, 0x7fc00000
	s_and_saveexec_b64 s[38:39], vcc
	s_cbranch_execz .LBB45_68
; %bb.65:
	s_mov_b64 s[42:43], 1
	s_mov_b64 s[40:41], 0
	v_mov_b32_e32 v2, 1.0
	s_waitcnt vmcnt(0)
	v_mov_b32_e32 v3, v1
.LBB45_66:                              ; =>This Inner Loop Header: Depth=1
	s_flbit_i32_b32 s47, s43
	s_min_u32 s47, s47, 32
	s_lshl_b64 s[48:49], s[42:43], s47
	s_min_u32 s48, s48, 1
	s_or_b32 s48, s49, s48
	v_cvt_f32_u32_e32 v6, s48
	s_sub_i32 s47, 32, s47
	s_add_u32 s42, s42, 1
	s_addc_u32 s43, s43, 0
	v_ldexp_f32 v6, v6, s47
	v_cmp_eq_u64_e32 vcc, s[42:43], v[4:5]
	v_mul_f32_e32 v6, v2, v6
	s_or_b64 s[40:41], vcc, s[40:41]
	v_mov_b32_e32 v2, v3
	v_fma_f32 v3, v1, v3, -v6
	s_andn2_b64 exec, exec, s[40:41]
	s_cbranch_execnz .LBB45_66
; %bb.67:
	s_or_b64 exec, exec, s[40:41]
.LBB45_68:
	s_or_b64 exec, exec, s[38:39]
                                        ; implicit-def: $vgpr1
.LBB45_69:
	s_andn2_saveexec_b64 s[36:37], s[36:37]
	s_cbranch_execz .LBB45_71
; %bb.70:
	s_waitcnt vmcnt(0)
	v_mov_b32_e32 v3, v1
.LBB45_71:
	s_or_b64 exec, exec, s[36:37]
.LBB45_72:
	s_or_b64 exec, exec, s[34:35]
.LBB45_73:
	s_or_b64 exec, exec, s[30:31]
	v_add_u32_e32 v14, 0x80, v14
	global_store_dword v0, v3, s[0:1]
	s_or_b64 exec, exec, s[28:29]
	v_cmp_gt_i32_e32 vcc, s46, v14
	s_and_saveexec_b64 s[28:29], vcc
	s_cbranch_execz .LBB45_97
.LBB45_74:
	s_andn2_b64 vcc, exec, s[6:7]
	s_cbranch_vccnz .LBB45_81
; %bb.75:
	s_andn2_b64 vcc, exec, s[26:27]
	v_mov_b32_e32 v4, 0
	v_mov_b32_e32 v2, 0
	;; [unrolled: 1-line block ×3, first 2 shown]
	s_cbranch_vccnz .LBB45_80
; %bb.76:
	s_add_i32 s26, s45, 1
	s_and_b32 s30, s26, 30
	s_add_u32 s26, s4, 0xffffffec
	s_addc_u32 s27, s5, -1
	v_mov_b32_e32 v0, 0
	s_waitcnt vmcnt(1)
	v_mov_b32_e32 v1, v14
	v_mov_b32_e32 v2, 0
	;; [unrolled: 1-line block ×3, first 2 shown]
.LBB45_77:                              ; =>This Inner Loop Header: Depth=1
	s_mov_b64 s[34:35], s[26:27]
	s_load_dwordx4 s[36:39], s[34:35], 0x18
	s_load_dwordx2 s[46:47], s[34:35], 0x28
	s_load_dwordx2 s[48:49], s[34:35], 0xe8
	s_load_dwordx4 s[40:43], s[34:35], 0xd8
	s_add_u32 s26, s34, 24
	s_waitcnt lgkmcnt(0)
	v_mul_hi_u32 v3, s37, v1
	v_add_u32_e32 v3, v1, v3
	v_lshrrev_b32_e32 v3, s38, v3
	v_mul_lo_u32 v5, v3, s36
	v_mul_hi_u32 v6, s46, v3
	v_sub_u32_e32 v1, v1, v5
	v_add_u32_e32 v5, v3, v6
	v_mul_lo_u32 v6, v1, s40
	v_mul_lo_u32 v7, v1, s41
	;; [unrolled: 1-line block ×3, first 2 shown]
	v_lshrrev_b32_e32 v1, s47, v5
	v_mul_lo_u32 v5, v1, s39
	v_sub_u32_e32 v3, v3, v5
	s_addc_u32 s27, s35, 0
	s_add_i32 s30, s30, -2
	v_mul_lo_u32 v5, v3, s43
	v_mul_lo_u32 v9, v3, s48
	;; [unrolled: 1-line block ×3, first 2 shown]
	s_cmp_eq_u32 s30, 0
	v_add3_u32 v0, v6, v0, v5
	v_add3_u32 v4, v8, v4, v3
	;; [unrolled: 1-line block ×3, first 2 shown]
	s_cbranch_scc0 .LBB45_77
; %bb.78:
	s_bitcmp1_b32 s45, 0
	s_cselect_b64 s[30:31], -1, 0
	s_and_b64 vcc, exec, s[30:31]
	s_cbranch_vccnz .LBB45_80
; %bb.79:
	s_load_dwordx2 s[30:31], s[26:27], 0x18
	s_load_dword s36, s[26:27], 0x20
	s_load_dword s37, s[26:27], 0xe0
	s_load_dwordx2 s[34:35], s[26:27], 0xd8
	s_waitcnt lgkmcnt(0)
	v_mul_hi_u32 v3, s31, v1
	v_add_u32_e32 v3, v1, v3
	v_lshrrev_b32_e32 v3, s36, v3
	v_mul_lo_u32 v3, v3, s30
	v_sub_u32_e32 v5, v1, v3
	v_mad_u64_u32 v[0:1], s[26:27], v5, s34, v[0:1]
	v_mad_u64_u32 v[2:3], s[26:27], v5, s35, v[2:3]
	;; [unrolled: 1-line block ×3, first 2 shown]
.LBB45_80:
	s_cbranch_execz .LBB45_82
	s_branch .LBB45_84
.LBB45_81:
                                        ; implicit-def: $vgpr4
                                        ; implicit-def: $vgpr2
                                        ; implicit-def: $vgpr0
.LBB45_82:
	s_waitcnt lgkmcnt(0)
	v_mul_hi_u32 v0, s13, v14
	v_add_u32_e32 v0, v14, v0
	s_waitcnt vmcnt(1)
	v_lshrrev_b32_e32 v1, s14, v0
	v_mul_lo_u32 v0, v1, s12
	v_sub_u32_e32 v2, v14, v0
	v_mul_lo_u32 v0, v2, s8
	v_mul_lo_u32 v4, v2, s10
	s_andn2_b64 vcc, exec, s[24:25]
	v_mul_lo_u32 v2, v2, s9
	s_cbranch_vccnz .LBB45_84
; %bb.83:
	v_mul_hi_u32 v3, s22, v1
	v_add_u32_e32 v3, v1, v3
	v_lshrrev_b32_e32 v3, s23, v3
	v_mul_lo_u32 v3, v3, s15
	v_sub_u32_e32 v5, v1, v3
	v_mad_u64_u32 v[0:1], s[8:9], v5, s11, v[0:1]
	v_mad_u64_u32 v[2:3], s[8:9], v5, s20, v[2:3]
	;; [unrolled: 1-line block ×3, first 2 shown]
.LBB45_84:
	s_waitcnt lgkmcnt(0)
	global_load_dword v1, v4, s[18:19]
	s_mov_b32 s8, 0x2f800000
	s_mov_b32 s9, 0xcf800000
	s_waitcnt vmcnt(0)
	v_trunc_f32_e32 v1, v1
	v_mul_f32_e64 v3, |v1|, s8
	v_floor_f32_e32 v3, v3
	v_fma_f32 v4, v3, s9, |v1|
	v_cvt_u32_f32_e32 v4, v4
	v_cvt_u32_f32_e32 v3, v3
	v_ashrrev_i32_e32 v1, 31, v1
	v_xor_b32_e32 v4, v4, v1
	v_xor_b32_e32 v3, v3, v1
	v_sub_co_u32_e32 v4, vcc, v4, v1
	v_subb_co_u32_e32 v5, vcc, v3, v1, vcc
	v_cmp_lt_i64_e32 vcc, -1, v[4:5]
	v_mov_b32_e32 v3, 0
	s_and_saveexec_b64 s[8:9], vcc
	s_cbranch_execz .LBB45_96
; %bb.85:
	v_cmp_lt_i64_e32 vcc, 0, v[4:5]
	v_mov_b32_e32 v3, 1.0
	s_and_saveexec_b64 s[10:11], vcc
	s_cbranch_execz .LBB45_95
; %bb.86:
	global_load_dword v1, v2, s[2:3]
	v_cmp_ne_u64_e32 vcc, 1, v[4:5]
                                        ; implicit-def: $vgpr3
	s_and_saveexec_b64 s[2:3], vcc
	s_xor_b64 s[2:3], exec, s[2:3]
	s_cbranch_execz .LBB45_92
; %bb.87:
	s_mov_b64 s[12:13], 0x81
	v_cmp_gt_u64_e32 vcc, s[12:13], v[4:5]
	v_mov_b32_e32 v3, 0x7fc00000
	s_and_saveexec_b64 s[12:13], vcc
	s_cbranch_execz .LBB45_91
; %bb.88:
	s_mov_b64 s[18:19], 1
	s_mov_b64 s[14:15], 0
	v_mov_b32_e32 v2, 1.0
	s_waitcnt vmcnt(0)
	v_mov_b32_e32 v3, v1
.LBB45_89:                              ; =>This Inner Loop Header: Depth=1
	s_flbit_i32_b32 s20, s19
	s_min_u32 s22, s20, 32
	s_lshl_b64 s[20:21], s[18:19], s22
	s_min_u32 s20, s20, 1
	s_or_b32 s20, s21, s20
	v_cvt_f32_u32_e32 v6, s20
	s_sub_i32 s22, 32, s22
	s_add_u32 s18, s18, 1
	s_addc_u32 s19, s19, 0
	v_ldexp_f32 v6, v6, s22
	v_cmp_eq_u64_e32 vcc, s[18:19], v[4:5]
	v_mul_f32_e32 v6, v2, v6
	s_or_b64 s[14:15], vcc, s[14:15]
	v_mov_b32_e32 v2, v3
	v_fma_f32 v3, v1, v3, -v6
	s_andn2_b64 exec, exec, s[14:15]
	s_cbranch_execnz .LBB45_89
; %bb.90:
	s_or_b64 exec, exec, s[14:15]
.LBB45_91:
	s_or_b64 exec, exec, s[12:13]
                                        ; implicit-def: $vgpr1
.LBB45_92:
	s_andn2_saveexec_b64 s[2:3], s[2:3]
	s_cbranch_execz .LBB45_94
; %bb.93:
	s_waitcnt vmcnt(0)
	v_mov_b32_e32 v3, v1
.LBB45_94:
	s_or_b64 exec, exec, s[2:3]
.LBB45_95:
	s_or_b64 exec, exec, s[10:11]
.LBB45_96:
	s_or_b64 exec, exec, s[8:9]
	global_store_dword v0, v3, s[0:1]
.LBB45_97:
	s_or_b64 exec, exec, s[28:29]
                                        ; implicit-def: $vgpr24
                                        ; implicit-def: $vgpr14
.LBB45_98:
	s_waitcnt lgkmcnt(0)
	s_andn2_saveexec_b64 s[0:1], s[16:17]
	s_cbranch_execz .LBB45_105
; %bb.99:
	v_cndmask_b32_e64 v0, 0, 1, s[6:7]
	v_cmp_ne_u32_e64 s[0:1], 1, v0
	s_andn2_b64 vcc, exec, s[6:7]
	s_cbranch_vccnz .LBB45_106
; %bb.100:
	s_cmp_lg_u32 s33, 0
	v_mov_b32_e32 v8, 0
	v_mov_b32_e32 v6, 0
	;; [unrolled: 1-line block ×3, first 2 shown]
	s_cbranch_scc0 .LBB45_107
; %bb.101:
	s_min_u32 s6, s44, 15
	s_add_i32 s2, s6, 1
	s_and_b32 s7, s2, 30
	s_add_u32 s2, s4, 0xffffffec
	s_addc_u32 s3, s5, -1
	v_mov_b32_e32 v0, 0
	s_waitcnt vmcnt(1)
	v_mov_b32_e32 v1, v14
	v_mov_b32_e32 v6, 0
	v_mov_b32_e32 v8, 0
.LBB45_102:                             ; =>This Inner Loop Header: Depth=1
	s_mov_b64 s[16:17], s[2:3]
	s_load_dwordx4 s[8:11], s[16:17], 0x18
	s_load_dwordx2 s[18:19], s[16:17], 0x28
	s_load_dwordx2 s[20:21], s[16:17], 0xe8
	s_load_dwordx4 s[12:15], s[16:17], 0xd8
	s_add_u32 s2, s16, 24
	s_waitcnt lgkmcnt(0)
	v_mul_hi_u32 v2, s9, v1
	v_add_u32_e32 v2, v1, v2
	v_lshrrev_b32_e32 v2, s10, v2
	v_mul_lo_u32 v3, v2, s8
	v_mul_hi_u32 v4, s18, v2
	v_sub_u32_e32 v1, v1, v3
	v_add_u32_e32 v3, v2, v4
	v_mul_lo_u32 v4, v1, s12
	v_mul_lo_u32 v5, v1, s13
	;; [unrolled: 1-line block ×3, first 2 shown]
	v_lshrrev_b32_e32 v1, s19, v3
	v_mul_lo_u32 v3, v1, s11
	v_sub_u32_e32 v2, v2, v3
	s_addc_u32 s3, s17, 0
	s_add_i32 s7, s7, -2
	v_mul_lo_u32 v3, v2, s15
	v_mul_lo_u32 v9, v2, s20
	;; [unrolled: 1-line block ×3, first 2 shown]
	s_cmp_lg_u32 s7, 0
	v_add3_u32 v0, v4, v0, v3
	v_add3_u32 v8, v7, v8, v2
	;; [unrolled: 1-line block ×3, first 2 shown]
	s_cbranch_scc1 .LBB45_102
; %bb.103:
	s_bitcmp1_b32 s6, 0
	s_cselect_b64 s[6:7], -1, 0
	s_and_b64 vcc, exec, s[6:7]
	s_cbranch_vccnz .LBB45_107
; %bb.104:
	s_load_dwordx2 s[6:7], s[2:3], 0x18
	s_load_dword s10, s[2:3], 0x20
	s_load_dword s11, s[2:3], 0xe0
	s_load_dwordx2 s[8:9], s[2:3], 0xd8
	s_waitcnt lgkmcnt(0)
	v_mul_hi_u32 v2, s7, v1
	v_add_u32_e32 v2, v1, v2
	v_lshrrev_b32_e32 v2, s10, v2
	v_mul_lo_u32 v2, v2, s6
	v_sub_u32_e32 v2, v1, v2
	v_mad_u64_u32 v[0:1], s[2:3], v2, s8, v[0:1]
	v_mad_u64_u32 v[6:7], s[2:3], v2, s9, v[6:7]
	;; [unrolled: 1-line block ×3, first 2 shown]
	s_cbranch_execz .LBB45_108
	s_branch .LBB45_110
.LBB45_105:
	s_endpgm
.LBB45_106:
                                        ; implicit-def: $vgpr8
                                        ; implicit-def: $vgpr6
                                        ; implicit-def: $vgpr0
	s_branch .LBB45_108
.LBB45_107:
	s_cbranch_execnz .LBB45_110
.LBB45_108:
	s_load_dwordx4 s[8:11], s[4:5], 0x4
	s_load_dwordx4 s[12:15], s[4:5], 0xc4
	s_cmp_lt_u32 s33, 2
	s_waitcnt lgkmcnt(0)
	v_mul_hi_u32 v0, s9, v14
	v_add_u32_e32 v0, v14, v0
	s_waitcnt vmcnt(1)
	v_lshrrev_b32_e32 v1, s10, v0
	v_mul_lo_u32 v0, v1, s8
	v_sub_u32_e32 v2, v14, v0
	v_mul_lo_u32 v0, v2, s12
	v_mul_lo_u32 v8, v2, s14
	;; [unrolled: 1-line block ×3, first 2 shown]
	s_cbranch_scc1 .LBB45_110
; %bb.109:
	s_load_dwordx4 s[8:11], s[4:5], 0x10
	s_load_dwordx4 s[12:15], s[4:5], 0xd0
	s_waitcnt lgkmcnt(0)
	v_mul_hi_u32 v2, s9, v1
	v_add_u32_e32 v2, v1, v2
	v_lshrrev_b32_e32 v2, s10, v2
	v_mul_lo_u32 v2, v2, s8
	v_sub_u32_e32 v2, v1, v2
	v_mad_u64_u32 v[0:1], s[2:3], v2, s12, v[0:1]
	v_mad_u64_u32 v[6:7], s[2:3], v2, s13, v[6:7]
	;; [unrolled: 1-line block ×3, first 2 shown]
.LBB45_110:
	s_and_b64 vcc, exec, s[0:1]
	s_waitcnt vmcnt(1)
	v_add_u32_e32 v1, 0x80, v14
	s_cbranch_vccnz .LBB45_116
; %bb.111:
	s_cmp_lg_u32 s33, 0
	v_mov_b32_e32 v12, 0
	v_mov_b32_e32 v10, 0
	;; [unrolled: 1-line block ×3, first 2 shown]
	s_cbranch_scc0 .LBB45_117
; %bb.112:
	s_min_u32 s6, s44, 15
	s_add_i32 s2, s6, 1
	s_and_b32 s7, s2, 30
	s_add_u32 s2, s4, 0xffffffec
	s_addc_u32 s3, s5, -1
	v_mov_b32_e32 v2, 0
	v_mov_b32_e32 v3, v1
	;; [unrolled: 1-line block ×4, first 2 shown]
.LBB45_113:                             ; =>This Inner Loop Header: Depth=1
	s_mov_b64 s[16:17], s[2:3]
	s_load_dwordx4 s[8:11], s[16:17], 0x18
	s_load_dwordx2 s[18:19], s[16:17], 0x28
	s_load_dwordx2 s[20:21], s[16:17], 0xe8
	s_load_dwordx4 s[12:15], s[16:17], 0xd8
	s_add_u32 s2, s16, 24
	s_waitcnt lgkmcnt(0)
	v_mul_hi_u32 v4, s9, v3
	v_add_u32_e32 v4, v3, v4
	v_lshrrev_b32_e32 v4, s10, v4
	v_mul_lo_u32 v5, v4, s8
	v_mul_hi_u32 v7, s18, v4
	v_sub_u32_e32 v3, v3, v5
	v_add_u32_e32 v5, v4, v7
	v_mul_lo_u32 v7, v3, s12
	v_mul_lo_u32 v9, v3, s13
	;; [unrolled: 1-line block ×3, first 2 shown]
	v_lshrrev_b32_e32 v3, s19, v5
	v_mul_lo_u32 v5, v3, s11
	v_sub_u32_e32 v4, v4, v5
	s_addc_u32 s3, s17, 0
	s_add_i32 s7, s7, -2
	v_mul_lo_u32 v5, v4, s15
	v_mul_lo_u32 v13, v4, s20
	;; [unrolled: 1-line block ×3, first 2 shown]
	s_cmp_lg_u32 s7, 0
	v_add3_u32 v2, v7, v2, v5
	v_add3_u32 v12, v11, v12, v4
	;; [unrolled: 1-line block ×3, first 2 shown]
	s_cbranch_scc1 .LBB45_113
; %bb.114:
	s_bitcmp1_b32 s6, 0
	s_cselect_b64 s[6:7], -1, 0
	s_and_b64 vcc, exec, s[6:7]
	s_cbranch_vccnz .LBB45_117
; %bb.115:
	s_load_dwordx2 s[6:7], s[2:3], 0x18
	s_load_dword s10, s[2:3], 0x20
	s_load_dword s11, s[2:3], 0xe0
	s_load_dwordx2 s[8:9], s[2:3], 0xd8
	s_waitcnt lgkmcnt(0)
	v_mul_hi_u32 v4, s7, v3
	v_add_u32_e32 v4, v3, v4
	v_lshrrev_b32_e32 v4, s10, v4
	v_mul_lo_u32 v4, v4, s6
	v_sub_u32_e32 v4, v3, v4
	v_mad_u64_u32 v[2:3], s[2:3], v4, s8, v[2:3]
	v_mad_u64_u32 v[10:11], s[2:3], v4, s9, v[10:11]
	v_mad_u64_u32 v[12:13], s[2:3], v4, s11, v[12:13]
	s_cbranch_execz .LBB45_118
	s_branch .LBB45_120
.LBB45_116:
                                        ; implicit-def: $vgpr12
                                        ; implicit-def: $vgpr10
                                        ; implicit-def: $vgpr2
	s_branch .LBB45_118
.LBB45_117:
	s_cbranch_execnz .LBB45_120
.LBB45_118:
	s_load_dwordx4 s[8:11], s[4:5], 0x4
	s_load_dwordx4 s[12:15], s[4:5], 0xc4
	s_cmp_lt_u32 s33, 2
	s_waitcnt lgkmcnt(0)
	v_mul_hi_u32 v2, s9, v1
	v_add_u32_e32 v2, v1, v2
	v_lshrrev_b32_e32 v3, s10, v2
	v_mul_lo_u32 v2, v3, s8
	v_sub_u32_e32 v1, v1, v2
	v_mul_lo_u32 v2, v1, s12
	v_mul_lo_u32 v12, v1, s14
	;; [unrolled: 1-line block ×3, first 2 shown]
	s_cbranch_scc1 .LBB45_120
; %bb.119:
	s_load_dwordx4 s[8:11], s[4:5], 0x10
	s_load_dwordx4 s[12:15], s[4:5], 0xd0
	s_waitcnt lgkmcnt(0)
	v_mul_hi_u32 v1, s9, v3
	v_add_u32_e32 v1, v3, v1
	v_lshrrev_b32_e32 v1, s10, v1
	v_mul_lo_u32 v1, v1, s8
	v_sub_u32_e32 v1, v3, v1
	v_mad_u64_u32 v[2:3], s[2:3], v1, s12, v[2:3]
	v_mad_u64_u32 v[10:11], s[2:3], v1, s13, v[10:11]
	;; [unrolled: 1-line block ×3, first 2 shown]
.LBB45_120:
	s_and_b64 vcc, exec, s[0:1]
	v_add_u32_e32 v1, 0x100, v14
	s_cbranch_vccnz .LBB45_126
; %bb.121:
	s_cmp_lg_u32 s33, 0
	v_mov_b32_e32 v18, 0
	v_mov_b32_e32 v16, 0
	;; [unrolled: 1-line block ×3, first 2 shown]
	s_cbranch_scc0 .LBB45_127
; %bb.122:
	s_min_u32 s6, s44, 15
	s_add_i32 s2, s6, 1
	s_and_b32 s7, s2, 30
	s_add_u32 s2, s4, 0xffffffec
	s_addc_u32 s3, s5, -1
	v_mov_b32_e32 v4, 0
	v_mov_b32_e32 v3, v1
	;; [unrolled: 1-line block ×4, first 2 shown]
.LBB45_123:                             ; =>This Inner Loop Header: Depth=1
	s_mov_b64 s[16:17], s[2:3]
	s_load_dwordx4 s[8:11], s[16:17], 0x18
	s_load_dwordx2 s[18:19], s[16:17], 0x28
	s_load_dwordx2 s[20:21], s[16:17], 0xe8
	s_load_dwordx4 s[12:15], s[16:17], 0xd8
	s_add_u32 s2, s16, 24
	s_waitcnt lgkmcnt(0)
	v_mul_hi_u32 v5, s9, v3
	v_add_u32_e32 v5, v3, v5
	v_lshrrev_b32_e32 v5, s10, v5
	v_mul_lo_u32 v7, v5, s8
	v_mul_hi_u32 v9, s18, v5
	v_sub_u32_e32 v3, v3, v7
	v_add_u32_e32 v7, v5, v9
	v_mul_lo_u32 v9, v3, s12
	v_mul_lo_u32 v11, v3, s13
	;; [unrolled: 1-line block ×3, first 2 shown]
	v_lshrrev_b32_e32 v3, s19, v7
	v_mul_lo_u32 v7, v3, s11
	v_sub_u32_e32 v5, v5, v7
	s_addc_u32 s3, s17, 0
	s_add_i32 s7, s7, -2
	v_mul_lo_u32 v7, v5, s15
	v_mul_lo_u32 v14, v5, s20
	;; [unrolled: 1-line block ×3, first 2 shown]
	s_cmp_lg_u32 s7, 0
	v_add3_u32 v4, v9, v4, v7
	v_add3_u32 v18, v13, v18, v5
	;; [unrolled: 1-line block ×3, first 2 shown]
	s_cbranch_scc1 .LBB45_123
; %bb.124:
	s_bitcmp1_b32 s6, 0
	s_cselect_b64 s[6:7], -1, 0
	s_and_b64 vcc, exec, s[6:7]
	s_cbranch_vccnz .LBB45_127
; %bb.125:
	s_load_dwordx2 s[6:7], s[2:3], 0x18
	s_load_dword s10, s[2:3], 0x20
	s_load_dword s11, s[2:3], 0xe0
	s_load_dwordx2 s[8:9], s[2:3], 0xd8
	s_waitcnt lgkmcnt(0)
	v_mul_hi_u32 v5, s7, v3
	v_add_u32_e32 v5, v3, v5
	v_lshrrev_b32_e32 v5, s10, v5
	v_mul_lo_u32 v5, v5, s6
	v_sub_u32_e32 v3, v3, v5
	v_mad_u64_u32 v[4:5], s[2:3], v3, s8, v[4:5]
	v_mad_u64_u32 v[16:17], s[2:3], v3, s9, v[16:17]
	;; [unrolled: 1-line block ×3, first 2 shown]
	s_cbranch_execz .LBB45_128
	s_branch .LBB45_130
.LBB45_126:
                                        ; implicit-def: $vgpr18
                                        ; implicit-def: $vgpr16
                                        ; implicit-def: $vgpr4
	s_branch .LBB45_128
.LBB45_127:
	s_cbranch_execnz .LBB45_130
.LBB45_128:
	s_load_dwordx4 s[8:11], s[4:5], 0x4
	s_load_dwordx4 s[12:15], s[4:5], 0xc4
	s_cmp_lt_u32 s33, 2
	s_waitcnt lgkmcnt(0)
	v_mul_hi_u32 v3, s9, v1
	v_add_u32_e32 v3, v1, v3
	v_lshrrev_b32_e32 v3, s10, v3
	v_mul_lo_u32 v4, v3, s8
	v_sub_u32_e32 v1, v1, v4
	v_mul_lo_u32 v4, v1, s12
	v_mul_lo_u32 v18, v1, s14
	;; [unrolled: 1-line block ×3, first 2 shown]
	s_cbranch_scc1 .LBB45_130
; %bb.129:
	s_load_dwordx4 s[8:11], s[4:5], 0x10
	s_load_dwordx4 s[12:15], s[4:5], 0xd0
	s_waitcnt lgkmcnt(0)
	v_mul_hi_u32 v1, s9, v3
	v_add_u32_e32 v1, v3, v1
	v_lshrrev_b32_e32 v1, s10, v1
	v_mul_lo_u32 v1, v1, s8
	v_sub_u32_e32 v1, v3, v1
	v_mad_u64_u32 v[4:5], s[2:3], v1, s12, v[4:5]
	v_mad_u64_u32 v[16:17], s[2:3], v1, s13, v[16:17]
	;; [unrolled: 1-line block ×3, first 2 shown]
.LBB45_130:
	s_and_b64 vcc, exec, s[0:1]
	s_cbranch_vccnz .LBB45_136
; %bb.131:
	s_cmp_lg_u32 s33, 0
	v_mov_b32_e32 v22, 0
	v_mov_b32_e32 v20, 0
	;; [unrolled: 1-line block ×3, first 2 shown]
	s_cbranch_scc0 .LBB45_137
; %bb.132:
	s_min_u32 s2, s44, 15
	s_add_i32 s0, s2, 1
	s_and_b32 s3, s0, 30
	s_add_u32 s0, s4, 0xffffffec
	s_addc_u32 s1, s5, -1
	v_mov_b32_e32 v14, 0
	v_mov_b32_e32 v1, v24
	;; [unrolled: 1-line block ×4, first 2 shown]
.LBB45_133:                             ; =>This Inner Loop Header: Depth=1
	s_mov_b64 s[6:7], s[0:1]
	s_load_dwordx4 s[8:11], s[6:7], 0x18
	s_load_dwordx2 s[16:17], s[6:7], 0x28
	s_load_dwordx2 s[18:19], s[6:7], 0xe8
	s_load_dwordx4 s[12:15], s[6:7], 0xd8
	s_add_u32 s0, s6, 24
	s_waitcnt lgkmcnt(0)
	v_mul_hi_u32 v3, s9, v1
	v_add_u32_e32 v3, v1, v3
	v_lshrrev_b32_e32 v3, s10, v3
	v_mul_lo_u32 v5, v3, s8
	v_mul_hi_u32 v7, s16, v3
	v_sub_u32_e32 v1, v1, v5
	v_add_u32_e32 v5, v3, v7
	v_mul_lo_u32 v7, v1, s12
	v_mul_lo_u32 v9, v1, s13
	;; [unrolled: 1-line block ×3, first 2 shown]
	v_lshrrev_b32_e32 v1, s17, v5
	v_mul_lo_u32 v5, v1, s11
	v_sub_u32_e32 v3, v3, v5
	s_addc_u32 s1, s7, 0
	s_add_i32 s3, s3, -2
	v_mul_lo_u32 v5, v3, s15
	v_mul_lo_u32 v13, v3, s18
	;; [unrolled: 1-line block ×3, first 2 shown]
	s_cmp_lg_u32 s3, 0
	v_add3_u32 v14, v7, v14, v5
	v_add3_u32 v22, v11, v22, v3
	v_add3_u32 v20, v9, v20, v13
	s_cbranch_scc1 .LBB45_133
; %bb.134:
	s_bitcmp1_b32 s2, 0
	s_cselect_b64 s[2:3], -1, 0
	s_and_b64 vcc, exec, s[2:3]
	s_cbranch_vccnz .LBB45_137
; %bb.135:
	s_load_dwordx2 s[2:3], s[0:1], 0x18
	s_load_dword s8, s[0:1], 0x20
	s_load_dword s9, s[0:1], 0xe0
	s_load_dwordx2 s[6:7], s[0:1], 0xd8
	s_waitcnt lgkmcnt(0)
	v_mul_hi_u32 v3, s3, v1
	v_add_u32_e32 v3, v1, v3
	v_lshrrev_b32_e32 v3, s8, v3
	v_mul_lo_u32 v3, v3, s2
	v_sub_u32_e32 v1, v1, v3
	v_mad_u64_u32 v[14:15], s[0:1], v1, s6, v[14:15]
	v_mad_u64_u32 v[20:21], s[0:1], v1, s7, v[20:21]
	;; [unrolled: 1-line block ×3, first 2 shown]
	s_cbranch_execz .LBB45_138
	s_branch .LBB45_140
.LBB45_136:
                                        ; implicit-def: $vgpr22
                                        ; implicit-def: $vgpr20
                                        ; implicit-def: $vgpr14
	s_branch .LBB45_138
.LBB45_137:
	s_cbranch_execnz .LBB45_140
.LBB45_138:
	s_load_dwordx4 s[0:3], s[4:5], 0x4
	s_load_dwordx4 s[8:11], s[4:5], 0xc4
	s_cmp_lt_u32 s33, 2
	s_waitcnt lgkmcnt(0)
	v_mul_hi_u32 v1, s1, v24
	v_add_u32_e32 v1, v24, v1
	v_lshrrev_b32_e32 v1, s2, v1
	v_mul_lo_u32 v3, v1, s0
	v_sub_u32_e32 v3, v24, v3
	v_mul_lo_u32 v14, v3, s8
	v_mul_lo_u32 v22, v3, s10
	;; [unrolled: 1-line block ×3, first 2 shown]
	s_cbranch_scc1 .LBB45_140
; %bb.139:
	s_load_dwordx4 s[0:3], s[4:5], 0x10
	s_load_dwordx4 s[8:11], s[4:5], 0xd0
	s_waitcnt lgkmcnt(0)
	v_mul_hi_u32 v3, s1, v1
	v_add_u32_e32 v3, v1, v3
	v_lshrrev_b32_e32 v3, s2, v3
	v_mul_lo_u32 v3, v3, s0
	v_sub_u32_e32 v1, v1, v3
	v_mad_u64_u32 v[14:15], s[0:1], v1, s8, v[14:15]
	v_mad_u64_u32 v[20:21], s[0:1], v1, s9, v[20:21]
	v_mad_u64_u32 v[22:23], s[0:1], v1, s10, v[22:23]
.LBB45_140:
	s_load_dwordx2 s[6:7], s[4:5], 0x198
	s_mov_b32 s0, 0x2f800000
	s_mov_b32 s1, 0xcf800000
	s_waitcnt lgkmcnt(0)
	global_load_dword v1, v8, s[6:7]
	s_waitcnt vmcnt(0)
	v_trunc_f32_e32 v1, v1
	v_mul_f32_e64 v3, |v1|, s0
	v_floor_f32_e32 v3, v3
	v_fma_f32 v5, v3, s1, |v1|
	v_cvt_u32_f32_e32 v5, v5
	v_cvt_u32_f32_e32 v3, v3
	s_load_dwordx4 s[0:3], s[4:5], 0x188
	v_ashrrev_i32_e32 v1, 31, v1
	v_xor_b32_e32 v5, v5, v1
	v_xor_b32_e32 v3, v3, v1
	v_sub_co_u32_e32 v8, vcc, v5, v1
	v_subb_co_u32_e32 v9, vcc, v3, v1, vcc
	v_cmp_lt_i64_e32 vcc, -1, v[8:9]
	v_mov_b32_e32 v1, 0
	s_and_saveexec_b64 s[4:5], vcc
	s_cbranch_execz .LBB45_152
; %bb.141:
	v_cmp_lt_i64_e32 vcc, 0, v[8:9]
	v_mov_b32_e32 v1, 1.0
	s_and_saveexec_b64 s[8:9], vcc
	s_cbranch_execz .LBB45_151
; %bb.142:
	s_waitcnt lgkmcnt(0)
	global_load_dword v3, v6, s[2:3]
	v_cmp_ne_u64_e32 vcc, 1, v[8:9]
                                        ; implicit-def: $vgpr1
	s_and_saveexec_b64 s[10:11], vcc
	s_xor_b64 s[10:11], exec, s[10:11]
	s_cbranch_execz .LBB45_148
; %bb.143:
	s_mov_b64 s[12:13], 0x81
	v_cmp_gt_u64_e32 vcc, s[12:13], v[8:9]
	v_mov_b32_e32 v1, 0x7fc00000
	s_and_saveexec_b64 s[12:13], vcc
	s_cbranch_execz .LBB45_147
; %bb.144:
	s_mov_b64 s[16:17], 1
	s_mov_b64 s[14:15], 0
	v_mov_b32_e32 v5, 1.0
	s_waitcnt vmcnt(0)
	v_mov_b32_e32 v1, v3
.LBB45_145:                             ; =>This Inner Loop Header: Depth=1
	s_flbit_i32_b32 s18, s17
	s_min_u32 s20, s18, 32
	s_lshl_b64 s[18:19], s[16:17], s20
	s_min_u32 s18, s18, 1
	s_or_b32 s18, s19, s18
	v_cvt_f32_u32_e32 v6, s18
	s_sub_i32 s20, 32, s20
	s_add_u32 s16, s16, 1
	s_addc_u32 s17, s17, 0
	v_ldexp_f32 v6, v6, s20
	v_cmp_eq_u64_e32 vcc, s[16:17], v[8:9]
	v_mul_f32_e32 v6, v5, v6
	s_or_b64 s[14:15], vcc, s[14:15]
	v_mov_b32_e32 v5, v1
	v_fma_f32 v1, v3, v1, -v6
	s_andn2_b64 exec, exec, s[14:15]
	s_cbranch_execnz .LBB45_145
; %bb.146:
	s_or_b64 exec, exec, s[14:15]
.LBB45_147:
	s_or_b64 exec, exec, s[12:13]
                                        ; implicit-def: $vgpr3
.LBB45_148:
	s_andn2_saveexec_b64 s[10:11], s[10:11]
	s_cbranch_execz .LBB45_150
; %bb.149:
	s_waitcnt vmcnt(0)
	v_mov_b32_e32 v1, v3
.LBB45_150:
	s_or_b64 exec, exec, s[10:11]
.LBB45_151:
	s_or_b64 exec, exec, s[8:9]
.LBB45_152:
	s_or_b64 exec, exec, s[4:5]
	global_load_dword v3, v12, s[6:7]
	s_mov_b32 s4, 0x2f800000
	s_mov_b32 s5, 0xcf800000
	s_waitcnt vmcnt(0)
	v_trunc_f32_e32 v3, v3
	v_mul_f32_e64 v5, |v3|, s4
	v_floor_f32_e32 v5, v5
	v_fma_f32 v6, v5, s5, |v3|
	v_cvt_u32_f32_e32 v6, v6
	v_cvt_u32_f32_e32 v5, v5
	v_ashrrev_i32_e32 v3, 31, v3
	v_xor_b32_e32 v6, v6, v3
	v_xor_b32_e32 v5, v5, v3
	v_sub_co_u32_e32 v6, vcc, v6, v3
	v_subb_co_u32_e32 v7, vcc, v5, v3, vcc
	v_cmp_lt_i64_e32 vcc, -1, v[6:7]
	v_mov_b32_e32 v3, 0
	s_and_saveexec_b64 s[4:5], vcc
	s_cbranch_execz .LBB45_164
; %bb.153:
	v_cmp_lt_i64_e32 vcc, 0, v[6:7]
	v_mov_b32_e32 v3, 1.0
	s_and_saveexec_b64 s[8:9], vcc
	s_cbranch_execz .LBB45_163
; %bb.154:
	s_waitcnt lgkmcnt(0)
	global_load_dword v5, v10, s[2:3]
	v_cmp_ne_u64_e32 vcc, 1, v[6:7]
                                        ; implicit-def: $vgpr3
	s_and_saveexec_b64 s[10:11], vcc
	s_xor_b64 s[10:11], exec, s[10:11]
	s_cbranch_execz .LBB45_160
; %bb.155:
	s_mov_b64 s[12:13], 0x81
	v_cmp_gt_u64_e32 vcc, s[12:13], v[6:7]
	v_mov_b32_e32 v3, 0x7fc00000
	s_and_saveexec_b64 s[12:13], vcc
	s_cbranch_execz .LBB45_159
; %bb.156:
	s_mov_b64 s[16:17], 1
	s_mov_b64 s[14:15], 0
	v_mov_b32_e32 v8, 1.0
	s_waitcnt vmcnt(0)
	v_mov_b32_e32 v3, v5
.LBB45_157:                             ; =>This Inner Loop Header: Depth=1
	s_flbit_i32_b32 s18, s17
	s_min_u32 s20, s18, 32
	s_lshl_b64 s[18:19], s[16:17], s20
	s_min_u32 s18, s18, 1
	s_or_b32 s18, s19, s18
	v_cvt_f32_u32_e32 v9, s18
	s_sub_i32 s20, 32, s20
	s_add_u32 s16, s16, 1
	s_addc_u32 s17, s17, 0
	v_ldexp_f32 v9, v9, s20
	v_cmp_eq_u64_e32 vcc, s[16:17], v[6:7]
	v_mul_f32_e32 v9, v8, v9
	s_or_b64 s[14:15], vcc, s[14:15]
	v_mov_b32_e32 v8, v3
	v_fma_f32 v3, v5, v3, -v9
	s_andn2_b64 exec, exec, s[14:15]
	s_cbranch_execnz .LBB45_157
; %bb.158:
	s_or_b64 exec, exec, s[14:15]
.LBB45_159:
	s_or_b64 exec, exec, s[12:13]
                                        ; implicit-def: $vgpr5
.LBB45_160:
	s_andn2_saveexec_b64 s[10:11], s[10:11]
	s_cbranch_execz .LBB45_162
; %bb.161:
	s_waitcnt vmcnt(0)
	v_mov_b32_e32 v3, v5
.LBB45_162:
	s_or_b64 exec, exec, s[10:11]
.LBB45_163:
	s_or_b64 exec, exec, s[8:9]
.LBB45_164:
	s_or_b64 exec, exec, s[4:5]
	global_load_dword v5, v18, s[6:7]
	s_mov_b32 s4, 0x2f800000
	s_mov_b32 s5, 0xcf800000
	s_waitcnt vmcnt(0)
	v_trunc_f32_e32 v5, v5
	v_mul_f32_e64 v6, |v5|, s4
	v_floor_f32_e32 v6, v6
	v_fma_f32 v7, v6, s5, |v5|
	v_cvt_u32_f32_e32 v6, v6
	v_cvt_u32_f32_e32 v7, v7
	v_ashrrev_i32_e32 v5, 31, v5
	v_xor_b32_e32 v8, v6, v5
	v_xor_b32_e32 v6, v7, v5
	v_sub_co_u32_e32 v6, vcc, v6, v5
	v_subb_co_u32_e32 v7, vcc, v8, v5, vcc
	v_cmp_lt_i64_e32 vcc, -1, v[6:7]
	v_mov_b32_e32 v5, 0
	s_and_saveexec_b64 s[4:5], vcc
	s_cbranch_execz .LBB45_176
; %bb.165:
	v_cmp_lt_i64_e32 vcc, 0, v[6:7]
	v_mov_b32_e32 v5, 1.0
	s_and_saveexec_b64 s[8:9], vcc
	s_cbranch_execz .LBB45_175
; %bb.166:
	s_waitcnt lgkmcnt(0)
	global_load_dword v8, v16, s[2:3]
	v_cmp_ne_u64_e32 vcc, 1, v[6:7]
                                        ; implicit-def: $vgpr5
	s_and_saveexec_b64 s[10:11], vcc
	s_xor_b64 s[10:11], exec, s[10:11]
	s_cbranch_execz .LBB45_172
; %bb.167:
	s_mov_b64 s[12:13], 0x81
	v_cmp_gt_u64_e32 vcc, s[12:13], v[6:7]
	v_mov_b32_e32 v5, 0x7fc00000
	s_and_saveexec_b64 s[12:13], vcc
	s_cbranch_execz .LBB45_171
; %bb.168:
	s_mov_b64 s[16:17], 1
	s_mov_b64 s[14:15], 0
	v_mov_b32_e32 v9, 1.0
	s_waitcnt vmcnt(0)
	v_mov_b32_e32 v5, v8
.LBB45_169:                             ; =>This Inner Loop Header: Depth=1
	s_flbit_i32_b32 s18, s17
	s_min_u32 s20, s18, 32
	s_lshl_b64 s[18:19], s[16:17], s20
	s_min_u32 s18, s18, 1
	s_or_b32 s18, s19, s18
	v_cvt_f32_u32_e32 v10, s18
	s_sub_i32 s20, 32, s20
	s_add_u32 s16, s16, 1
	s_addc_u32 s17, s17, 0
	v_ldexp_f32 v10, v10, s20
	v_cmp_eq_u64_e32 vcc, s[16:17], v[6:7]
	v_mul_f32_e32 v10, v9, v10
	s_or_b64 s[14:15], vcc, s[14:15]
	v_mov_b32_e32 v9, v5
	v_fma_f32 v5, v8, v5, -v10
	s_andn2_b64 exec, exec, s[14:15]
	s_cbranch_execnz .LBB45_169
; %bb.170:
	s_or_b64 exec, exec, s[14:15]
.LBB45_171:
	s_or_b64 exec, exec, s[12:13]
                                        ; implicit-def: $vgpr8
.LBB45_172:
	s_andn2_saveexec_b64 s[10:11], s[10:11]
	s_cbranch_execz .LBB45_174
; %bb.173:
	s_waitcnt vmcnt(0)
	v_mov_b32_e32 v5, v8
.LBB45_174:
	s_or_b64 exec, exec, s[10:11]
.LBB45_175:
	s_or_b64 exec, exec, s[8:9]
.LBB45_176:
	s_or_b64 exec, exec, s[4:5]
	global_load_dword v6, v22, s[6:7]
	s_mov_b32 s4, 0x2f800000
	s_mov_b32 s5, 0xcf800000
	s_waitcnt vmcnt(0)
	v_trunc_f32_e32 v6, v6
	v_mul_f32_e64 v7, |v6|, s4
	v_floor_f32_e32 v7, v7
	v_fma_f32 v8, v7, s5, |v6|
	v_cvt_u32_f32_e32 v8, v8
	v_cvt_u32_f32_e32 v7, v7
	v_ashrrev_i32_e32 v9, 31, v6
	v_xor_b32_e32 v6, v8, v9
	v_xor_b32_e32 v7, v7, v9
	v_sub_co_u32_e32 v6, vcc, v6, v9
	v_subb_co_u32_e32 v7, vcc, v7, v9, vcc
	v_cmp_lt_i64_e32 vcc, -1, v[6:7]
	v_mov_b32_e32 v8, 0
	s_and_saveexec_b64 s[4:5], vcc
	s_cbranch_execz .LBB45_188
; %bb.177:
	v_cmp_lt_i64_e32 vcc, 0, v[6:7]
	v_mov_b32_e32 v8, 1.0
	s_and_saveexec_b64 s[6:7], vcc
	s_cbranch_execz .LBB45_187
; %bb.178:
	s_waitcnt lgkmcnt(0)
	global_load_dword v9, v20, s[2:3]
	v_cmp_ne_u64_e32 vcc, 1, v[6:7]
                                        ; implicit-def: $vgpr8
	s_and_saveexec_b64 s[2:3], vcc
	s_xor_b64 s[2:3], exec, s[2:3]
	s_cbranch_execz .LBB45_184
; %bb.179:
	s_mov_b64 s[8:9], 0x81
	v_cmp_gt_u64_e32 vcc, s[8:9], v[6:7]
	v_mov_b32_e32 v8, 0x7fc00000
	s_and_saveexec_b64 s[8:9], vcc
	s_cbranch_execz .LBB45_183
; %bb.180:
	s_mov_b64 s[12:13], 1
	s_mov_b64 s[10:11], 0
	v_mov_b32_e32 v10, 1.0
	s_waitcnt vmcnt(0)
	v_mov_b32_e32 v8, v9
.LBB45_181:                             ; =>This Inner Loop Header: Depth=1
	s_flbit_i32_b32 s14, s13
	s_min_u32 s16, s14, 32
	s_lshl_b64 s[14:15], s[12:13], s16
	s_min_u32 s14, s14, 1
	s_or_b32 s14, s15, s14
	v_cvt_f32_u32_e32 v11, s14
	s_sub_i32 s16, 32, s16
	s_add_u32 s12, s12, 1
	s_addc_u32 s13, s13, 0
	v_ldexp_f32 v11, v11, s16
	v_cmp_eq_u64_e32 vcc, s[12:13], v[6:7]
	v_mul_f32_e32 v11, v10, v11
	s_or_b64 s[10:11], vcc, s[10:11]
	v_mov_b32_e32 v10, v8
	v_fma_f32 v8, v9, v8, -v11
	s_andn2_b64 exec, exec, s[10:11]
	s_cbranch_execnz .LBB45_181
; %bb.182:
	s_or_b64 exec, exec, s[10:11]
.LBB45_183:
	s_or_b64 exec, exec, s[8:9]
                                        ; implicit-def: $vgpr9
.LBB45_184:
	s_andn2_saveexec_b64 s[2:3], s[2:3]
	s_cbranch_execz .LBB45_186
; %bb.185:
	s_waitcnt vmcnt(0)
	v_mov_b32_e32 v8, v9
.LBB45_186:
	s_or_b64 exec, exec, s[2:3]
.LBB45_187:
	s_or_b64 exec, exec, s[6:7]
.LBB45_188:
	s_or_b64 exec, exec, s[4:5]
	s_waitcnt lgkmcnt(0)
	global_store_dword v0, v1, s[0:1]
	global_store_dword v2, v3, s[0:1]
	;; [unrolled: 1-line block ×4, first 2 shown]
	s_endpgm
	.section	.rodata,"a",@progbits
	.p2align	6, 0x0
	.amdhsa_kernel _ZN2at6native32elementwise_kernel_manual_unrollILi128ELi4EZNS0_22gpu_kernel_impl_nocastINS0_13BinaryFunctorIfffZZZNS0_12_GLOBAL__N_133hermite_polynomial_he_kernel_cudaERNS_18TensorIteratorBaseEENKUlvE_clEvENKUlvE0_clEvEUlffE_EEEEvS6_RKT_EUlibE_EEviT1_
		.amdhsa_group_segment_fixed_size 0
		.amdhsa_private_segment_fixed_size 0
		.amdhsa_kernarg_size 432
		.amdhsa_user_sgpr_count 6
		.amdhsa_user_sgpr_private_segment_buffer 1
		.amdhsa_user_sgpr_dispatch_ptr 0
		.amdhsa_user_sgpr_queue_ptr 0
		.amdhsa_user_sgpr_kernarg_segment_ptr 1
		.amdhsa_user_sgpr_dispatch_id 0
		.amdhsa_user_sgpr_flat_scratch_init 0
		.amdhsa_user_sgpr_kernarg_preload_length 0
		.amdhsa_user_sgpr_kernarg_preload_offset 0
		.amdhsa_user_sgpr_private_segment_size 0
		.amdhsa_uses_dynamic_stack 0
		.amdhsa_system_sgpr_private_segment_wavefront_offset 0
		.amdhsa_system_sgpr_workgroup_id_x 1
		.amdhsa_system_sgpr_workgroup_id_y 0
		.amdhsa_system_sgpr_workgroup_id_z 0
		.amdhsa_system_sgpr_workgroup_info 0
		.amdhsa_system_vgpr_workitem_id 0
		.amdhsa_next_free_vgpr 25
		.amdhsa_next_free_sgpr 54
		.amdhsa_accum_offset 28
		.amdhsa_reserve_vcc 1
		.amdhsa_reserve_flat_scratch 0
		.amdhsa_float_round_mode_32 0
		.amdhsa_float_round_mode_16_64 0
		.amdhsa_float_denorm_mode_32 3
		.amdhsa_float_denorm_mode_16_64 3
		.amdhsa_dx10_clamp 1
		.amdhsa_ieee_mode 1
		.amdhsa_fp16_overflow 0
		.amdhsa_tg_split 0
		.amdhsa_exception_fp_ieee_invalid_op 0
		.amdhsa_exception_fp_denorm_src 0
		.amdhsa_exception_fp_ieee_div_zero 0
		.amdhsa_exception_fp_ieee_overflow 0
		.amdhsa_exception_fp_ieee_underflow 0
		.amdhsa_exception_fp_ieee_inexact 0
		.amdhsa_exception_int_div_zero 0
	.end_amdhsa_kernel
	.section	.text._ZN2at6native32elementwise_kernel_manual_unrollILi128ELi4EZNS0_22gpu_kernel_impl_nocastINS0_13BinaryFunctorIfffZZZNS0_12_GLOBAL__N_133hermite_polynomial_he_kernel_cudaERNS_18TensorIteratorBaseEENKUlvE_clEvENKUlvE0_clEvEUlffE_EEEEvS6_RKT_EUlibE_EEviT1_,"axG",@progbits,_ZN2at6native32elementwise_kernel_manual_unrollILi128ELi4EZNS0_22gpu_kernel_impl_nocastINS0_13BinaryFunctorIfffZZZNS0_12_GLOBAL__N_133hermite_polynomial_he_kernel_cudaERNS_18TensorIteratorBaseEENKUlvE_clEvENKUlvE0_clEvEUlffE_EEEEvS6_RKT_EUlibE_EEviT1_,comdat
.Lfunc_end45:
	.size	_ZN2at6native32elementwise_kernel_manual_unrollILi128ELi4EZNS0_22gpu_kernel_impl_nocastINS0_13BinaryFunctorIfffZZZNS0_12_GLOBAL__N_133hermite_polynomial_he_kernel_cudaERNS_18TensorIteratorBaseEENKUlvE_clEvENKUlvE0_clEvEUlffE_EEEEvS6_RKT_EUlibE_EEviT1_, .Lfunc_end45-_ZN2at6native32elementwise_kernel_manual_unrollILi128ELi4EZNS0_22gpu_kernel_impl_nocastINS0_13BinaryFunctorIfffZZZNS0_12_GLOBAL__N_133hermite_polynomial_he_kernel_cudaERNS_18TensorIteratorBaseEENKUlvE_clEvENKUlvE0_clEvEUlffE_EEEEvS6_RKT_EUlibE_EEviT1_
                                        ; -- End function
	.section	.AMDGPU.csdata,"",@progbits
; Kernel info:
; codeLenInByte = 6884
; NumSgprs: 58
; NumVgprs: 25
; NumAgprs: 0
; TotalNumVgprs: 25
; ScratchSize: 0
; MemoryBound: 0
; FloatMode: 240
; IeeeMode: 1
; LDSByteSize: 0 bytes/workgroup (compile time only)
; SGPRBlocks: 7
; VGPRBlocks: 3
; NumSGPRsForWavesPerEU: 58
; NumVGPRsForWavesPerEU: 25
; AccumOffset: 28
; Occupancy: 8
; WaveLimiterHint : 1
; COMPUTE_PGM_RSRC2:SCRATCH_EN: 0
; COMPUTE_PGM_RSRC2:USER_SGPR: 6
; COMPUTE_PGM_RSRC2:TRAP_HANDLER: 0
; COMPUTE_PGM_RSRC2:TGID_X_EN: 1
; COMPUTE_PGM_RSRC2:TGID_Y_EN: 0
; COMPUTE_PGM_RSRC2:TGID_Z_EN: 0
; COMPUTE_PGM_RSRC2:TIDIG_COMP_CNT: 0
; COMPUTE_PGM_RSRC3_GFX90A:ACCUM_OFFSET: 6
; COMPUTE_PGM_RSRC3_GFX90A:TG_SPLIT: 0
	.text
	.p2align	2                               ; -- Begin function _ZN3c104guts5applyIRN2at6native13BinaryFunctorIfffZZZNS3_12_GLOBAL__N_133hermite_polynomial_he_kernel_cudaERNS2_18TensorIteratorBaseEENKUlvE_clEvENKUlvE0_clEvEUlffE_EERSt5tupleIJffEEEEDaOT_OT0_
	.type	_ZN3c104guts5applyIRN2at6native13BinaryFunctorIfffZZZNS3_12_GLOBAL__N_133hermite_polynomial_he_kernel_cudaERNS2_18TensorIteratorBaseEENKUlvE_clEvENKUlvE0_clEvEUlffE_EERSt5tupleIJffEEEEDaOT_OT0_,@function
_ZN3c104guts5applyIRN2at6native13BinaryFunctorIfffZZZNS3_12_GLOBAL__N_133hermite_polynomial_he_kernel_cudaERNS2_18TensorIteratorBaseEENKUlvE_clEvENKUlvE0_clEvEUlffE_EERSt5tupleIJffEEEEDaOT_OT0_: ; @_ZN3c104guts5applyIRN2at6native13BinaryFunctorIfffZZZNS3_12_GLOBAL__N_133hermite_polynomial_he_kernel_cudaERNS2_18TensorIteratorBaseEENKUlvE_clEvENKUlvE0_clEvEUlffE_EERSt5tupleIJffEEEEDaOT_OT0_
; %bb.0:
	s_waitcnt vmcnt(0) expcnt(0) lgkmcnt(0)
	v_trunc_f32_e32 v0, v0
	s_mov_b32 s4, 0x2f800000
	v_mul_f32_e64 v2, |v0|, s4
	v_floor_f32_e32 v2, v2
	s_mov_b32 s4, 0xcf800000
	v_cvt_u32_f32_e32 v3, v2
	v_fma_f32 v2, v2, s4, |v0|
	v_cvt_u32_f32_e32 v2, v2
	v_ashrrev_i32_e32 v0, 31, v0
	v_xor_b32_e32 v3, v3, v0
	v_xor_b32_e32 v2, v2, v0
	v_sub_co_u32_e32 v2, vcc, v2, v0
	v_subb_co_u32_e32 v3, vcc, v3, v0, vcc
	v_cmp_lt_i64_e32 vcc, -1, v[2:3]
	v_mov_b32_e32 v0, 0
	s_and_saveexec_b64 s[4:5], vcc
	s_cbranch_execz .LBB46_12
; %bb.1:
	v_cmp_lt_i64_e32 vcc, 0, v[2:3]
	v_mov_b32_e32 v0, 1.0
	s_and_saveexec_b64 s[6:7], vcc
	s_cbranch_execz .LBB46_11
; %bb.2:
	v_cmp_ne_u64_e32 vcc, 1, v[2:3]
                                        ; implicit-def: $vgpr0
	s_and_saveexec_b64 s[8:9], vcc
	s_xor_b64 s[8:9], exec, s[8:9]
	s_cbranch_execz .LBB46_8
; %bb.3:
	s_mov_b64 s[10:11], 0x81
	v_cmp_gt_u64_e32 vcc, s[10:11], v[2:3]
	v_mov_b32_e32 v0, 0x7fc00000
	s_and_saveexec_b64 s[10:11], vcc
	s_cbranch_execz .LBB46_7
; %bb.4:
	s_mov_b64 s[14:15], 1
	s_mov_b64 s[12:13], 0
	v_mov_b32_e32 v4, 1.0
	v_mov_b32_e32 v0, v1
.LBB46_5:                               ; =>This Inner Loop Header: Depth=1
	s_flbit_i32_b32 s16, s15
	s_min_u32 s18, s16, 32
	s_lshl_b64 s[16:17], s[14:15], s18
	s_min_u32 s16, s16, 1
	s_or_b32 s16, s17, s16
	v_cvt_f32_u32_e32 v5, s16
	s_sub_i32 s18, 32, s18
	s_add_u32 s14, s14, 1
	s_addc_u32 s15, s15, 0
	v_ldexp_f32 v5, v5, s18
	v_cmp_eq_u64_e32 vcc, s[14:15], v[2:3]
	v_mul_f32_e32 v5, v4, v5
	s_or_b64 s[12:13], vcc, s[12:13]
	v_mov_b32_e32 v4, v0
	v_fma_f32 v0, v0, v1, -v5
	s_andn2_b64 exec, exec, s[12:13]
	s_cbranch_execnz .LBB46_5
; %bb.6:
	s_or_b64 exec, exec, s[12:13]
.LBB46_7:
	s_or_b64 exec, exec, s[10:11]
                                        ; implicit-def: $vgpr1
.LBB46_8:
	s_andn2_saveexec_b64 s[8:9], s[8:9]
; %bb.9:
	v_mov_b32_e32 v0, v1
; %bb.10:
	s_or_b64 exec, exec, s[8:9]
.LBB46_11:
	s_or_b64 exec, exec, s[6:7]
.LBB46_12:
	s_or_b64 exec, exec, s[4:5]
	s_setpc_b64 s[30:31]
.Lfunc_end46:
	.size	_ZN3c104guts5applyIRN2at6native13BinaryFunctorIfffZZZNS3_12_GLOBAL__N_133hermite_polynomial_he_kernel_cudaERNS2_18TensorIteratorBaseEENKUlvE_clEvENKUlvE0_clEvEUlffE_EERSt5tupleIJffEEEEDaOT_OT0_, .Lfunc_end46-_ZN3c104guts5applyIRN2at6native13BinaryFunctorIfffZZZNS3_12_GLOBAL__N_133hermite_polynomial_he_kernel_cudaERNS2_18TensorIteratorBaseEENKUlvE_clEvENKUlvE0_clEvEUlffE_EERSt5tupleIJffEEEEDaOT_OT0_
                                        ; -- End function
	.section	.AMDGPU.csdata,"",@progbits
; Function info:
; codeLenInByte = 272
; NumSgprs: 36
; NumVgprs: 6
; NumAgprs: 0
; TotalNumVgprs: 6
; ScratchSize: 0
; MemoryBound: 0
	.text
	.p2align	2                               ; -- Begin function _ZN2at6native25elementwise_kernel_helperILb1ENS0_13BinaryFunctorIfffZZZNS0_12_GLOBAL__N_133hermite_polynomial_he_kernel_cudaERNS_18TensorIteratorBaseEENKUlvE_clEvENKUlvE0_clEvEUlffE_EENS0_6memory8policies11unroll_baseILi512ESt5arrayIPcLm3EE23TrivialOffsetCalculatorILi2EjESG_ILi1EjENSA_12LoadWithCastILi2EEENSA_13StoreWithCastILi1EEELi32ELi1EEEEEvT0_T1_
	.type	_ZN2at6native25elementwise_kernel_helperILb1ENS0_13BinaryFunctorIfffZZZNS0_12_GLOBAL__N_133hermite_polynomial_he_kernel_cudaERNS_18TensorIteratorBaseEENKUlvE_clEvENKUlvE0_clEvEUlffE_EENS0_6memory8policies11unroll_baseILi512ESt5arrayIPcLm3EE23TrivialOffsetCalculatorILi2EjESG_ILi1EjENSA_12LoadWithCastILi2EEENSA_13StoreWithCastILi1EEELi32ELi1EEEEEvT0_T1_,@function
_ZN2at6native25elementwise_kernel_helperILb1ENS0_13BinaryFunctorIfffZZZNS0_12_GLOBAL__N_133hermite_polynomial_he_kernel_cudaERNS_18TensorIteratorBaseEENKUlvE_clEvENKUlvE0_clEvEUlffE_EENS0_6memory8policies11unroll_baseILi512ESt5arrayIPcLm3EE23TrivialOffsetCalculatorILi2EjESG_ILi1EjENSA_12LoadWithCastILi2EEENSA_13StoreWithCastILi1EEELi32ELi1EEEEEvT0_T1_: ; @_ZN2at6native25elementwise_kernel_helperILb1ENS0_13BinaryFunctorIfffZZZNS0_12_GLOBAL__N_133hermite_polynomial_he_kernel_cudaERNS_18TensorIteratorBaseEENKUlvE_clEvENKUlvE0_clEvEUlffE_EENS0_6memory8policies11unroll_baseILi512ESt5arrayIPcLm3EE23TrivialOffsetCalculatorILi2EjESG_ILi1EjENSA_12LoadWithCastILi2EEENSA_13StoreWithCastILi1EEELi32ELi1EEEEEvT0_T1_
; %bb.0:
	s_waitcnt vmcnt(0) expcnt(0) lgkmcnt(0)
	s_mov_b32 s4, s33
	s_mov_b32 s33, s32
	s_or_saveexec_b64 s[6:7], -1
	buffer_store_dword v40, off, s[0:3], s33 offset:256 ; 4-byte Folded Spill
	buffer_store_dword v41, off, s[0:3], s33 offset:260 ; 4-byte Folded Spill
	;; [unrolled: 1-line block ×5, first 2 shown]
	s_mov_b64 exec, s[6:7]
	v_writelane_b32 v41, s4, 2
	s_addk_i32 s32, 0x4800
	v_writelane_b32 v40, s34, 0
	v_writelane_b32 v40, s35, 1
	;; [unrolled: 1-line block ×66, first 2 shown]
	s_load_dword s4, s[8:9], 0x10
	s_load_dword s6, s[8:9], 0x0
	s_mov_b32 s5, 0
                                        ; implicit-def: $vgpr44 : SGPR spill to VGPR lane
	v_and_b32_e32 v101, 0x3ff, v31
	v_writelane_b32 v44, s5, 0
	s_waitcnt lgkmcnt(0)
	s_lshr_b32 s4, s4, 16
	s_cmp_lg_u32 s4, 0
	s_cselect_b64 s[4:5], -1, 0
	s_not_b32 s7, s12
	s_cmp_lg_u64 s[4:5], 0
	s_addc_u32 s4, s6, s7
	s_lshl_b32 s4, s4, 14
	v_mov_b32_e32 v13, v1
	v_mov_b32_e32 v114, v0
	;; [unrolled: 1-line block ×3, first 2 shown]
	v_writelane_b32 v44, s4, 1
	s_mov_b64 s[4:5], 0
	v_lshrrev_b32_e64 v15, 6, s33
	v_mov_b32_e32 v16, 10
	v_mov_b32_e32 v17, 25
	;; [unrolled: 1-line block ×30, first 2 shown]
	buffer_store_dword v14, off, s[0:3], s33 offset:4
	buffer_store_dword v14, off, s[0:3], s33
	buffer_store_dword v14, off, s[0:3], s33 offset:12
	buffer_store_dword v14, off, s[0:3], s33 offset:8
	;; [unrolled: 1-line block ×62, first 2 shown]
                                        ; implicit-def: $sgpr6_sgpr7
                                        ; implicit-def: $sgpr8_sgpr9
                                        ; implicit-def: $sgpr10_sgpr11
                                        ; implicit-def: $sgpr12_sgpr13
	s_branch .LBB47_17
.LBB47_1:                               ;   in Loop: Header=BB47_17 Depth=1
	s_or_b64 exec, exec, vcc
	v_readlane_b32 vcc_lo, v44, 38
	v_readlane_b32 vcc_hi, v44, 39
	s_andn2_b64 vcc, vcc, exec
	s_and_b64 s[60:61], s[68:69], exec
	s_or_b64 vcc, vcc, s[60:61]
	v_writelane_b32 v44, vcc_lo, 38
	v_writelane_b32 v44, vcc_hi, 39
	v_readlane_b32 vcc_lo, v44, 44
	v_readlane_b32 vcc_hi, v44, 45
	s_andn2_b64 vcc, vcc, exec
	s_and_b64 s[60:61], s[66:67], exec
	s_or_b64 s[62:63], vcc, s[60:61]
	v_readlane_b32 vcc_lo, v44, 46
	v_readlane_b32 vcc_hi, v44, 47
	s_orn2_b64 vcc, vcc, exec
	v_writelane_b32 v44, vcc_lo, 36
	v_writelane_b32 v44, vcc_hi, 37
.LBB47_2:                               ;   in Loop: Header=BB47_17 Depth=1
	s_or_b64 exec, exec, s[96:97]
	v_readlane_b32 vcc_lo, v44, 28
	v_readlane_b32 s60, v44, 38
	v_readlane_b32 vcc_hi, v44, 29
	v_readlane_b32 s61, v44, 39
	s_andn2_b64 vcc, vcc, exec
	s_and_b64 s[60:61], s[60:61], exec
	s_or_b64 vcc, vcc, s[60:61]
	v_writelane_b32 v44, vcc_lo, 28
	v_writelane_b32 v44, vcc_hi, 29
	v_readlane_b32 vcc_lo, v44, 30
	v_readlane_b32 vcc_hi, v44, 31
	s_andn2_b64 vcc, vcc, exec
	s_and_b64 s[60:61], s[62:63], exec
	s_or_b64 vcc, vcc, s[60:61]
	v_writelane_b32 v44, vcc_lo, 30
	v_writelane_b32 v44, vcc_hi, 31
	v_readlane_b32 vcc_lo, v44, 36
	v_readlane_b32 vcc_hi, v44, 37
	s_orn2_b64 s[96:97], vcc, exec
.LBB47_3:                               ;   in Loop: Header=BB47_17 Depth=1
	s_or_b64 exec, exec, s[94:95]
	v_readlane_b32 vcc_lo, v44, 22
	v_readlane_b32 s60, v44, 28
	v_readlane_b32 vcc_hi, v44, 23
	v_readlane_b32 s61, v44, 29
	s_andn2_b64 vcc, vcc, exec
	s_and_b64 s[60:61], s[60:61], exec
	s_or_b64 vcc, vcc, s[60:61]
	v_writelane_b32 v44, vcc_lo, 22
	v_writelane_b32 v44, vcc_hi, 23
	v_readlane_b32 vcc_lo, v44, 26
	v_readlane_b32 s60, v44, 30
	v_readlane_b32 vcc_hi, v44, 27
	v_readlane_b32 s61, v44, 31
	s_andn2_b64 vcc, vcc, exec
	s_and_b64 s[60:61], s[60:61], exec
	s_or_b64 s[62:63], vcc, s[60:61]
	s_orn2_b64 s[90:91], s[96:97], exec
.LBB47_4:                               ;   in Loop: Header=BB47_17 Depth=1
	s_or_b64 exec, exec, s[88:89]
	v_readlane_b32 vcc_lo, v44, 18
	v_readlane_b32 s60, v44, 22
	v_readlane_b32 vcc_hi, v44, 19
	v_readlane_b32 s61, v44, 23
	s_andn2_b64 vcc, vcc, exec
	s_and_b64 s[60:61], s[60:61], exec
	s_or_b64 vcc, vcc, s[60:61]
	v_writelane_b32 v44, vcc_lo, 18
	v_writelane_b32 v44, vcc_hi, 19
	v_readlane_b32 vcc_lo, v44, 20
	v_readlane_b32 vcc_hi, v44, 21
	s_andn2_b64 vcc, vcc, exec
	s_and_b64 s[60:61], s[62:63], exec
	s_or_b64 s[62:63], vcc, s[60:61]
	s_orn2_b64 s[84:85], s[90:91], exec
.LBB47_5:                               ;   in Loop: Header=BB47_17 Depth=1
	s_or_b64 exec, exec, s[82:83]
	v_readlane_b32 vcc_lo, v44, 14
	v_readlane_b32 s60, v44, 18
	v_readlane_b32 vcc_hi, v44, 15
	v_readlane_b32 s61, v44, 19
	s_andn2_b64 vcc, vcc, exec
	s_and_b64 s[60:61], s[60:61], exec
	s_or_b64 vcc, vcc, s[60:61]
	v_writelane_b32 v44, vcc_lo, 14
	v_writelane_b32 v44, vcc_hi, 15
	v_readlane_b32 vcc_lo, v44, 16
	v_readlane_b32 vcc_hi, v44, 17
	s_andn2_b64 vcc, vcc, exec
	s_and_b64 s[60:61], s[62:63], exec
	s_or_b64 s[62:63], vcc, s[60:61]
	s_orn2_b64 s[78:79], s[84:85], exec
.LBB47_6:                               ;   in Loop: Header=BB47_17 Depth=1
	v_readlane_b32 vcc_lo, v44, 12
	v_readlane_b32 vcc_hi, v44, 13
	s_or_b64 exec, exec, vcc
	v_readlane_b32 vcc_lo, v44, 8
	v_readlane_b32 s60, v44, 14
	v_readlane_b32 vcc_hi, v44, 9
	v_readlane_b32 s61, v44, 15
	s_andn2_b64 vcc, vcc, exec
	s_and_b64 s[60:61], s[60:61], exec
	s_or_b64 vcc, vcc, s[60:61]
	v_writelane_b32 v44, vcc_lo, 8
	v_writelane_b32 v44, vcc_hi, 9
	v_readlane_b32 vcc_lo, v44, 10
	v_readlane_b32 vcc_hi, v44, 11
	s_andn2_b64 vcc, vcc, exec
	s_and_b64 s[60:61], s[62:63], exec
	s_or_b64 s[62:63], vcc, s[60:61]
	s_orn2_b64 s[72:73], s[78:79], exec
.LBB47_7:                               ;   in Loop: Header=BB47_17 Depth=1
	v_readlane_b32 vcc_lo, v44, 6
	v_readlane_b32 vcc_hi, v44, 7
	s_or_b64 exec, exec, vcc
	v_readlane_b32 vcc_lo, v44, 2
	v_readlane_b32 s60, v44, 8
	v_readlane_b32 vcc_hi, v44, 3
	v_readlane_b32 s61, v44, 9
	s_andn2_b64 vcc, vcc, exec
	s_and_b64 s[60:61], s[60:61], exec
	s_or_b64 vcc, vcc, s[60:61]
	v_writelane_b32 v44, vcc_lo, 2
	v_writelane_b32 v44, vcc_hi, 3
	v_readlane_b32 vcc_lo, v44, 4
	v_readlane_b32 vcc_hi, v44, 5
	s_andn2_b64 vcc, vcc, exec
	s_and_b64 s[60:61], s[62:63], exec
	s_or_b64 s[60:61], vcc, s[60:61]
	s_orn2_b64 s[66:67], s[72:73], exec
.LBB47_8:                               ;   in Loop: Header=BB47_17 Depth=1
	s_or_b64 exec, exec, s[64:65]
	s_andn2_b64 vcc, s[56:57], exec
	v_readlane_b32 s56, v44, 2
	v_readlane_b32 s57, v44, 3
	s_and_b64 s[56:57], s[56:57], exec
	s_or_b64 s[56:57], vcc, s[56:57]
	s_andn2_b64 vcc, s[54:55], exec
	s_and_b64 s[54:55], s[60:61], exec
	s_or_b64 s[54:55], vcc, s[54:55]
	s_orn2_b64 s[60:61], s[66:67], exec
.LBB47_9:                               ;   in Loop: Header=BB47_17 Depth=1
	s_or_b64 exec, exec, s[58:59]
	s_andn2_b64 vcc, s[50:51], exec
	s_and_b64 s[50:51], s[56:57], exec
	s_or_b64 s[50:51], vcc, s[50:51]
	s_andn2_b64 vcc, s[48:49], exec
	s_and_b64 s[48:49], s[54:55], exec
	s_or_b64 s[48:49], vcc, s[48:49]
	s_orn2_b64 s[54:55], s[60:61], exec
.LBB47_10:                              ;   in Loop: Header=BB47_17 Depth=1
	s_or_b64 exec, exec, s[52:53]
	s_andn2_b64 vcc, s[44:45], exec
	s_and_b64 s[44:45], s[50:51], exec
	s_or_b64 s[44:45], vcc, s[44:45]
	s_andn2_b64 vcc, s[42:43], exec
	s_and_b64 s[42:43], s[48:49], exec
	s_or_b64 s[42:43], vcc, s[42:43]
	s_orn2_b64 s[48:49], s[54:55], exec
.LBB47_11:                              ;   in Loop: Header=BB47_17 Depth=1
	s_or_b64 exec, exec, s[46:47]
	s_andn2_b64 vcc, s[38:39], exec
	s_and_b64 s[38:39], s[44:45], exec
	s_or_b64 s[38:39], vcc, s[38:39]
	s_andn2_b64 vcc, s[36:37], exec
	s_and_b64 s[36:37], s[42:43], exec
	s_or_b64 s[36:37], vcc, s[36:37]
	s_orn2_b64 s[42:43], s[48:49], exec
.LBB47_12:                              ;   in Loop: Header=BB47_17 Depth=1
	s_or_b64 exec, exec, s[40:41]
	s_andn2_b64 vcc, s[30:31], exec
	s_and_b64 s[30:31], s[38:39], exec
	s_or_b64 s[30:31], vcc, s[30:31]
	s_andn2_b64 s[28:29], s[28:29], exec
	s_and_b64 vcc, s[36:37], exec
	s_or_b64 s[28:29], s[28:29], vcc
	s_orn2_b64 s[36:37], s[42:43], exec
.LBB47_13:                              ;   in Loop: Header=BB47_17 Depth=1
	s_or_b64 exec, exec, s[34:35]
	s_andn2_b64 s[24:25], s[24:25], exec
	s_and_b64 vcc, s[30:31], exec
	s_andn2_b64 s[22:23], s[22:23], exec
	s_and_b64 s[28:29], s[28:29], exec
	s_or_b64 s[24:25], s[24:25], vcc
	s_or_b64 s[22:23], s[22:23], s[28:29]
	s_orn2_b64 s[28:29], s[36:37], exec
.LBB47_14:                              ;   in Loop: Header=BB47_17 Depth=1
	s_or_b64 exec, exec, s[26:27]
	s_andn2_b64 s[18:19], s[18:19], exec
	s_and_b64 s[24:25], s[24:25], exec
	s_andn2_b64 s[16:17], s[16:17], exec
	s_and_b64 s[22:23], s[22:23], exec
	s_or_b64 s[18:19], s[18:19], s[24:25]
	s_or_b64 s[16:17], s[16:17], s[22:23]
	s_orn2_b64 s[22:23], s[28:29], exec
.LBB47_15:                              ;   in Loop: Header=BB47_17 Depth=1
	s_or_b64 exec, exec, s[20:21]
	s_andn2_b64 s[12:13], s[12:13], exec
	s_and_b64 s[18:19], s[18:19], exec
	s_andn2_b64 s[10:11], s[10:11], exec
	s_and_b64 s[16:17], s[16:17], exec
	s_or_b64 s[12:13], s[12:13], s[18:19]
	s_or_b64 s[10:11], s[10:11], s[16:17]
	s_orn2_b64 s[16:17], s[22:23], exec
.LBB47_16:                              ;   in Loop: Header=BB47_17 Depth=1
	s_or_b64 exec, exec, s[14:15]
	s_and_b64 s[14:15], exec, s[16:17]
	s_or_b64 s[4:5], s[14:15], s[4:5]
	s_andn2_b64 s[8:9], s[8:9], exec
	s_and_b64 s[14:15], s[12:13], exec
	s_or_b64 s[8:9], s[8:9], s[14:15]
	s_andn2_b64 s[6:7], s[6:7], exec
	s_and_b64 s[14:15], s[10:11], exec
	s_or_b64 s[6:7], s[6:7], s[14:15]
	s_andn2_b64 exec, exec, s[4:5]
	s_cbranch_execz .LBB47_3650
.LBB47_17:                              ; =>This Inner Loop Header: Depth=1
	v_cmp_lt_i32_e32 vcc, v53, v6
	s_mov_b64 s[16:17], -1
	s_mov_b64 s[18:19], -1
                                        ; implicit-def: $sgpr20_sgpr21
                                        ; implicit-def: $sgpr22_sgpr23
	s_and_saveexec_b64 s[14:15], vcc
	s_cbranch_execz .LBB47_127
; %bb.18:                               ;   in Loop: Header=BB47_17 Depth=1
	v_readlane_b32 s18, v44, 1
	s_waitcnt vmcnt(0) lgkmcnt(0)
	v_add_u32_e32 v54, s18, v53
	v_mul_lo_u32 v0, v54, v9
	v_add_co_u32_e32 v0, vcc, v2, v0
	v_addc_co_u32_e32 v1, vcc, 0, v3, vcc
	v_cmp_gt_i16_sdwa s[22:23], v7, v16 src0_sel:BYTE_0 src1_sel:DWORD
	s_mov_b64 s[24:25], 0
                                        ; implicit-def: $sgpr18_sgpr19
                                        ; implicit-def: $sgpr20_sgpr21
                                        ; implicit-def: $vgpr64
	s_and_saveexec_b64 s[26:27], s[22:23]
	s_xor_b64 s[22:23], exec, s[26:27]
	s_cbranch_execnz .LBB47_21
; %bb.19:                               ;   in Loop: Header=BB47_17 Depth=1
	s_andn2_saveexec_b64 s[22:23], s[22:23]
	s_cbranch_execnz .LBB47_80
.LBB47_20:                              ;   in Loop: Header=BB47_17 Depth=1
	s_or_b64 exec, exec, s[22:23]
	s_mov_b64 s[26:27], 0
	s_and_saveexec_b64 s[22:23], s[24:25]
	s_cbranch_execnz .LBB47_121
	s_branch .LBB47_126
.LBB47_21:                              ;   in Loop: Header=BB47_17 Depth=1
	v_cmp_gt_i16_sdwa s[18:19], v7, v17 src0_sel:BYTE_0 src1_sel:DWORD
                                        ; implicit-def: $sgpr26_sgpr27
                                        ; implicit-def: $sgpr20_sgpr21
                                        ; implicit-def: $vgpr64
	s_and_saveexec_b64 s[28:29], s[18:19]
	s_xor_b64 s[18:19], exec, s[28:29]
	s_cbranch_execz .LBB47_53
; %bb.22:                               ;   in Loop: Header=BB47_17 Depth=1
	v_cmp_gt_i16_sdwa s[28:29], v7, v18 src0_sel:BYTE_0 src1_sel:DWORD
                                        ; implicit-def: $sgpr26_sgpr27
                                        ; implicit-def: $sgpr20_sgpr21
                                        ; implicit-def: $vgpr64
	s_and_saveexec_b64 vcc, s[28:29]
	s_xor_b64 s[28:29], exec, vcc
	s_cbranch_execz .LBB47_38
; %bb.23:                               ;   in Loop: Header=BB47_17 Depth=1
	v_cmp_gt_i16_sdwa s[20:21], v7, v19 src0_sel:BYTE_0 src1_sel:DWORD
	s_mov_b64 vcc, 0
                                        ; implicit-def: $sgpr24_sgpr25
                                        ; implicit-def: $sgpr26_sgpr27
                                        ; implicit-def: $vgpr64
	s_and_saveexec_b64 s[30:31], s[20:21]
	s_xor_b64 s[20:21], exec, s[30:31]
	s_cbranch_execz .LBB47_33
; %bb.24:                               ;   in Loop: Header=BB47_17 Depth=1
	v_cmp_gt_i16_sdwa s[26:27], v7, v20 src0_sel:BYTE_0 src1_sel:DWORD
	s_mov_b64 s[30:31], 0
                                        ; implicit-def: $sgpr24_sgpr25
                                        ; implicit-def: $sgpr34_sgpr35
                                        ; implicit-def: $vgpr64
	s_and_saveexec_b64 vcc, s[26:27]
	s_xor_b64 s[26:27], exec, vcc
	s_cbranch_execz .LBB47_28
; %bb.25:                               ;   in Loop: Header=BB47_17 Depth=1
	v_cmp_eq_u16_sdwa s[34:35], v7, v21 src0_sel:BYTE_0 src1_sel:DWORD
	s_mov_b64 s[24:25], 0
	s_mov_b64 vcc, 0
                                        ; implicit-def: $vgpr64
	s_and_saveexec_b64 s[30:31], s[34:35]
	s_cbranch_execz .LBB47_27
; %bb.26:                               ;   in Loop: Header=BB47_17 Depth=1
	flat_load_dword v0, v[0:1]
	s_mov_b64 vcc, exec
	s_waitcnt vmcnt(0) lgkmcnt(0)
	v_lshlrev_b32_e32 v64, 16, v0
.LBB47_27:                              ;   in Loop: Header=BB47_17 Depth=1
	s_or_b64 exec, exec, s[30:31]
	s_mov_b64 s[34:35], -1
	s_and_b64 s[30:31], vcc, exec
                                        ; implicit-def: $vgpr0_vgpr1
.LBB47_28:                              ;   in Loop: Header=BB47_17 Depth=1
	s_andn2_saveexec_b64 s[26:27], s[26:27]
	s_cbranch_execz .LBB47_32
; %bb.29:                               ;   in Loop: Header=BB47_17 Depth=1
	v_cmp_eq_u16_sdwa s[38:39], v7, v22 src0_sel:BYTE_0 src1_sel:DWORD
	s_mov_b64 vcc, s[30:31]
                                        ; implicit-def: $vgpr64
	s_and_saveexec_b64 s[36:37], s[38:39]
	s_cbranch_execz .LBB47_31
; %bb.30:                               ;   in Loop: Header=BB47_17 Depth=1
	flat_load_ubyte v0, v[0:1]
	s_movk_i32 vcc_lo, 0xff
	s_waitcnt vmcnt(0) lgkmcnt(0)
	v_lshlrev_b32_e32 v1, 23, v0
	v_cmp_ne_u32_e32 vcc, vcc_lo, v0
	v_cndmask_b32_e32 v1, v23, v1, vcc
	v_cmp_ne_u32_e32 vcc, 0, v0
	v_cndmask_b32_e32 v64, v24, v1, vcc
	s_or_b64 vcc, s[30:31], exec
.LBB47_31:                              ;   in Loop: Header=BB47_17 Depth=1
	s_or_b64 exec, exec, s[36:37]
	s_andn2_b64 s[30:31], s[30:31], exec
	s_and_b64 vcc, vcc, exec
	s_andn2_b64 s[24:25], s[24:25], exec
	s_or_b64 s[34:35], s[34:35], exec
	s_or_b64 s[30:31], s[30:31], vcc
.LBB47_32:                              ;   in Loop: Header=BB47_17 Depth=1
	s_or_b64 exec, exec, s[26:27]
	s_and_b64 s[26:27], s[24:25], exec
	s_and_b64 s[24:25], s[34:35], exec
	s_and_b64 vcc, s[30:31], exec
                                        ; implicit-def: $vgpr0_vgpr1
.LBB47_33:                              ;   in Loop: Header=BB47_17 Depth=1
	s_andn2_saveexec_b64 s[20:21], s[20:21]
	s_cbranch_execz .LBB47_37
; %bb.34:                               ;   in Loop: Header=BB47_17 Depth=1
	v_cmp_eq_u16_sdwa s[36:37], v7, v25 src0_sel:BYTE_0 src1_sel:DWORD
	s_mov_b64 s[34:35], vcc
                                        ; implicit-def: $vgpr64
	s_and_saveexec_b64 s[30:31], s[36:37]
	s_cbranch_execz .LBB47_36
; %bb.35:                               ;   in Loop: Header=BB47_17 Depth=1
	flat_load_dwordx2 v[0:1], v[0:1]
	s_or_b64 s[34:35], vcc, exec
	s_waitcnt vmcnt(0) lgkmcnt(0)
	v_ffbh_u32_e32 v55, v1
	v_min_u32_e32 v55, 32, v55
	s_waitcnt vmcnt(0) expcnt(0) lgkmcnt(0)
	v_swap_b32 v2, v55
	v_lshlrev_b64 v[0:1], v2, v[0:1]
	v_swap_b32 v55, v2
	v_min_u32_e32 v0, 1, v0
	v_or_b32_e32 v0, v1, v0
	v_cvt_f32_u32_e32 v0, v0
	v_sub_u32_e32 v1, 32, v55
	v_ldexp_f32 v64, v0, v1
.LBB47_36:                              ;   in Loop: Header=BB47_17 Depth=1
	s_or_b64 exec, exec, s[30:31]
	s_andn2_b64 vcc, vcc, exec
	s_and_b64 s[30:31], s[34:35], exec
	s_andn2_b64 s[26:27], s[26:27], exec
	s_or_b64 s[24:25], s[24:25], exec
	s_or_b64 vcc, vcc, s[30:31]
.LBB47_37:                              ;   in Loop: Header=BB47_17 Depth=1
	s_or_b64 exec, exec, s[20:21]
	s_and_b64 s[20:21], s[26:27], exec
	s_and_b64 s[26:27], s[24:25], exec
	s_and_b64 s[24:25], vcc, exec
                                        ; implicit-def: $vgpr0_vgpr1
.LBB47_38:                              ;   in Loop: Header=BB47_17 Depth=1
	s_andn2_saveexec_b64 s[28:29], s[28:29]
	s_cbranch_execz .LBB47_52
; %bb.39:                               ;   in Loop: Header=BB47_17 Depth=1
	v_cmp_gt_i16_sdwa vcc, v7, v26 src0_sel:BYTE_0 src1_sel:DWORD
                                        ; implicit-def: $vgpr64
	s_and_saveexec_b64 s[30:31], vcc
	s_xor_b64 vcc, exec, s[30:31]
	s_cbranch_execz .LBB47_45
; %bb.40:                               ;   in Loop: Header=BB47_17 Depth=1
	v_cmp_gt_i16_sdwa s[30:31], v7, v27 src0_sel:BYTE_0 src1_sel:DWORD
                                        ; implicit-def: $vgpr64
	s_and_saveexec_b64 s[34:35], s[30:31]
	s_xor_b64 s[30:31], exec, s[34:35]
	s_cbranch_execz .LBB47_42
; %bb.41:                               ;   in Loop: Header=BB47_17 Depth=1
	flat_load_dword v0, v[0:1]
	s_waitcnt vmcnt(0) lgkmcnt(0)
	v_cvt_f32_u32_e32 v64, v0
                                        ; implicit-def: $vgpr0_vgpr1
.LBB47_42:                              ;   in Loop: Header=BB47_17 Depth=1
	s_andn2_saveexec_b64 s[30:31], s[30:31]
	s_cbranch_execz .LBB47_44
; %bb.43:                               ;   in Loop: Header=BB47_17 Depth=1
	flat_load_ushort v0, v[0:1]
	s_waitcnt vmcnt(0) lgkmcnt(0)
	v_cvt_f32_u32_e32 v64, v0
.LBB47_44:                              ;   in Loop: Header=BB47_17 Depth=1
	s_or_b64 exec, exec, s[30:31]
                                        ; implicit-def: $vgpr0_vgpr1
.LBB47_45:                              ;   in Loop: Header=BB47_17 Depth=1
	s_andn2_saveexec_b64 s[30:31], vcc
	s_cbranch_execz .LBB47_51
; %bb.46:                               ;   in Loop: Header=BB47_17 Depth=1
	flat_load_ubyte v0, v[0:1]
	s_movk_i32 vcc_lo, 0x7f
	s_mov_b64 s[34:35], 0
                                        ; implicit-def: $sgpr40
	s_waitcnt vmcnt(0) lgkmcnt(0)
	v_cmp_lt_i16_e32 vcc, vcc_lo, v0
	s_and_saveexec_b64 s[36:37], vcc
	s_xor_b64 s[36:37], exec, s[36:37]
	s_cbranch_execnz .LBB47_765
; %bb.47:                               ;   in Loop: Header=BB47_17 Depth=1
	s_or_saveexec_b64 s[36:37], s[36:37]
	v_mov_b32_e32 v64, s40
	s_xor_b64 exec, exec, s[36:37]
	s_cbranch_execnz .LBB47_768
.LBB47_48:                              ;   in Loop: Header=BB47_17 Depth=1
	s_or_b64 exec, exec, s[36:37]
	s_and_saveexec_b64 s[36:37], s[34:35]
	s_cbranch_execz .LBB47_50
.LBB47_49:                              ;   in Loop: Header=BB47_17 Depth=1
	v_lshlrev_b32_e32 v1, 24, v0
	v_and_b32_e32 v0, 0xffff, v0
	v_and_b32_e32 v55, 7, v0
	v_ffbh_u32_e32 v65, v55
	v_min_u32_e32 v65, 32, v65
	v_subrev_u32_e32 v66, 28, v65
	v_bfe_u32 v64, v0, 3, 4
	v_lshlrev_b32_e32 v0, v66, v0
	v_sub_u32_e32 v65, 29, v65
	v_and_b32_e32 v0, 7, v0
	v_cmp_eq_u32_e32 vcc, 0, v64
	v_cndmask_b32_e32 v64, v64, v65, vcc
	v_cndmask_b32_e32 v0, v55, v0, vcc
	v_lshlrev_b32_e32 v0, 20, v0
	v_and_b32_e32 v1, 0x80000000, v1
	v_lshl_add_u32 v55, v64, 23, v28
	v_or3_b32 v64, v1, v55, v0
.LBB47_50:                              ;   in Loop: Header=BB47_17 Depth=1
	s_or_b64 exec, exec, s[36:37]
.LBB47_51:                              ;   in Loop: Header=BB47_17 Depth=1
	s_or_b64 exec, exec, s[30:31]
	s_andn2_b64 s[20:21], s[20:21], exec
	s_andn2_b64 s[26:27], s[26:27], exec
	s_or_b64 s[24:25], s[24:25], exec
.LBB47_52:                              ;   in Loop: Header=BB47_17 Depth=1
	s_or_b64 exec, exec, s[28:29]
	s_and_b64 s[20:21], s[20:21], exec
	s_and_b64 s[26:27], s[26:27], exec
	s_and_b64 s[24:25], s[24:25], exec
                                        ; implicit-def: $vgpr0_vgpr1
.LBB47_53:                              ;   in Loop: Header=BB47_17 Depth=1
	s_andn2_saveexec_b64 s[18:19], s[18:19]
	s_cbranch_execz .LBB47_79
; %bb.54:                               ;   in Loop: Header=BB47_17 Depth=1
	v_cmp_gt_i16_sdwa s[28:29], v7, v29 src0_sel:BYTE_0 src1_sel:DWORD
	s_mov_b64 s[30:31], s[24:25]
                                        ; implicit-def: $vgpr64
	s_and_saveexec_b64 vcc, s[28:29]
	s_xor_b64 s[28:29], exec, vcc
	s_cbranch_execz .LBB47_68
; %bb.55:                               ;   in Loop: Header=BB47_17 Depth=1
	v_cmp_gt_i16_sdwa vcc, v7, v30 src0_sel:BYTE_0 src1_sel:DWORD
                                        ; implicit-def: $vgpr64
	s_and_saveexec_b64 s[30:31], vcc
	s_xor_b64 s[30:31], exec, s[30:31]
	s_cbranch_execz .LBB47_65
; %bb.56:                               ;   in Loop: Header=BB47_17 Depth=1
	v_cmp_gt_i16_sdwa vcc, v7, v31 src0_sel:BYTE_0 src1_sel:DWORD
                                        ; implicit-def: $vgpr64
	s_and_saveexec_b64 s[34:35], vcc
	s_xor_b64 s[34:35], exec, s[34:35]
	s_cbranch_execz .LBB47_62
; %bb.57:                               ;   in Loop: Header=BB47_17 Depth=1
	flat_load_ubyte v0, v[0:1]
	s_movk_i32 vcc_lo, 0x7f
	s_mov_b64 s[36:37], 0
                                        ; implicit-def: $sgpr42
	s_waitcnt vmcnt(0) lgkmcnt(0)
	v_cmp_lt_i16_e32 vcc, vcc_lo, v0
	s_and_saveexec_b64 s[38:39], vcc
	s_xor_b64 s[38:39], exec, s[38:39]
	s_cbranch_execnz .LBB47_980
; %bb.58:                               ;   in Loop: Header=BB47_17 Depth=1
	s_or_saveexec_b64 s[38:39], s[38:39]
	v_mov_b32_e32 v64, s42
	s_xor_b64 exec, exec, s[38:39]
	s_cbranch_execnz .LBB47_983
.LBB47_59:                              ;   in Loop: Header=BB47_17 Depth=1
	s_or_b64 exec, exec, s[38:39]
	s_and_saveexec_b64 s[38:39], s[36:37]
	s_cbranch_execz .LBB47_61
.LBB47_60:                              ;   in Loop: Header=BB47_17 Depth=1
	v_lshlrev_b32_e32 v1, 24, v0
	v_and_b32_e32 v0, 0xffff, v0
	v_and_b32_e32 v55, 3, v0
	v_ffbh_u32_e32 v65, v55
	v_min_u32_e32 v65, 32, v65
	v_subrev_u32_e32 v66, 29, v65
	v_bfe_u32 v64, v0, 2, 5
	v_lshlrev_b32_e32 v0, v66, v0
	v_sub_u32_e32 v65, 30, v65
	v_and_b32_e32 v0, 3, v0
	v_cmp_eq_u32_e32 vcc, 0, v64
	v_cndmask_b32_e32 v64, v64, v65, vcc
	v_cndmask_b32_e32 v0, v55, v0, vcc
	v_lshlrev_b32_e32 v0, 21, v0
	v_and_b32_e32 v1, 0x80000000, v1
	v_lshl_add_u32 v55, v64, 23, v32
	v_or3_b32 v64, v1, v55, v0
.LBB47_61:                              ;   in Loop: Header=BB47_17 Depth=1
	s_or_b64 exec, exec, s[38:39]
                                        ; implicit-def: $vgpr0_vgpr1
.LBB47_62:                              ;   in Loop: Header=BB47_17 Depth=1
	s_andn2_saveexec_b64 s[34:35], s[34:35]
	s_cbranch_execz .LBB47_64
; %bb.63:                               ;   in Loop: Header=BB47_17 Depth=1
	flat_load_ubyte v0, v[0:1]
	s_mov_b32 vcc_lo, 0x7f800000
	s_waitcnt vmcnt(0) lgkmcnt(0)
	v_lshlrev_b32_e32 v0, 24, v0
	v_and_b32_e32 v1, 0x7f000000, v0
	v_ffbh_u32_e32 v55, v1
	v_min_u32_e32 v55, 32, v55
	v_sub_u32_e64 v55, v55, 4 clamp
	v_lshlrev_b32_e32 v65, v55, v1
	v_lshlrev_b32_e32 v55, 23, v55
	v_lshrrev_b32_e32 v65, 4, v65
	v_add_u32_e32 v64, 0x1000000, v1
	v_sub_u32_e32 v55, v65, v55
	v_ashrrev_i32_e32 v64, 8, v64
	v_add_u32_e32 v55, 0x3c000000, v55
	v_and_or_b32 v55, v64, vcc_lo, v55
	v_cmp_ne_u32_e32 vcc, 0, v1
	v_cndmask_b32_e32 v1, 0, v55, vcc
	s_brev_b32 vcc_lo, 1
	v_and_or_b32 v64, v0, vcc_lo, v1
.LBB47_64:                              ;   in Loop: Header=BB47_17 Depth=1
	s_or_b64 exec, exec, s[34:35]
                                        ; implicit-def: $vgpr0_vgpr1
.LBB47_65:                              ;   in Loop: Header=BB47_17 Depth=1
	s_andn2_saveexec_b64 s[30:31], s[30:31]
	s_cbranch_execz .LBB47_67
; %bb.66:                               ;   in Loop: Header=BB47_17 Depth=1
	flat_load_ubyte v0, v[0:1]
	s_movk_i32 vcc_lo, 0x7f00
	s_waitcnt vmcnt(0) lgkmcnt(0)
	v_lshlrev_b16_e32 v1, 8, v0
	v_lshlrev_b32_e32 v0, 25, v0
	v_lshrrev_b32_e32 v55, 4, v0
	v_and_or_b32 v64, v1, vcc_lo, 0.5
	v_or_b32_e32 v55, 0x70000000, v55
	s_brev_b32 vcc_lo, 16
	v_add_f32_e32 v64, -0.5, v64
	v_mul_f32_e32 v55, 0x7800000, v55
	v_cmp_gt_u32_e32 vcc, vcc_lo, v0
	v_cndmask_b32_e32 v0, v55, v64, vcc
	v_bfe_i32 v1, v1, 0, 16
	s_brev_b32 vcc_lo, 1
	v_and_or_b32 v64, v1, vcc_lo, v0
.LBB47_67:                              ;   in Loop: Header=BB47_17 Depth=1
	s_or_b64 exec, exec, s[30:31]
	s_or_b64 s[30:31], s[24:25], exec
                                        ; implicit-def: $vgpr0_vgpr1
.LBB47_68:                              ;   in Loop: Header=BB47_17 Depth=1
	s_or_saveexec_b64 s[28:29], s[28:29]
                                        ; implicit-def: $vcc
                                        ; implicit-def: $sgpr38_sgpr39
	s_xor_b64 exec, exec, s[28:29]
	s_cbranch_execz .LBB47_78
; %bb.69:                               ;   in Loop: Header=BB47_17 Depth=1
	v_cmp_gt_i16_sdwa vcc, v7, v33 src0_sel:BYTE_0 src1_sel:DWORD
	s_mov_b64 s[36:37], s[30:31]
                                        ; implicit-def: $sgpr38_sgpr39
                                        ; implicit-def: $sgpr34_sgpr35
                                        ; implicit-def: $vgpr64
	s_and_saveexec_b64 s[40:41], vcc
	s_xor_b64 vcc, exec, s[40:41]
	s_cbranch_execz .LBB47_73
; %bb.70:                               ;   in Loop: Header=BB47_17 Depth=1
	v_cmp_eq_u16_sdwa s[38:39], v7, v34 src0_sel:BYTE_0 src1_sel:DWORD
	s_mov_b64 s[36:37], s[30:31]
                                        ; implicit-def: $vgpr64
	s_and_saveexec_b64 s[34:35], s[38:39]
	s_cbranch_execz .LBB47_72
; %bb.71:                               ;   in Loop: Header=BB47_17 Depth=1
	flat_load_ushort v0, v[0:1]
	s_or_b64 s[36:37], s[30:31], exec
	s_waitcnt vmcnt(0) lgkmcnt(0)
	v_lshlrev_b32_e32 v64, 16, v0
.LBB47_72:                              ;   in Loop: Header=BB47_17 Depth=1
	s_or_b64 exec, exec, s[34:35]
	s_andn2_b64 s[40:41], s[30:31], exec
	s_and_b64 s[36:37], s[36:37], exec
	s_mov_b64 s[34:35], -1
	s_mov_b64 s[38:39], 0
	s_or_b64 s[36:37], s[40:41], s[36:37]
                                        ; implicit-def: $vgpr0_vgpr1
.LBB47_73:                              ;   in Loop: Header=BB47_17 Depth=1
	s_andn2_saveexec_b64 s[40:41], vcc
	s_cbranch_execz .LBB47_77
; %bb.74:                               ;   in Loop: Header=BB47_17 Depth=1
	v_cmp_eq_u16_sdwa s[44:45], v7, v35 src0_sel:BYTE_0 src1_sel:DWORD
	s_mov_b64 vcc, s[36:37]
                                        ; implicit-def: $vgpr64
	s_and_saveexec_b64 s[42:43], s[44:45]
	s_cbranch_execz .LBB47_76
; %bb.75:                               ;   in Loop: Header=BB47_17 Depth=1
	flat_load_ubyte v0, v[0:1]
	s_waitcnt vmcnt(0) lgkmcnt(0)
	v_cmp_ne_u16_e32 vcc, 0, v0
	v_cndmask_b32_e64 v64, 0, 1.0, vcc
	s_or_b64 vcc, s[36:37], exec
.LBB47_76:                              ;   in Loop: Header=BB47_17 Depth=1
	s_or_b64 exec, exec, s[42:43]
	s_andn2_b64 s[36:37], s[36:37], exec
	s_and_b64 vcc, vcc, exec
	s_andn2_b64 s[38:39], s[38:39], exec
	s_or_b64 s[34:35], s[34:35], exec
	s_or_b64 s[36:37], s[36:37], vcc
.LBB47_77:                              ;   in Loop: Header=BB47_17 Depth=1
	s_or_b64 exec, exec, s[40:41]
	s_and_b64 vcc, s[34:35], exec
	s_andn2_b64 s[30:31], s[30:31], exec
	s_and_b64 s[34:35], s[36:37], exec
	s_and_b64 s[38:39], s[38:39], exec
	s_or_b64 s[30:31], s[30:31], s[34:35]
.LBB47_78:                              ;   in Loop: Header=BB47_17 Depth=1
	s_or_b64 exec, exec, s[28:29]
	s_andn2_b64 s[20:21], s[20:21], exec
	s_and_b64 s[28:29], s[38:39], exec
	s_or_b64 s[20:21], s[20:21], s[28:29]
	s_andn2_b64 s[26:27], s[26:27], exec
	s_and_b64 s[28:29], vcc, exec
	s_or_b64 s[26:27], s[26:27], s[28:29]
	s_andn2_b64 s[24:25], s[24:25], exec
	s_and_b64 s[28:29], s[30:31], exec
	s_or_b64 s[24:25], s[24:25], s[28:29]
.LBB47_79:                              ;   in Loop: Header=BB47_17 Depth=1
	s_or_b64 exec, exec, s[18:19]
	s_and_b64 s[20:21], s[20:21], exec
	s_and_b64 s[18:19], s[26:27], exec
	;; [unrolled: 1-line block ×3, first 2 shown]
                                        ; implicit-def: $vgpr0_vgpr1
	s_andn2_saveexec_b64 s[22:23], s[22:23]
	s_cbranch_execz .LBB47_20
.LBB47_80:                              ;   in Loop: Header=BB47_17 Depth=1
	v_cmp_gt_i16_sdwa s[26:27], v7, v36 src0_sel:BYTE_0 src1_sel:DWORD
                                        ; implicit-def: $vgpr64
	s_and_saveexec_b64 s[28:29], s[26:27]
	s_xor_b64 s[26:27], exec, s[28:29]
	s_cbranch_execz .LBB47_102
; %bb.81:                               ;   in Loop: Header=BB47_17 Depth=1
	v_cmp_gt_i16_sdwa s[28:29], v7, v37 src0_sel:BYTE_0 src1_sel:DWORD
                                        ; implicit-def: $vgpr64
	s_and_saveexec_b64 vcc, s[28:29]
	s_xor_b64 s[28:29], exec, vcc
	s_cbranch_execz .LBB47_91
; %bb.82:                               ;   in Loop: Header=BB47_17 Depth=1
	v_cmp_gt_i16_sdwa vcc, v7, v38 src0_sel:BYTE_0 src1_sel:DWORD
                                        ; implicit-def: $vgpr64
	s_and_saveexec_b64 s[30:31], vcc
	s_xor_b64 vcc, exec, s[30:31]
	s_cbranch_execz .LBB47_88
; %bb.83:                               ;   in Loop: Header=BB47_17 Depth=1
	v_cmp_gt_i16_sdwa s[30:31], v7, v39 src0_sel:BYTE_0 src1_sel:DWORD
                                        ; implicit-def: $vgpr64
	s_and_saveexec_b64 s[34:35], s[30:31]
	s_xor_b64 s[30:31], exec, s[34:35]
	s_cbranch_execz .LBB47_85
; %bb.84:                               ;   in Loop: Header=BB47_17 Depth=1
	flat_load_dwordx2 v[0:1], v[0:1]
	s_waitcnt vmcnt(0) lgkmcnt(0)
	v_cvt_f32_f64_e32 v64, v[0:1]
                                        ; implicit-def: $vgpr0_vgpr1
.LBB47_85:                              ;   in Loop: Header=BB47_17 Depth=1
	s_andn2_saveexec_b64 s[30:31], s[30:31]
	s_cbranch_execz .LBB47_87
; %bb.86:                               ;   in Loop: Header=BB47_17 Depth=1
	flat_load_dword v64, v[0:1]
.LBB47_87:                              ;   in Loop: Header=BB47_17 Depth=1
	s_or_b64 exec, exec, s[30:31]
                                        ; implicit-def: $vgpr0_vgpr1
.LBB47_88:                              ;   in Loop: Header=BB47_17 Depth=1
	s_andn2_saveexec_b64 vcc, vcc
	s_cbranch_execz .LBB47_90
; %bb.89:                               ;   in Loop: Header=BB47_17 Depth=1
	flat_load_dword v0, v[0:1]
	s_waitcnt vmcnt(0) lgkmcnt(0)
	v_cvt_f32_f16_e32 v64, v0
.LBB47_90:                              ;   in Loop: Header=BB47_17 Depth=1
	s_or_b64 exec, exec, vcc
                                        ; implicit-def: $vgpr0_vgpr1
.LBB47_91:                              ;   in Loop: Header=BB47_17 Depth=1
	s_andn2_saveexec_b64 s[28:29], s[28:29]
	s_cbranch_execz .LBB47_101
; %bb.92:                               ;   in Loop: Header=BB47_17 Depth=1
	v_cmp_gt_i16_sdwa vcc, v7, v48 src0_sel:BYTE_0 src1_sel:DWORD
                                        ; implicit-def: $vgpr64
	s_and_saveexec_b64 s[30:31], vcc
	s_xor_b64 vcc, exec, s[30:31]
	s_cbranch_execz .LBB47_98
; %bb.93:                               ;   in Loop: Header=BB47_17 Depth=1
	v_cmp_gt_i16_sdwa s[30:31], v7, v49 src0_sel:BYTE_0 src1_sel:DWORD
                                        ; implicit-def: $vgpr64
	s_and_saveexec_b64 s[34:35], s[30:31]
	s_xor_b64 s[30:31], exec, s[34:35]
	s_cbranch_execz .LBB47_95
; %bb.94:                               ;   in Loop: Header=BB47_17 Depth=1
	flat_load_dwordx2 v[0:1], v[0:1]
	s_waitcnt vmcnt(0) lgkmcnt(0)
	v_cvt_f32_f64_e32 v64, v[0:1]
                                        ; implicit-def: $vgpr0_vgpr1
.LBB47_95:                              ;   in Loop: Header=BB47_17 Depth=1
	s_andn2_saveexec_b64 s[30:31], s[30:31]
	s_cbranch_execz .LBB47_97
; %bb.96:                               ;   in Loop: Header=BB47_17 Depth=1
	s_waitcnt vmcnt(0) lgkmcnt(0)
	flat_load_dword v64, v[0:1]
.LBB47_97:                              ;   in Loop: Header=BB47_17 Depth=1
	s_or_b64 exec, exec, s[30:31]
                                        ; implicit-def: $vgpr0_vgpr1
.LBB47_98:                              ;   in Loop: Header=BB47_17 Depth=1
	s_andn2_saveexec_b64 vcc, vcc
	s_cbranch_execz .LBB47_100
; %bb.99:                               ;   in Loop: Header=BB47_17 Depth=1
	flat_load_ushort v0, v[0:1]
	s_waitcnt vmcnt(0) lgkmcnt(0)
	v_cvt_f32_f16_e32 v64, v0
.LBB47_100:                             ;   in Loop: Header=BB47_17 Depth=1
	s_or_b64 exec, exec, vcc
.LBB47_101:                             ;   in Loop: Header=BB47_17 Depth=1
	s_or_b64 exec, exec, s[28:29]
                                        ; implicit-def: $vgpr0_vgpr1
.LBB47_102:                             ;   in Loop: Header=BB47_17 Depth=1
	s_andn2_saveexec_b64 s[26:27], s[26:27]
	s_cbranch_execz .LBB47_120
; %bb.103:                              ;   in Loop: Header=BB47_17 Depth=1
	v_cmp_gt_i16_sdwa s[28:29], v7, v50 src0_sel:BYTE_0 src1_sel:DWORD
                                        ; implicit-def: $vgpr64
	s_and_saveexec_b64 vcc, s[28:29]
	s_xor_b64 s[28:29], exec, vcc
	s_cbranch_execz .LBB47_113
; %bb.104:                              ;   in Loop: Header=BB47_17 Depth=1
	v_cmp_gt_i16_sdwa vcc, v7, v51 src0_sel:BYTE_0 src1_sel:DWORD
                                        ; implicit-def: $vgpr64
	s_and_saveexec_b64 s[30:31], vcc
	s_xor_b64 vcc, exec, s[30:31]
	s_cbranch_execz .LBB47_110
; %bb.105:                              ;   in Loop: Header=BB47_17 Depth=1
	v_cmp_gt_i16_sdwa s[30:31], v7, v52 src0_sel:BYTE_0 src1_sel:DWORD
                                        ; implicit-def: $vgpr64
	s_and_saveexec_b64 s[34:35], s[30:31]
	s_xor_b64 s[30:31], exec, s[34:35]
	s_cbranch_execz .LBB47_107
; %bb.106:                              ;   in Loop: Header=BB47_17 Depth=1
	flat_load_dwordx2 v[0:1], v[0:1]
	s_waitcnt vmcnt(0) lgkmcnt(0)
	v_xor_b32_e32 v64, v0, v1
	v_ffbh_i32_e32 v55, v1
	v_ashrrev_i32_e32 v64, 31, v64
	v_add_u32_e32 v55, -1, v55
	v_add_u32_e32 v64, 32, v64
	v_min_u32_e32 v55, v55, v64
	s_waitcnt vmcnt(0) expcnt(0) lgkmcnt(0)
	v_swap_b32 v2, v55
	v_lshlrev_b64 v[0:1], v2, v[0:1]
	v_swap_b32 v55, v2
	v_min_u32_e32 v0, 1, v0
	v_or_b32_e32 v0, v1, v0
	v_cvt_f32_i32_e32 v0, v0
	v_sub_u32_e32 v1, 32, v55
	v_ldexp_f32 v64, v0, v1
                                        ; implicit-def: $vgpr0_vgpr1
.LBB47_107:                             ;   in Loop: Header=BB47_17 Depth=1
	s_andn2_saveexec_b64 s[30:31], s[30:31]
	s_cbranch_execz .LBB47_109
; %bb.108:                              ;   in Loop: Header=BB47_17 Depth=1
	flat_load_dword v0, v[0:1]
	s_waitcnt vmcnt(0) lgkmcnt(0)
	v_cvt_f32_i32_e32 v64, v0
.LBB47_109:                             ;   in Loop: Header=BB47_17 Depth=1
	s_or_b64 exec, exec, s[30:31]
                                        ; implicit-def: $vgpr0_vgpr1
.LBB47_110:                             ;   in Loop: Header=BB47_17 Depth=1
	s_andn2_saveexec_b64 vcc, vcc
	s_cbranch_execz .LBB47_112
; %bb.111:                              ;   in Loop: Header=BB47_17 Depth=1
	flat_load_sshort v0, v[0:1]
	s_waitcnt vmcnt(0) lgkmcnt(0)
	v_cvt_f32_i32_e32 v64, v0
.LBB47_112:                             ;   in Loop: Header=BB47_17 Depth=1
	s_or_b64 exec, exec, vcc
                                        ; implicit-def: $vgpr0_vgpr1
.LBB47_113:                             ;   in Loop: Header=BB47_17 Depth=1
	s_andn2_saveexec_b64 s[28:29], s[28:29]
	s_cbranch_execz .LBB47_119
; %bb.114:                              ;   in Loop: Header=BB47_17 Depth=1
	v_cmp_gt_i16_sdwa vcc, v7, v14 src0_sel:BYTE_0 src1_sel:DWORD
                                        ; implicit-def: $vgpr64
	s_and_saveexec_b64 s[30:31], vcc
	s_xor_b64 vcc, exec, s[30:31]
	s_cbranch_execz .LBB47_116
; %bb.115:                              ;   in Loop: Header=BB47_17 Depth=1
	flat_load_sbyte v0, v[0:1]
	s_waitcnt vmcnt(0) lgkmcnt(0)
	v_cvt_f32_i32_e32 v64, v0
                                        ; implicit-def: $vgpr0_vgpr1
.LBB47_116:                             ;   in Loop: Header=BB47_17 Depth=1
	s_andn2_saveexec_b64 vcc, vcc
	s_cbranch_execz .LBB47_118
; %bb.117:                              ;   in Loop: Header=BB47_17 Depth=1
	flat_load_ubyte v0, v[0:1]
	s_waitcnt vmcnt(0) lgkmcnt(0)
	v_cvt_f32_ubyte0_e32 v64, v0
.LBB47_118:                             ;   in Loop: Header=BB47_17 Depth=1
	s_or_b64 exec, exec, vcc
.LBB47_119:                             ;   in Loop: Header=BB47_17 Depth=1
	s_or_b64 exec, exec, s[28:29]
.LBB47_120:                             ;   in Loop: Header=BB47_17 Depth=1
	s_or_b64 exec, exec, s[26:27]
	s_andn2_b64 s[20:21], s[20:21], exec
	s_andn2_b64 s[18:19], s[18:19], exec
	s_or_b64 s[24:25], s[24:25], exec
	s_or_b64 exec, exec, s[22:23]
	s_mov_b64 s[26:27], 0
	s_and_saveexec_b64 s[22:23], s[24:25]
	s_cbranch_execz .LBB47_126
.LBB47_121:                             ;   in Loop: Header=BB47_17 Depth=1
	v_mul_lo_u32 v0, v54, v10
	v_add_co_u32_e32 v0, vcc, v4, v0
	v_readlane_b32 s24, v44, 0
	v_addc_co_u32_e32 v1, vcc, 0, v5, vcc
	v_add_u32_e32 v55, s24, v15
	v_cmp_gt_i16_sdwa s[24:25], v8, v16 src0_sel:BYTE_0 src1_sel:DWORD
	s_mov_b64 vcc, 0
	s_waitcnt vmcnt(0) lgkmcnt(0)
	buffer_store_dword v64, v55, s[0:3], 0 offen offset:4
                                        ; implicit-def: $sgpr26_sgpr27
                                        ; implicit-def: $sgpr28_sgpr29
                                        ; implicit-def: $vgpr54
	s_and_saveexec_b64 s[30:31], s[24:25]
	s_xor_b64 s[24:25], exec, s[30:31]
	s_cbranch_execnz .LBB47_132
; %bb.122:                              ;   in Loop: Header=BB47_17 Depth=1
	s_andn2_saveexec_b64 s[24:25], s[24:25]
	s_cbranch_execnz .LBB47_191
.LBB47_123:                             ;   in Loop: Header=BB47_17 Depth=1
	s_or_b64 exec, exec, s[24:25]
	s_mov_b64 s[24:25], 0
	s_and_saveexec_b64 s[30:31], vcc
	s_cbranch_execz .LBB47_125
.LBB47_124:                             ;   in Loop: Header=BB47_17 Depth=1
	s_mov_b64 s[24:25], exec
	v_add_u32_e32 v53, 0x200, v53
	s_andn2_b64 s[28:29], s[28:29], exec
	s_andn2_b64 s[26:27], s[26:27], exec
	s_waitcnt vmcnt(0) lgkmcnt(0)
	buffer_store_dword v54, v55, s[0:3], 0 offen
.LBB47_125:                             ;   in Loop: Header=BB47_17 Depth=1
	s_or_b64 exec, exec, s[30:31]
	s_andn2_b64 s[20:21], s[20:21], exec
	s_and_b64 s[28:29], s[28:29], exec
	s_andn2_b64 s[18:19], s[18:19], exec
	s_and_b64 s[26:27], s[26:27], exec
	s_or_b64 s[20:21], s[20:21], s[28:29]
	s_or_b64 s[18:19], s[18:19], s[26:27]
	s_and_b64 s[26:27], s[24:25], exec
.LBB47_126:                             ;   in Loop: Header=BB47_17 Depth=1
	s_or_b64 exec, exec, s[22:23]
	s_and_b64 s[22:23], s[20:21], exec
	s_and_b64 s[20:21], s[18:19], exec
	s_orn2_b64 s[18:19], s[26:27], exec
.LBB47_127:                             ;   in Loop: Header=BB47_17 Depth=1
	s_or_b64 exec, exec, s[14:15]
	s_andn2_b64 s[12:13], s[12:13], exec
	s_and_b64 s[14:15], s[22:23], exec
	s_or_b64 s[12:13], s[12:13], s[14:15]
	s_andn2_b64 s[10:11], s[10:11], exec
	s_and_b64 s[14:15], s[20:21], exec
	s_or_b64 s[10:11], s[10:11], s[14:15]
	s_and_saveexec_b64 s[14:15], s[18:19]
	s_cbranch_execz .LBB47_16
; %bb.128:                              ;   in Loop: Header=BB47_17 Depth=1
	v_cmp_lt_i32_e32 vcc, v53, v6
	s_mov_b64 s[22:23], -1
	s_mov_b64 s[24:25], -1
                                        ; implicit-def: $sgpr16_sgpr17
                                        ; implicit-def: $sgpr18_sgpr19
	s_and_saveexec_b64 s[20:21], vcc
	s_cbranch_execz .LBB47_338
; %bb.129:                              ;   in Loop: Header=BB47_17 Depth=1
	v_readlane_b32 s16, v44, 1
	s_waitcnt vmcnt(0) lgkmcnt(0)
	v_add_u32_e32 v54, s16, v53
	v_mul_lo_u32 v0, v54, v9
	v_add_co_u32_e32 v0, vcc, v2, v0
	v_addc_co_u32_e32 v1, vcc, 0, v3, vcc
	v_cmp_gt_i16_sdwa s[24:25], v7, v16 src0_sel:BYTE_0 src1_sel:DWORD
	s_mov_b64 s[26:27], 0
                                        ; implicit-def: $sgpr16_sgpr17
                                        ; implicit-def: $sgpr18_sgpr19
                                        ; implicit-def: $vgpr64
	s_and_saveexec_b64 s[28:29], s[24:25]
	s_xor_b64 s[24:25], exec, s[28:29]
	s_cbranch_execnz .LBB47_232
; %bb.130:                              ;   in Loop: Header=BB47_17 Depth=1
	s_andn2_saveexec_b64 s[24:25], s[24:25]
	s_cbranch_execnz .LBB47_291
.LBB47_131:                             ;   in Loop: Header=BB47_17 Depth=1
	s_or_b64 exec, exec, s[24:25]
	s_mov_b64 s[28:29], 0
	s_and_saveexec_b64 s[24:25], s[26:27]
	s_cbranch_execnz .LBB47_332
	s_branch .LBB47_337
.LBB47_132:                             ;   in Loop: Header=BB47_17 Depth=1
	v_cmp_gt_i16_sdwa s[26:27], v8, v17 src0_sel:BYTE_0 src1_sel:DWORD
	s_mov_b64 s[30:31], 0
                                        ; implicit-def: $sgpr34_sgpr35
                                        ; implicit-def: $sgpr28_sgpr29
                                        ; implicit-def: $vgpr54
	s_and_saveexec_b64 vcc, s[26:27]
	s_xor_b64 s[26:27], exec, vcc
	s_cbranch_execz .LBB47_164
; %bb.133:                              ;   in Loop: Header=BB47_17 Depth=1
	v_cmp_gt_i16_sdwa vcc, v8, v18 src0_sel:BYTE_0 src1_sel:DWORD
                                        ; implicit-def: $sgpr34_sgpr35
                                        ; implicit-def: $sgpr28_sgpr29
                                        ; implicit-def: $vgpr54
	s_and_saveexec_b64 s[36:37], vcc
	s_xor_b64 s[36:37], exec, s[36:37]
	s_cbranch_execz .LBB47_149
; %bb.134:                              ;   in Loop: Header=BB47_17 Depth=1
	v_cmp_gt_i16_sdwa s[28:29], v8, v19 src0_sel:BYTE_0 src1_sel:DWORD
                                        ; implicit-def: $vcc
                                        ; implicit-def: $sgpr34_sgpr35
                                        ; implicit-def: $vgpr54
	s_and_saveexec_b64 s[38:39], s[28:29]
	s_xor_b64 s[28:29], exec, s[38:39]
	s_cbranch_execz .LBB47_144
; %bb.135:                              ;   in Loop: Header=BB47_17 Depth=1
	v_cmp_gt_i16_sdwa vcc, v8, v20 src0_sel:BYTE_0 src1_sel:DWORD
	s_mov_b64 s[38:39], 0
                                        ; implicit-def: $sgpr34_sgpr35
                                        ; implicit-def: $sgpr30_sgpr31
                                        ; implicit-def: $vgpr54
	s_and_saveexec_b64 s[40:41], vcc
	s_xor_b64 vcc, exec, s[40:41]
	s_cbranch_execz .LBB47_139
; %bb.136:                              ;   in Loop: Header=BB47_17 Depth=1
	v_cmp_eq_u16_sdwa s[40:41], v8, v21 src0_sel:BYTE_0 src1_sel:DWORD
	s_mov_b64 s[30:31], 0
                                        ; implicit-def: $vgpr54
	s_and_saveexec_b64 s[34:35], s[40:41]
	s_cbranch_execz .LBB47_138
; %bb.137:                              ;   in Loop: Header=BB47_17 Depth=1
	flat_load_dword v0, v[0:1]
	s_mov_b64 s[38:39], exec
	s_waitcnt vmcnt(0) lgkmcnt(0)
	v_lshlrev_b32_e32 v54, 16, v0
.LBB47_138:                             ;   in Loop: Header=BB47_17 Depth=1
	s_or_b64 exec, exec, s[34:35]
	s_mov_b64 s[34:35], -1
	s_and_b64 s[38:39], s[38:39], exec
                                        ; implicit-def: $vgpr0_vgpr1
.LBB47_139:                             ;   in Loop: Header=BB47_17 Depth=1
	s_andn2_saveexec_b64 s[40:41], vcc
	s_cbranch_execz .LBB47_143
; %bb.140:                              ;   in Loop: Header=BB47_17 Depth=1
	v_cmp_eq_u16_sdwa s[44:45], v8, v22 src0_sel:BYTE_0 src1_sel:DWORD
	s_mov_b64 vcc, s[38:39]
                                        ; implicit-def: $vgpr54
	s_and_saveexec_b64 s[42:43], s[44:45]
	s_cbranch_execz .LBB47_142
; %bb.141:                              ;   in Loop: Header=BB47_17 Depth=1
	flat_load_ubyte v0, v[0:1]
	s_movk_i32 vcc_lo, 0xff
	s_waitcnt vmcnt(0) lgkmcnt(0)
	v_lshlrev_b32_e32 v1, 23, v0
	v_cmp_ne_u32_e32 vcc, vcc_lo, v0
	v_cndmask_b32_e32 v1, v23, v1, vcc
	v_cmp_ne_u32_e32 vcc, 0, v0
	v_cndmask_b32_e32 v54, v24, v1, vcc
	s_or_b64 vcc, s[38:39], exec
.LBB47_142:                             ;   in Loop: Header=BB47_17 Depth=1
	s_or_b64 exec, exec, s[42:43]
	s_andn2_b64 s[38:39], s[38:39], exec
	s_and_b64 vcc, vcc, exec
	s_or_b64 s[34:35], s[34:35], exec
	s_andn2_b64 s[30:31], s[30:31], exec
	s_or_b64 s[38:39], s[38:39], vcc
.LBB47_143:                             ;   in Loop: Header=BB47_17 Depth=1
	s_or_b64 exec, exec, s[40:41]
	s_and_b64 s[34:35], s[34:35], exec
	s_and_b64 vcc, s[30:31], exec
	s_and_b64 s[30:31], s[38:39], exec
                                        ; implicit-def: $vgpr0_vgpr1
.LBB47_144:                             ;   in Loop: Header=BB47_17 Depth=1
	s_andn2_saveexec_b64 s[28:29], s[28:29]
	s_cbranch_execz .LBB47_148
; %bb.145:                              ;   in Loop: Header=BB47_17 Depth=1
	v_cmp_eq_u16_sdwa s[42:43], v8, v25 src0_sel:BYTE_0 src1_sel:DWORD
	s_mov_b64 s[40:41], s[30:31]
                                        ; implicit-def: $vgpr54
	s_and_saveexec_b64 s[38:39], s[42:43]
	s_cbranch_execz .LBB47_147
; %bb.146:                              ;   in Loop: Header=BB47_17 Depth=1
	flat_load_dwordx2 v[0:1], v[0:1]
	s_or_b64 s[40:41], s[30:31], exec
	s_waitcnt vmcnt(0) lgkmcnt(0)
	v_ffbh_u32_e32 v54, v1
	v_min_u32_e32 v54, 32, v54
	v_lshlrev_b64 v[0:1], v54, v[0:1]
	v_min_u32_e32 v0, 1, v0
	v_or_b32_e32 v0, v1, v0
	v_cvt_f32_u32_e32 v0, v0
	v_sub_u32_e32 v1, 32, v54
	v_ldexp_f32 v54, v0, v1
.LBB47_147:                             ;   in Loop: Header=BB47_17 Depth=1
	s_or_b64 exec, exec, s[38:39]
	s_andn2_b64 s[30:31], s[30:31], exec
	s_and_b64 s[38:39], s[40:41], exec
	s_or_b64 s[34:35], s[34:35], exec
	s_andn2_b64 vcc, vcc, exec
	s_or_b64 s[30:31], s[30:31], s[38:39]
.LBB47_148:                             ;   in Loop: Header=BB47_17 Depth=1
	s_or_b64 exec, exec, s[28:29]
	s_and_b64 s[28:29], s[34:35], exec
	s_and_b64 s[34:35], vcc, exec
	s_and_b64 s[30:31], s[30:31], exec
                                        ; implicit-def: $vgpr0_vgpr1
.LBB47_149:                             ;   in Loop: Header=BB47_17 Depth=1
	s_andn2_saveexec_b64 s[36:37], s[36:37]
	s_cbranch_execz .LBB47_163
; %bb.150:                              ;   in Loop: Header=BB47_17 Depth=1
	v_cmp_gt_i16_sdwa vcc, v8, v26 src0_sel:BYTE_0 src1_sel:DWORD
                                        ; implicit-def: $vgpr54
	s_and_saveexec_b64 s[38:39], vcc
	s_xor_b64 vcc, exec, s[38:39]
	s_cbranch_execz .LBB47_156
; %bb.151:                              ;   in Loop: Header=BB47_17 Depth=1
	v_cmp_gt_i16_sdwa s[38:39], v8, v27 src0_sel:BYTE_0 src1_sel:DWORD
                                        ; implicit-def: $vgpr54
	s_and_saveexec_b64 s[40:41], s[38:39]
	s_xor_b64 s[38:39], exec, s[40:41]
	s_cbranch_execz .LBB47_153
; %bb.152:                              ;   in Loop: Header=BB47_17 Depth=1
	flat_load_dword v0, v[0:1]
	s_waitcnt vmcnt(0) lgkmcnt(0)
	v_cvt_f32_u32_e32 v54, v0
                                        ; implicit-def: $vgpr0_vgpr1
.LBB47_153:                             ;   in Loop: Header=BB47_17 Depth=1
	s_andn2_saveexec_b64 s[38:39], s[38:39]
	s_cbranch_execz .LBB47_155
; %bb.154:                              ;   in Loop: Header=BB47_17 Depth=1
	flat_load_ushort v0, v[0:1]
	s_waitcnt vmcnt(0) lgkmcnt(0)
	v_cvt_f32_u32_e32 v54, v0
.LBB47_155:                             ;   in Loop: Header=BB47_17 Depth=1
	s_or_b64 exec, exec, s[38:39]
                                        ; implicit-def: $vgpr0_vgpr1
.LBB47_156:                             ;   in Loop: Header=BB47_17 Depth=1
	s_andn2_saveexec_b64 s[38:39], vcc
	s_cbranch_execz .LBB47_162
; %bb.157:                              ;   in Loop: Header=BB47_17 Depth=1
	flat_load_ubyte v0, v[0:1]
	s_movk_i32 vcc_lo, 0x7f
	s_mov_b64 s[40:41], 0
                                        ; implicit-def: $sgpr46
	s_waitcnt vmcnt(0) lgkmcnt(0)
	v_cmp_lt_i16_e32 vcc, vcc_lo, v0
	s_and_saveexec_b64 s[42:43], vcc
	s_xor_b64 s[42:43], exec, s[42:43]
	s_cbranch_execnz .LBB47_984
; %bb.158:                              ;   in Loop: Header=BB47_17 Depth=1
	s_or_saveexec_b64 s[42:43], s[42:43]
	v_mov_b32_e32 v54, s46
	s_xor_b64 exec, exec, s[42:43]
	s_cbranch_execnz .LBB47_987
.LBB47_159:                             ;   in Loop: Header=BB47_17 Depth=1
	s_or_b64 exec, exec, s[42:43]
	s_and_saveexec_b64 s[42:43], s[40:41]
	s_cbranch_execz .LBB47_161
.LBB47_160:                             ;   in Loop: Header=BB47_17 Depth=1
	v_lshlrev_b32_e32 v1, 24, v0
	v_and_b32_e32 v0, 0xffff, v0
	v_and_b32_e32 v54, 7, v0
	v_ffbh_u32_e32 v65, v54
	v_min_u32_e32 v65, 32, v65
	v_subrev_u32_e32 v66, 28, v65
	v_bfe_u32 v64, v0, 3, 4
	v_lshlrev_b32_e32 v0, v66, v0
	v_sub_u32_e32 v65, 29, v65
	v_and_b32_e32 v0, 7, v0
	v_cmp_eq_u32_e32 vcc, 0, v64
	v_cndmask_b32_e32 v64, v64, v65, vcc
	v_cndmask_b32_e32 v0, v54, v0, vcc
	v_lshlrev_b32_e32 v0, 20, v0
	v_and_b32_e32 v1, 0x80000000, v1
	v_lshl_add_u32 v54, v64, 23, v28
	v_or3_b32 v54, v1, v54, v0
.LBB47_161:                             ;   in Loop: Header=BB47_17 Depth=1
	s_or_b64 exec, exec, s[42:43]
.LBB47_162:                             ;   in Loop: Header=BB47_17 Depth=1
	s_or_b64 exec, exec, s[38:39]
	s_andn2_b64 s[28:29], s[28:29], exec
	s_andn2_b64 s[34:35], s[34:35], exec
	s_or_b64 s[30:31], s[30:31], exec
.LBB47_163:                             ;   in Loop: Header=BB47_17 Depth=1
	s_or_b64 exec, exec, s[36:37]
	s_and_b64 s[28:29], s[28:29], exec
	s_and_b64 s[34:35], s[34:35], exec
	s_and_b64 s[30:31], s[30:31], exec
                                        ; implicit-def: $vgpr0_vgpr1
.LBB47_164:                             ;   in Loop: Header=BB47_17 Depth=1
	s_andn2_saveexec_b64 s[26:27], s[26:27]
	s_cbranch_execz .LBB47_190
; %bb.165:                              ;   in Loop: Header=BB47_17 Depth=1
	v_cmp_gt_i16_sdwa vcc, v8, v29 src0_sel:BYTE_0 src1_sel:DWORD
	s_mov_b64 s[38:39], s[30:31]
                                        ; implicit-def: $vgpr54
	s_and_saveexec_b64 s[36:37], vcc
	s_xor_b64 s[36:37], exec, s[36:37]
	s_cbranch_execz .LBB47_179
; %bb.166:                              ;   in Loop: Header=BB47_17 Depth=1
	v_cmp_gt_i16_sdwa vcc, v8, v30 src0_sel:BYTE_0 src1_sel:DWORD
                                        ; implicit-def: $vgpr54
	s_and_saveexec_b64 s[38:39], vcc
	s_xor_b64 s[38:39], exec, s[38:39]
	s_cbranch_execz .LBB47_176
; %bb.167:                              ;   in Loop: Header=BB47_17 Depth=1
	v_cmp_gt_i16_sdwa vcc, v8, v31 src0_sel:BYTE_0 src1_sel:DWORD
                                        ; implicit-def: $vgpr54
	s_and_saveexec_b64 s[40:41], vcc
	s_xor_b64 s[40:41], exec, s[40:41]
	s_cbranch_execz .LBB47_173
; %bb.168:                              ;   in Loop: Header=BB47_17 Depth=1
	flat_load_ubyte v0, v[0:1]
	s_movk_i32 vcc_lo, 0x7f
	s_mov_b64 s[42:43], 0
                                        ; implicit-def: $sgpr48
	s_waitcnt vmcnt(0) lgkmcnt(0)
	v_cmp_lt_i16_e32 vcc, vcc_lo, v0
	s_and_saveexec_b64 s[44:45], vcc
	s_xor_b64 s[44:45], exec, s[44:45]
	s_cbranch_execnz .LBB47_1203
; %bb.169:                              ;   in Loop: Header=BB47_17 Depth=1
	s_or_saveexec_b64 s[44:45], s[44:45]
	v_mov_b32_e32 v54, s48
	s_xor_b64 exec, exec, s[44:45]
	s_cbranch_execnz .LBB47_1206
.LBB47_170:                             ;   in Loop: Header=BB47_17 Depth=1
	s_or_b64 exec, exec, s[44:45]
	s_and_saveexec_b64 s[44:45], s[42:43]
	s_cbranch_execz .LBB47_172
.LBB47_171:                             ;   in Loop: Header=BB47_17 Depth=1
	v_lshlrev_b32_e32 v1, 24, v0
	v_and_b32_e32 v0, 0xffff, v0
	v_and_b32_e32 v54, 3, v0
	v_ffbh_u32_e32 v65, v54
	v_min_u32_e32 v65, 32, v65
	v_subrev_u32_e32 v66, 29, v65
	v_bfe_u32 v64, v0, 2, 5
	v_lshlrev_b32_e32 v0, v66, v0
	v_sub_u32_e32 v65, 30, v65
	v_and_b32_e32 v0, 3, v0
	v_cmp_eq_u32_e32 vcc, 0, v64
	v_cndmask_b32_e32 v64, v64, v65, vcc
	v_cndmask_b32_e32 v0, v54, v0, vcc
	v_lshlrev_b32_e32 v0, 21, v0
	v_and_b32_e32 v1, 0x80000000, v1
	v_lshl_add_u32 v54, v64, 23, v32
	v_or3_b32 v54, v1, v54, v0
.LBB47_172:                             ;   in Loop: Header=BB47_17 Depth=1
	s_or_b64 exec, exec, s[44:45]
                                        ; implicit-def: $vgpr0_vgpr1
.LBB47_173:                             ;   in Loop: Header=BB47_17 Depth=1
	s_andn2_saveexec_b64 s[40:41], s[40:41]
	s_cbranch_execz .LBB47_175
; %bb.174:                              ;   in Loop: Header=BB47_17 Depth=1
	flat_load_ubyte v0, v[0:1]
	s_mov_b32 vcc_lo, 0x7f800000
	s_waitcnt vmcnt(0) lgkmcnt(0)
	v_lshlrev_b32_e32 v0, 24, v0
	v_and_b32_e32 v1, 0x7f000000, v0
	v_ffbh_u32_e32 v54, v1
	v_min_u32_e32 v54, 32, v54
	v_sub_u32_e64 v54, v54, 4 clamp
	v_lshlrev_b32_e32 v65, v54, v1
	v_lshlrev_b32_e32 v54, 23, v54
	v_lshrrev_b32_e32 v65, 4, v65
	v_add_u32_e32 v64, 0x1000000, v1
	v_sub_u32_e32 v54, v65, v54
	v_ashrrev_i32_e32 v64, 8, v64
	v_add_u32_e32 v54, 0x3c000000, v54
	v_and_or_b32 v54, v64, vcc_lo, v54
	v_cmp_ne_u32_e32 vcc, 0, v1
	v_cndmask_b32_e32 v1, 0, v54, vcc
	s_brev_b32 vcc_lo, 1
	v_and_or_b32 v54, v0, vcc_lo, v1
.LBB47_175:                             ;   in Loop: Header=BB47_17 Depth=1
	s_or_b64 exec, exec, s[40:41]
                                        ; implicit-def: $vgpr0_vgpr1
.LBB47_176:                             ;   in Loop: Header=BB47_17 Depth=1
	s_andn2_saveexec_b64 s[38:39], s[38:39]
	s_cbranch_execz .LBB47_178
; %bb.177:                              ;   in Loop: Header=BB47_17 Depth=1
	flat_load_ubyte v0, v[0:1]
	s_movk_i32 vcc_lo, 0x7f00
	s_waitcnt vmcnt(0) lgkmcnt(0)
	v_lshlrev_b16_e32 v1, 8, v0
	v_lshlrev_b32_e32 v0, 25, v0
	v_lshrrev_b32_e32 v54, 4, v0
	v_and_or_b32 v64, v1, vcc_lo, 0.5
	v_or_b32_e32 v54, 0x70000000, v54
	s_brev_b32 vcc_lo, 16
	v_add_f32_e32 v64, -0.5, v64
	v_mul_f32_e32 v54, 0x7800000, v54
	v_cmp_gt_u32_e32 vcc, vcc_lo, v0
	v_cndmask_b32_e32 v0, v54, v64, vcc
	v_bfe_i32 v1, v1, 0, 16
	s_brev_b32 vcc_lo, 1
	v_and_or_b32 v54, v1, vcc_lo, v0
.LBB47_178:                             ;   in Loop: Header=BB47_17 Depth=1
	s_or_b64 exec, exec, s[38:39]
	s_or_b64 s[38:39], s[30:31], exec
                                        ; implicit-def: $vgpr0_vgpr1
.LBB47_179:                             ;   in Loop: Header=BB47_17 Depth=1
	s_or_saveexec_b64 s[36:37], s[36:37]
                                        ; implicit-def: $vcc
                                        ; implicit-def: $sgpr44_sgpr45
	s_xor_b64 exec, exec, s[36:37]
	s_cbranch_execz .LBB47_189
; %bb.180:                              ;   in Loop: Header=BB47_17 Depth=1
	v_cmp_gt_i16_sdwa vcc, v8, v33 src0_sel:BYTE_0 src1_sel:DWORD
	s_mov_b64 s[42:43], s[38:39]
                                        ; implicit-def: $sgpr44_sgpr45
                                        ; implicit-def: $sgpr40_sgpr41
                                        ; implicit-def: $vgpr54
	s_and_saveexec_b64 s[46:47], vcc
	s_xor_b64 vcc, exec, s[46:47]
	s_cbranch_execz .LBB47_184
; %bb.181:                              ;   in Loop: Header=BB47_17 Depth=1
	v_cmp_eq_u16_sdwa s[44:45], v8, v34 src0_sel:BYTE_0 src1_sel:DWORD
	s_mov_b64 s[42:43], s[38:39]
                                        ; implicit-def: $vgpr54
	s_and_saveexec_b64 s[40:41], s[44:45]
	s_cbranch_execz .LBB47_183
; %bb.182:                              ;   in Loop: Header=BB47_17 Depth=1
	flat_load_ushort v0, v[0:1]
	s_or_b64 s[42:43], s[38:39], exec
	s_waitcnt vmcnt(0) lgkmcnt(0)
	v_lshlrev_b32_e32 v54, 16, v0
.LBB47_183:                             ;   in Loop: Header=BB47_17 Depth=1
	s_or_b64 exec, exec, s[40:41]
	s_andn2_b64 s[46:47], s[38:39], exec
	s_and_b64 s[42:43], s[42:43], exec
	s_mov_b64 s[40:41], 0
	s_mov_b64 s[44:45], -1
	s_or_b64 s[42:43], s[46:47], s[42:43]
                                        ; implicit-def: $vgpr0_vgpr1
.LBB47_184:                             ;   in Loop: Header=BB47_17 Depth=1
	s_andn2_saveexec_b64 s[46:47], vcc
	s_cbranch_execz .LBB47_188
; %bb.185:                              ;   in Loop: Header=BB47_17 Depth=1
	v_cmp_eq_u16_sdwa s[50:51], v8, v35 src0_sel:BYTE_0 src1_sel:DWORD
	s_mov_b64 vcc, s[42:43]
                                        ; implicit-def: $vgpr54
	s_and_saveexec_b64 s[48:49], s[50:51]
	s_cbranch_execz .LBB47_187
; %bb.186:                              ;   in Loop: Header=BB47_17 Depth=1
	flat_load_ubyte v0, v[0:1]
	s_waitcnt vmcnt(0) lgkmcnt(0)
	v_cmp_ne_u16_e32 vcc, 0, v0
	v_cndmask_b32_e64 v54, 0, 1.0, vcc
	s_or_b64 vcc, s[42:43], exec
.LBB47_187:                             ;   in Loop: Header=BB47_17 Depth=1
	s_or_b64 exec, exec, s[48:49]
	s_andn2_b64 s[42:43], s[42:43], exec
	s_and_b64 vcc, vcc, exec
	s_or_b64 s[44:45], s[44:45], exec
	s_andn2_b64 s[40:41], s[40:41], exec
	s_or_b64 s[42:43], s[42:43], vcc
.LBB47_188:                             ;   in Loop: Header=BB47_17 Depth=1
	s_or_b64 exec, exec, s[46:47]
	s_and_b64 vcc, s[40:41], exec
	s_andn2_b64 s[38:39], s[38:39], exec
	s_and_b64 s[40:41], s[42:43], exec
	s_and_b64 s[44:45], s[44:45], exec
	s_or_b64 s[38:39], s[38:39], s[40:41]
.LBB47_189:                             ;   in Loop: Header=BB47_17 Depth=1
	s_or_b64 exec, exec, s[36:37]
	s_andn2_b64 s[34:35], s[34:35], exec
	s_and_b64 vcc, vcc, exec
	s_andn2_b64 s[28:29], s[28:29], exec
	s_and_b64 s[36:37], s[44:45], exec
	s_or_b64 s[34:35], s[34:35], vcc
	s_andn2_b64 vcc, s[30:31], exec
	s_and_b64 s[30:31], s[38:39], exec
	s_or_b64 s[28:29], s[28:29], s[36:37]
	s_or_b64 s[30:31], vcc, s[30:31]
.LBB47_190:                             ;   in Loop: Header=BB47_17 Depth=1
	s_or_b64 exec, exec, s[26:27]
	s_and_b64 s[28:29], s[28:29], exec
	s_and_b64 s[26:27], s[34:35], exec
	s_and_b64 vcc, s[30:31], exec
                                        ; implicit-def: $vgpr0_vgpr1
	s_andn2_saveexec_b64 s[24:25], s[24:25]
	s_cbranch_execz .LBB47_123
.LBB47_191:                             ;   in Loop: Header=BB47_17 Depth=1
	v_cmp_gt_i16_sdwa s[30:31], v8, v36 src0_sel:BYTE_0 src1_sel:DWORD
                                        ; implicit-def: $vgpr54
	s_and_saveexec_b64 s[34:35], s[30:31]
	s_xor_b64 s[30:31], exec, s[34:35]
	s_cbranch_execz .LBB47_213
; %bb.192:                              ;   in Loop: Header=BB47_17 Depth=1
	v_cmp_gt_i16_sdwa s[34:35], v8, v37 src0_sel:BYTE_0 src1_sel:DWORD
                                        ; implicit-def: $vgpr54
	s_and_saveexec_b64 s[36:37], s[34:35]
	s_xor_b64 s[34:35], exec, s[36:37]
	s_cbranch_execz .LBB47_202
; %bb.193:                              ;   in Loop: Header=BB47_17 Depth=1
	;; [unrolled: 6-line block ×4, first 2 shown]
	flat_load_dwordx2 v[0:1], v[0:1]
	s_waitcnt vmcnt(0) lgkmcnt(0)
	v_cvt_f32_f64_e32 v54, v[0:1]
                                        ; implicit-def: $vgpr0_vgpr1
.LBB47_196:                             ;   in Loop: Header=BB47_17 Depth=1
	s_andn2_saveexec_b64 s[38:39], s[38:39]
	s_cbranch_execz .LBB47_198
; %bb.197:                              ;   in Loop: Header=BB47_17 Depth=1
	flat_load_dword v54, v[0:1]
.LBB47_198:                             ;   in Loop: Header=BB47_17 Depth=1
	s_or_b64 exec, exec, s[38:39]
                                        ; implicit-def: $vgpr0_vgpr1
.LBB47_199:                             ;   in Loop: Header=BB47_17 Depth=1
	s_andn2_saveexec_b64 s[36:37], s[36:37]
	s_cbranch_execz .LBB47_201
; %bb.200:                              ;   in Loop: Header=BB47_17 Depth=1
	flat_load_dword v0, v[0:1]
	s_waitcnt vmcnt(0) lgkmcnt(0)
	v_cvt_f32_f16_e32 v54, v0
.LBB47_201:                             ;   in Loop: Header=BB47_17 Depth=1
	s_or_b64 exec, exec, s[36:37]
                                        ; implicit-def: $vgpr0_vgpr1
.LBB47_202:                             ;   in Loop: Header=BB47_17 Depth=1
	s_andn2_saveexec_b64 s[34:35], s[34:35]
	s_cbranch_execz .LBB47_212
; %bb.203:                              ;   in Loop: Header=BB47_17 Depth=1
	v_cmp_gt_i16_sdwa s[36:37], v8, v48 src0_sel:BYTE_0 src1_sel:DWORD
                                        ; implicit-def: $vgpr54
	s_and_saveexec_b64 s[38:39], s[36:37]
	s_xor_b64 s[36:37], exec, s[38:39]
	s_cbranch_execz .LBB47_209
; %bb.204:                              ;   in Loop: Header=BB47_17 Depth=1
	v_cmp_gt_i16_sdwa s[38:39], v8, v49 src0_sel:BYTE_0 src1_sel:DWORD
                                        ; implicit-def: $vgpr54
	s_and_saveexec_b64 s[40:41], s[38:39]
	s_xor_b64 s[38:39], exec, s[40:41]
	s_cbranch_execz .LBB47_206
; %bb.205:                              ;   in Loop: Header=BB47_17 Depth=1
	flat_load_dwordx2 v[0:1], v[0:1]
	s_waitcnt vmcnt(0) lgkmcnt(0)
	v_cvt_f32_f64_e32 v54, v[0:1]
                                        ; implicit-def: $vgpr0_vgpr1
.LBB47_206:                             ;   in Loop: Header=BB47_17 Depth=1
	s_andn2_saveexec_b64 s[38:39], s[38:39]
	s_cbranch_execz .LBB47_208
; %bb.207:                              ;   in Loop: Header=BB47_17 Depth=1
	s_waitcnt vmcnt(0) lgkmcnt(0)
	flat_load_dword v54, v[0:1]
.LBB47_208:                             ;   in Loop: Header=BB47_17 Depth=1
	s_or_b64 exec, exec, s[38:39]
                                        ; implicit-def: $vgpr0_vgpr1
.LBB47_209:                             ;   in Loop: Header=BB47_17 Depth=1
	s_andn2_saveexec_b64 s[36:37], s[36:37]
	s_cbranch_execz .LBB47_211
; %bb.210:                              ;   in Loop: Header=BB47_17 Depth=1
	flat_load_ushort v0, v[0:1]
	s_waitcnt vmcnt(0) lgkmcnt(0)
	v_cvt_f32_f16_e32 v54, v0
.LBB47_211:                             ;   in Loop: Header=BB47_17 Depth=1
	s_or_b64 exec, exec, s[36:37]
.LBB47_212:                             ;   in Loop: Header=BB47_17 Depth=1
	s_or_b64 exec, exec, s[34:35]
                                        ; implicit-def: $vgpr0_vgpr1
.LBB47_213:                             ;   in Loop: Header=BB47_17 Depth=1
	s_andn2_saveexec_b64 s[30:31], s[30:31]
	s_cbranch_execz .LBB47_231
; %bb.214:                              ;   in Loop: Header=BB47_17 Depth=1
	v_cmp_gt_i16_sdwa s[34:35], v8, v50 src0_sel:BYTE_0 src1_sel:DWORD
                                        ; implicit-def: $vgpr54
	s_and_saveexec_b64 s[36:37], s[34:35]
	s_xor_b64 s[34:35], exec, s[36:37]
	s_cbranch_execz .LBB47_224
; %bb.215:                              ;   in Loop: Header=BB47_17 Depth=1
	v_cmp_gt_i16_sdwa s[36:37], v8, v51 src0_sel:BYTE_0 src1_sel:DWORD
                                        ; implicit-def: $vgpr54
	s_and_saveexec_b64 s[38:39], s[36:37]
	s_xor_b64 s[36:37], exec, s[38:39]
	;; [unrolled: 6-line block ×3, first 2 shown]
	s_cbranch_execz .LBB47_218
; %bb.217:                              ;   in Loop: Header=BB47_17 Depth=1
	flat_load_dwordx2 v[0:1], v[0:1]
	s_waitcnt vmcnt(0) lgkmcnt(0)
	v_xor_b32_e32 v64, v0, v1
	v_ffbh_i32_e32 v54, v1
	v_ashrrev_i32_e32 v64, 31, v64
	v_add_u32_e32 v54, -1, v54
	v_add_u32_e32 v64, 32, v64
	v_min_u32_e32 v54, v54, v64
	v_lshlrev_b64 v[0:1], v54, v[0:1]
	v_min_u32_e32 v0, 1, v0
	v_or_b32_e32 v0, v1, v0
	v_cvt_f32_i32_e32 v0, v0
	v_sub_u32_e32 v1, 32, v54
	v_ldexp_f32 v54, v0, v1
                                        ; implicit-def: $vgpr0_vgpr1
.LBB47_218:                             ;   in Loop: Header=BB47_17 Depth=1
	s_andn2_saveexec_b64 s[38:39], s[38:39]
	s_cbranch_execz .LBB47_220
; %bb.219:                              ;   in Loop: Header=BB47_17 Depth=1
	flat_load_dword v0, v[0:1]
	s_waitcnt vmcnt(0) lgkmcnt(0)
	v_cvt_f32_i32_e32 v54, v0
.LBB47_220:                             ;   in Loop: Header=BB47_17 Depth=1
	s_or_b64 exec, exec, s[38:39]
                                        ; implicit-def: $vgpr0_vgpr1
.LBB47_221:                             ;   in Loop: Header=BB47_17 Depth=1
	s_andn2_saveexec_b64 s[36:37], s[36:37]
	s_cbranch_execz .LBB47_223
; %bb.222:                              ;   in Loop: Header=BB47_17 Depth=1
	flat_load_sshort v0, v[0:1]
	s_waitcnt vmcnt(0) lgkmcnt(0)
	v_cvt_f32_i32_e32 v54, v0
.LBB47_223:                             ;   in Loop: Header=BB47_17 Depth=1
	s_or_b64 exec, exec, s[36:37]
                                        ; implicit-def: $vgpr0_vgpr1
.LBB47_224:                             ;   in Loop: Header=BB47_17 Depth=1
	s_andn2_saveexec_b64 s[34:35], s[34:35]
	s_cbranch_execz .LBB47_230
; %bb.225:                              ;   in Loop: Header=BB47_17 Depth=1
	v_cmp_gt_i16_sdwa s[36:37], v8, v14 src0_sel:BYTE_0 src1_sel:DWORD
                                        ; implicit-def: $vgpr54
	s_and_saveexec_b64 s[38:39], s[36:37]
	s_xor_b64 s[36:37], exec, s[38:39]
	s_cbranch_execz .LBB47_227
; %bb.226:                              ;   in Loop: Header=BB47_17 Depth=1
	flat_load_sbyte v0, v[0:1]
	s_waitcnt vmcnt(0) lgkmcnt(0)
	v_cvt_f32_i32_e32 v54, v0
                                        ; implicit-def: $vgpr0_vgpr1
.LBB47_227:                             ;   in Loop: Header=BB47_17 Depth=1
	s_andn2_saveexec_b64 s[36:37], s[36:37]
	s_cbranch_execz .LBB47_229
; %bb.228:                              ;   in Loop: Header=BB47_17 Depth=1
	flat_load_ubyte v0, v[0:1]
	s_waitcnt vmcnt(0) lgkmcnt(0)
	v_cvt_f32_ubyte0_e32 v54, v0
.LBB47_229:                             ;   in Loop: Header=BB47_17 Depth=1
	s_or_b64 exec, exec, s[36:37]
.LBB47_230:                             ;   in Loop: Header=BB47_17 Depth=1
	s_or_b64 exec, exec, s[34:35]
.LBB47_231:                             ;   in Loop: Header=BB47_17 Depth=1
	s_or_b64 exec, exec, s[30:31]
	s_andn2_b64 s[28:29], s[28:29], exec
	s_andn2_b64 s[26:27], s[26:27], exec
	s_or_b64 vcc, vcc, exec
	s_or_b64 exec, exec, s[24:25]
	s_mov_b64 s[24:25], 0
	s_and_saveexec_b64 s[30:31], vcc
	s_cbranch_execnz .LBB47_124
	s_branch .LBB47_125
.LBB47_232:                             ;   in Loop: Header=BB47_17 Depth=1
	v_cmp_gt_i16_sdwa s[16:17], v7, v17 src0_sel:BYTE_0 src1_sel:DWORD
                                        ; implicit-def: $sgpr28_sgpr29
                                        ; implicit-def: $sgpr18_sgpr19
                                        ; implicit-def: $vgpr64
	s_and_saveexec_b64 vcc, s[16:17]
	s_xor_b64 s[16:17], exec, vcc
	s_cbranch_execz .LBB47_264
; %bb.233:                              ;   in Loop: Header=BB47_17 Depth=1
	v_cmp_gt_i16_sdwa s[18:19], v7, v18 src0_sel:BYTE_0 src1_sel:DWORD
                                        ; implicit-def: $sgpr28_sgpr29
                                        ; implicit-def: $sgpr30_sgpr31
                                        ; implicit-def: $vgpr64
	s_and_saveexec_b64 vcc, s[18:19]
	s_xor_b64 s[18:19], exec, vcc
	s_cbranch_execz .LBB47_249
; %bb.234:                              ;   in Loop: Header=BB47_17 Depth=1
	v_cmp_gt_i16_sdwa s[26:27], v7, v19 src0_sel:BYTE_0 src1_sel:DWORD
	s_mov_b64 vcc, 0
                                        ; implicit-def: $sgpr28_sgpr29
                                        ; implicit-def: $sgpr30_sgpr31
                                        ; implicit-def: $vgpr64
	s_and_saveexec_b64 s[34:35], s[26:27]
	s_xor_b64 s[26:27], exec, s[34:35]
	s_cbranch_execz .LBB47_244
; %bb.235:                              ;   in Loop: Header=BB47_17 Depth=1
	v_cmp_gt_i16_sdwa vcc, v7, v20 src0_sel:BYTE_0 src1_sel:DWORD
	s_mov_b64 s[34:35], 0
                                        ; implicit-def: $sgpr28_sgpr29
                                        ; implicit-def: $sgpr36_sgpr37
                                        ; implicit-def: $vgpr64
	s_and_saveexec_b64 s[30:31], vcc
	s_xor_b64 vcc, exec, s[30:31]
	s_cbranch_execz .LBB47_239
; %bb.236:                              ;   in Loop: Header=BB47_17 Depth=1
	v_cmp_eq_u16_sdwa s[36:37], v7, v21 src0_sel:BYTE_0 src1_sel:DWORD
	s_mov_b64 s[28:29], 0
	s_mov_b64 s[30:31], 0
                                        ; implicit-def: $vgpr64
	s_and_saveexec_b64 s[34:35], s[36:37]
	s_cbranch_execz .LBB47_238
; %bb.237:                              ;   in Loop: Header=BB47_17 Depth=1
	flat_load_dword v0, v[0:1]
	s_mov_b64 s[30:31], exec
	s_waitcnt vmcnt(0) lgkmcnt(0)
	v_lshlrev_b32_e32 v64, 16, v0
.LBB47_238:                             ;   in Loop: Header=BB47_17 Depth=1
	s_or_b64 exec, exec, s[34:35]
	s_mov_b64 s[36:37], -1
	s_and_b64 s[34:35], s[30:31], exec
                                        ; implicit-def: $vgpr0_vgpr1
.LBB47_239:                             ;   in Loop: Header=BB47_17 Depth=1
	s_andn2_saveexec_b64 s[30:31], vcc
	s_cbranch_execz .LBB47_243
; %bb.240:                              ;   in Loop: Header=BB47_17 Depth=1
	v_cmp_eq_u16_sdwa s[40:41], v7, v22 src0_sel:BYTE_0 src1_sel:DWORD
	s_mov_b64 vcc, s[34:35]
                                        ; implicit-def: $vgpr64
	s_and_saveexec_b64 s[38:39], s[40:41]
	s_cbranch_execz .LBB47_242
; %bb.241:                              ;   in Loop: Header=BB47_17 Depth=1
	flat_load_ubyte v0, v[0:1]
	s_movk_i32 vcc_lo, 0xff
	s_waitcnt vmcnt(0) lgkmcnt(0)
	v_lshlrev_b32_e32 v1, 23, v0
	v_cmp_ne_u32_e32 vcc, vcc_lo, v0
	v_cndmask_b32_e32 v1, v23, v1, vcc
	v_cmp_ne_u32_e32 vcc, 0, v0
	v_cndmask_b32_e32 v64, v24, v1, vcc
	s_or_b64 vcc, s[34:35], exec
.LBB47_242:                             ;   in Loop: Header=BB47_17 Depth=1
	s_or_b64 exec, exec, s[38:39]
	s_andn2_b64 s[34:35], s[34:35], exec
	s_and_b64 vcc, vcc, exec
	s_andn2_b64 s[28:29], s[28:29], exec
	s_or_b64 s[36:37], s[36:37], exec
	s_or_b64 s[34:35], s[34:35], vcc
.LBB47_243:                             ;   in Loop: Header=BB47_17 Depth=1
	s_or_b64 exec, exec, s[30:31]
	s_and_b64 s[30:31], s[28:29], exec
	s_and_b64 s[28:29], s[36:37], exec
	s_and_b64 vcc, s[34:35], exec
                                        ; implicit-def: $vgpr0_vgpr1
.LBB47_244:                             ;   in Loop: Header=BB47_17 Depth=1
	s_andn2_saveexec_b64 s[26:27], s[26:27]
	s_cbranch_execz .LBB47_248
; %bb.245:                              ;   in Loop: Header=BB47_17 Depth=1
	v_cmp_eq_u16_sdwa s[38:39], v7, v25 src0_sel:BYTE_0 src1_sel:DWORD
	s_mov_b64 s[36:37], vcc
                                        ; implicit-def: $vgpr64
	s_and_saveexec_b64 s[34:35], s[38:39]
	s_cbranch_execz .LBB47_247
; %bb.246:                              ;   in Loop: Header=BB47_17 Depth=1
	flat_load_dwordx2 v[0:1], v[0:1]
	s_or_b64 s[36:37], vcc, exec
	s_waitcnt vmcnt(0) lgkmcnt(0)
	v_ffbh_u32_e32 v55, v1
	v_min_u32_e32 v55, 32, v55
	s_waitcnt vmcnt(0) expcnt(0) lgkmcnt(0)
	v_swap_b32 v2, v55
	v_lshlrev_b64 v[0:1], v2, v[0:1]
	v_swap_b32 v55, v2
	v_min_u32_e32 v0, 1, v0
	v_or_b32_e32 v0, v1, v0
	v_cvt_f32_u32_e32 v0, v0
	v_sub_u32_e32 v1, 32, v55
	v_ldexp_f32 v64, v0, v1
.LBB47_247:                             ;   in Loop: Header=BB47_17 Depth=1
	s_or_b64 exec, exec, s[34:35]
	s_andn2_b64 vcc, vcc, exec
	s_and_b64 s[34:35], s[36:37], exec
	s_andn2_b64 s[30:31], s[30:31], exec
	s_or_b64 s[28:29], s[28:29], exec
	s_or_b64 vcc, vcc, s[34:35]
.LBB47_248:                             ;   in Loop: Header=BB47_17 Depth=1
	s_or_b64 exec, exec, s[26:27]
	s_and_b64 s[30:31], s[30:31], exec
	s_and_b64 s[28:29], s[28:29], exec
	s_and_b64 s[26:27], vcc, exec
                                        ; implicit-def: $vgpr0_vgpr1
.LBB47_249:                             ;   in Loop: Header=BB47_17 Depth=1
	s_andn2_saveexec_b64 s[18:19], s[18:19]
	s_cbranch_execz .LBB47_263
; %bb.250:                              ;   in Loop: Header=BB47_17 Depth=1
	v_cmp_gt_i16_sdwa vcc, v7, v26 src0_sel:BYTE_0 src1_sel:DWORD
                                        ; implicit-def: $vgpr64
	s_and_saveexec_b64 s[34:35], vcc
	s_xor_b64 vcc, exec, s[34:35]
	s_cbranch_execz .LBB47_256
; %bb.251:                              ;   in Loop: Header=BB47_17 Depth=1
	v_cmp_gt_i16_sdwa s[34:35], v7, v27 src0_sel:BYTE_0 src1_sel:DWORD
                                        ; implicit-def: $vgpr64
	s_and_saveexec_b64 s[36:37], s[34:35]
	s_xor_b64 s[34:35], exec, s[36:37]
	s_cbranch_execz .LBB47_253
; %bb.252:                              ;   in Loop: Header=BB47_17 Depth=1
	flat_load_dword v0, v[0:1]
	s_waitcnt vmcnt(0) lgkmcnt(0)
	v_cvt_f32_u32_e32 v64, v0
                                        ; implicit-def: $vgpr0_vgpr1
.LBB47_253:                             ;   in Loop: Header=BB47_17 Depth=1
	s_andn2_saveexec_b64 s[34:35], s[34:35]
	s_cbranch_execz .LBB47_255
; %bb.254:                              ;   in Loop: Header=BB47_17 Depth=1
	flat_load_ushort v0, v[0:1]
	s_waitcnt vmcnt(0) lgkmcnt(0)
	v_cvt_f32_u32_e32 v64, v0
.LBB47_255:                             ;   in Loop: Header=BB47_17 Depth=1
	s_or_b64 exec, exec, s[34:35]
                                        ; implicit-def: $vgpr0_vgpr1
.LBB47_256:                             ;   in Loop: Header=BB47_17 Depth=1
	s_andn2_saveexec_b64 s[34:35], vcc
	s_cbranch_execz .LBB47_262
; %bb.257:                              ;   in Loop: Header=BB47_17 Depth=1
	flat_load_ubyte v0, v[0:1]
	s_movk_i32 vcc_lo, 0x7f
	s_mov_b64 s[36:37], 0
                                        ; implicit-def: $sgpr42
	s_waitcnt vmcnt(0) lgkmcnt(0)
	v_cmp_lt_i16_e32 vcc, vcc_lo, v0
	s_and_saveexec_b64 s[38:39], vcc
	s_xor_b64 s[38:39], exec, s[38:39]
	s_cbranch_execnz .LBB47_988
; %bb.258:                              ;   in Loop: Header=BB47_17 Depth=1
	s_or_saveexec_b64 s[38:39], s[38:39]
	v_mov_b32_e32 v64, s42
	s_xor_b64 exec, exec, s[38:39]
	s_cbranch_execnz .LBB47_991
.LBB47_259:                             ;   in Loop: Header=BB47_17 Depth=1
	s_or_b64 exec, exec, s[38:39]
	s_and_saveexec_b64 s[38:39], s[36:37]
	s_cbranch_execz .LBB47_261
.LBB47_260:                             ;   in Loop: Header=BB47_17 Depth=1
	v_lshlrev_b32_e32 v1, 24, v0
	v_and_b32_e32 v0, 0xffff, v0
	v_and_b32_e32 v55, 7, v0
	v_ffbh_u32_e32 v65, v55
	v_min_u32_e32 v65, 32, v65
	v_subrev_u32_e32 v66, 28, v65
	v_bfe_u32 v64, v0, 3, 4
	v_lshlrev_b32_e32 v0, v66, v0
	v_sub_u32_e32 v65, 29, v65
	v_and_b32_e32 v0, 7, v0
	v_cmp_eq_u32_e32 vcc, 0, v64
	v_cndmask_b32_e32 v64, v64, v65, vcc
	v_cndmask_b32_e32 v0, v55, v0, vcc
	v_lshlrev_b32_e32 v0, 20, v0
	v_and_b32_e32 v1, 0x80000000, v1
	v_lshl_add_u32 v55, v64, 23, v28
	v_or3_b32 v64, v1, v55, v0
.LBB47_261:                             ;   in Loop: Header=BB47_17 Depth=1
	s_or_b64 exec, exec, s[38:39]
.LBB47_262:                             ;   in Loop: Header=BB47_17 Depth=1
	s_or_b64 exec, exec, s[34:35]
	s_andn2_b64 s[30:31], s[30:31], exec
	s_andn2_b64 s[28:29], s[28:29], exec
	s_or_b64 s[26:27], s[26:27], exec
.LBB47_263:                             ;   in Loop: Header=BB47_17 Depth=1
	s_or_b64 exec, exec, s[18:19]
	s_and_b64 s[18:19], s[30:31], exec
	s_and_b64 s[28:29], s[28:29], exec
	;; [unrolled: 1-line block ×3, first 2 shown]
                                        ; implicit-def: $vgpr0_vgpr1
.LBB47_264:                             ;   in Loop: Header=BB47_17 Depth=1
	s_andn2_saveexec_b64 s[16:17], s[16:17]
	s_cbranch_execz .LBB47_290
; %bb.265:                              ;   in Loop: Header=BB47_17 Depth=1
	v_cmp_gt_i16_sdwa vcc, v7, v29 src0_sel:BYTE_0 src1_sel:DWORD
	s_mov_b64 s[34:35], s[26:27]
                                        ; implicit-def: $vgpr64
	s_and_saveexec_b64 s[30:31], vcc
	s_xor_b64 s[30:31], exec, s[30:31]
	s_cbranch_execz .LBB47_279
; %bb.266:                              ;   in Loop: Header=BB47_17 Depth=1
	v_cmp_gt_i16_sdwa vcc, v7, v30 src0_sel:BYTE_0 src1_sel:DWORD
                                        ; implicit-def: $vgpr64
	s_and_saveexec_b64 s[34:35], vcc
	s_xor_b64 s[34:35], exec, s[34:35]
	s_cbranch_execz .LBB47_276
; %bb.267:                              ;   in Loop: Header=BB47_17 Depth=1
	v_cmp_gt_i16_sdwa vcc, v7, v31 src0_sel:BYTE_0 src1_sel:DWORD
                                        ; implicit-def: $vgpr64
	s_and_saveexec_b64 s[36:37], vcc
	s_xor_b64 s[36:37], exec, s[36:37]
	s_cbranch_execz .LBB47_273
; %bb.268:                              ;   in Loop: Header=BB47_17 Depth=1
	flat_load_ubyte v0, v[0:1]
	s_movk_i32 vcc_lo, 0x7f
	s_mov_b64 s[38:39], 0
                                        ; implicit-def: $sgpr44
	s_waitcnt vmcnt(0) lgkmcnt(0)
	v_cmp_lt_i16_e32 vcc, vcc_lo, v0
	s_and_saveexec_b64 s[40:41], vcc
	s_xor_b64 s[40:41], exec, s[40:41]
	s_cbranch_execnz .LBB47_1207
; %bb.269:                              ;   in Loop: Header=BB47_17 Depth=1
	s_or_saveexec_b64 s[40:41], s[40:41]
	v_mov_b32_e32 v64, s44
	s_xor_b64 exec, exec, s[40:41]
	s_cbranch_execnz .LBB47_1210
.LBB47_270:                             ;   in Loop: Header=BB47_17 Depth=1
	s_or_b64 exec, exec, s[40:41]
	s_and_saveexec_b64 s[40:41], s[38:39]
	s_cbranch_execz .LBB47_272
.LBB47_271:                             ;   in Loop: Header=BB47_17 Depth=1
	v_lshlrev_b32_e32 v1, 24, v0
	v_and_b32_e32 v0, 0xffff, v0
	v_and_b32_e32 v55, 3, v0
	v_ffbh_u32_e32 v65, v55
	v_min_u32_e32 v65, 32, v65
	v_subrev_u32_e32 v66, 29, v65
	v_bfe_u32 v64, v0, 2, 5
	v_lshlrev_b32_e32 v0, v66, v0
	v_sub_u32_e32 v65, 30, v65
	v_and_b32_e32 v0, 3, v0
	v_cmp_eq_u32_e32 vcc, 0, v64
	v_cndmask_b32_e32 v64, v64, v65, vcc
	v_cndmask_b32_e32 v0, v55, v0, vcc
	v_lshlrev_b32_e32 v0, 21, v0
	v_and_b32_e32 v1, 0x80000000, v1
	v_lshl_add_u32 v55, v64, 23, v32
	v_or3_b32 v64, v1, v55, v0
.LBB47_272:                             ;   in Loop: Header=BB47_17 Depth=1
	s_or_b64 exec, exec, s[40:41]
                                        ; implicit-def: $vgpr0_vgpr1
.LBB47_273:                             ;   in Loop: Header=BB47_17 Depth=1
	s_andn2_saveexec_b64 s[36:37], s[36:37]
	s_cbranch_execz .LBB47_275
; %bb.274:                              ;   in Loop: Header=BB47_17 Depth=1
	flat_load_ubyte v0, v[0:1]
	s_mov_b32 vcc_lo, 0x7f800000
	s_waitcnt vmcnt(0) lgkmcnt(0)
	v_lshlrev_b32_e32 v0, 24, v0
	v_and_b32_e32 v1, 0x7f000000, v0
	v_ffbh_u32_e32 v55, v1
	v_min_u32_e32 v55, 32, v55
	v_sub_u32_e64 v55, v55, 4 clamp
	v_lshlrev_b32_e32 v65, v55, v1
	v_lshlrev_b32_e32 v55, 23, v55
	v_lshrrev_b32_e32 v65, 4, v65
	v_add_u32_e32 v64, 0x1000000, v1
	v_sub_u32_e32 v55, v65, v55
	v_ashrrev_i32_e32 v64, 8, v64
	v_add_u32_e32 v55, 0x3c000000, v55
	v_and_or_b32 v55, v64, vcc_lo, v55
	v_cmp_ne_u32_e32 vcc, 0, v1
	v_cndmask_b32_e32 v1, 0, v55, vcc
	s_brev_b32 vcc_lo, 1
	v_and_or_b32 v64, v0, vcc_lo, v1
.LBB47_275:                             ;   in Loop: Header=BB47_17 Depth=1
	s_or_b64 exec, exec, s[36:37]
                                        ; implicit-def: $vgpr0_vgpr1
.LBB47_276:                             ;   in Loop: Header=BB47_17 Depth=1
	s_andn2_saveexec_b64 s[34:35], s[34:35]
	s_cbranch_execz .LBB47_278
; %bb.277:                              ;   in Loop: Header=BB47_17 Depth=1
	flat_load_ubyte v0, v[0:1]
	s_movk_i32 vcc_lo, 0x7f00
	s_waitcnt vmcnt(0) lgkmcnt(0)
	v_lshlrev_b16_e32 v1, 8, v0
	v_lshlrev_b32_e32 v0, 25, v0
	v_lshrrev_b32_e32 v55, 4, v0
	v_and_or_b32 v64, v1, vcc_lo, 0.5
	v_or_b32_e32 v55, 0x70000000, v55
	s_brev_b32 vcc_lo, 16
	v_add_f32_e32 v64, -0.5, v64
	v_mul_f32_e32 v55, 0x7800000, v55
	v_cmp_gt_u32_e32 vcc, vcc_lo, v0
	v_cndmask_b32_e32 v0, v55, v64, vcc
	v_bfe_i32 v1, v1, 0, 16
	s_brev_b32 vcc_lo, 1
	v_and_or_b32 v64, v1, vcc_lo, v0
.LBB47_278:                             ;   in Loop: Header=BB47_17 Depth=1
	s_or_b64 exec, exec, s[34:35]
	s_or_b64 s[34:35], s[26:27], exec
                                        ; implicit-def: $vgpr0_vgpr1
.LBB47_279:                             ;   in Loop: Header=BB47_17 Depth=1
	s_or_saveexec_b64 s[30:31], s[30:31]
                                        ; implicit-def: $vcc
                                        ; implicit-def: $sgpr40_sgpr41
	s_xor_b64 exec, exec, s[30:31]
	s_cbranch_execz .LBB47_289
; %bb.280:                              ;   in Loop: Header=BB47_17 Depth=1
	v_cmp_gt_i16_sdwa vcc, v7, v33 src0_sel:BYTE_0 src1_sel:DWORD
	s_mov_b64 s[38:39], s[34:35]
                                        ; implicit-def: $sgpr40_sgpr41
                                        ; implicit-def: $sgpr36_sgpr37
                                        ; implicit-def: $vgpr64
	s_and_saveexec_b64 s[42:43], vcc
	s_xor_b64 vcc, exec, s[42:43]
	s_cbranch_execz .LBB47_284
; %bb.281:                              ;   in Loop: Header=BB47_17 Depth=1
	v_cmp_eq_u16_sdwa s[40:41], v7, v34 src0_sel:BYTE_0 src1_sel:DWORD
	s_mov_b64 s[38:39], s[34:35]
                                        ; implicit-def: $vgpr64
	s_and_saveexec_b64 s[36:37], s[40:41]
	s_cbranch_execz .LBB47_283
; %bb.282:                              ;   in Loop: Header=BB47_17 Depth=1
	flat_load_ushort v0, v[0:1]
	s_or_b64 s[38:39], s[34:35], exec
	s_waitcnt vmcnt(0) lgkmcnt(0)
	v_lshlrev_b32_e32 v64, 16, v0
.LBB47_283:                             ;   in Loop: Header=BB47_17 Depth=1
	s_or_b64 exec, exec, s[36:37]
	s_andn2_b64 s[42:43], s[34:35], exec
	s_and_b64 s[38:39], s[38:39], exec
	s_mov_b64 s[36:37], -1
	s_mov_b64 s[40:41], 0
	s_or_b64 s[38:39], s[42:43], s[38:39]
                                        ; implicit-def: $vgpr0_vgpr1
.LBB47_284:                             ;   in Loop: Header=BB47_17 Depth=1
	s_andn2_saveexec_b64 s[42:43], vcc
	s_cbranch_execz .LBB47_288
; %bb.285:                              ;   in Loop: Header=BB47_17 Depth=1
	v_cmp_eq_u16_sdwa s[46:47], v7, v35 src0_sel:BYTE_0 src1_sel:DWORD
	s_mov_b64 vcc, s[38:39]
                                        ; implicit-def: $vgpr64
	s_and_saveexec_b64 s[44:45], s[46:47]
	s_cbranch_execz .LBB47_287
; %bb.286:                              ;   in Loop: Header=BB47_17 Depth=1
	flat_load_ubyte v0, v[0:1]
	s_waitcnt vmcnt(0) lgkmcnt(0)
	v_cmp_ne_u16_e32 vcc, 0, v0
	v_cndmask_b32_e64 v64, 0, 1.0, vcc
	s_or_b64 vcc, s[38:39], exec
.LBB47_287:                             ;   in Loop: Header=BB47_17 Depth=1
	s_or_b64 exec, exec, s[44:45]
	s_andn2_b64 s[38:39], s[38:39], exec
	s_and_b64 vcc, vcc, exec
	s_andn2_b64 s[40:41], s[40:41], exec
	s_or_b64 s[36:37], s[36:37], exec
	s_or_b64 s[38:39], s[38:39], vcc
.LBB47_288:                             ;   in Loop: Header=BB47_17 Depth=1
	s_or_b64 exec, exec, s[42:43]
	s_and_b64 vcc, s[36:37], exec
	s_andn2_b64 s[34:35], s[34:35], exec
	s_and_b64 s[36:37], s[38:39], exec
	s_and_b64 s[40:41], s[40:41], exec
	s_or_b64 s[34:35], s[34:35], s[36:37]
.LBB47_289:                             ;   in Loop: Header=BB47_17 Depth=1
	s_or_b64 exec, exec, s[30:31]
	s_andn2_b64 s[28:29], s[28:29], exec
	s_and_b64 vcc, vcc, exec
	s_andn2_b64 s[18:19], s[18:19], exec
	s_and_b64 s[30:31], s[40:41], exec
	s_or_b64 s[28:29], s[28:29], vcc
	s_andn2_b64 s[26:27], s[26:27], exec
	s_and_b64 vcc, s[34:35], exec
	s_or_b64 s[18:19], s[18:19], s[30:31]
	s_or_b64 s[26:27], s[26:27], vcc
.LBB47_290:                             ;   in Loop: Header=BB47_17 Depth=1
	s_or_b64 exec, exec, s[16:17]
	s_and_b64 s[18:19], s[18:19], exec
	s_and_b64 s[16:17], s[28:29], exec
	;; [unrolled: 1-line block ×3, first 2 shown]
                                        ; implicit-def: $vgpr0_vgpr1
	s_andn2_saveexec_b64 s[24:25], s[24:25]
	s_cbranch_execz .LBB47_131
.LBB47_291:                             ;   in Loop: Header=BB47_17 Depth=1
	v_cmp_gt_i16_sdwa s[28:29], v7, v36 src0_sel:BYTE_0 src1_sel:DWORD
                                        ; implicit-def: $vgpr64
	s_and_saveexec_b64 vcc, s[28:29]
	s_xor_b64 s[28:29], exec, vcc
	s_cbranch_execz .LBB47_313
; %bb.292:                              ;   in Loop: Header=BB47_17 Depth=1
	v_cmp_gt_i16_sdwa vcc, v7, v37 src0_sel:BYTE_0 src1_sel:DWORD
                                        ; implicit-def: $vgpr64
	s_and_saveexec_b64 s[30:31], vcc
	s_xor_b64 vcc, exec, s[30:31]
	s_cbranch_execz .LBB47_302
; %bb.293:                              ;   in Loop: Header=BB47_17 Depth=1
	v_cmp_gt_i16_sdwa s[30:31], v7, v38 src0_sel:BYTE_0 src1_sel:DWORD
                                        ; implicit-def: $vgpr64
	s_and_saveexec_b64 s[34:35], s[30:31]
	s_xor_b64 s[30:31], exec, s[34:35]
	s_cbranch_execz .LBB47_299
; %bb.294:                              ;   in Loop: Header=BB47_17 Depth=1
	v_cmp_gt_i16_sdwa s[34:35], v7, v39 src0_sel:BYTE_0 src1_sel:DWORD
                                        ; implicit-def: $vgpr64
	s_and_saveexec_b64 s[36:37], s[34:35]
	s_xor_b64 s[34:35], exec, s[36:37]
	s_cbranch_execz .LBB47_296
; %bb.295:                              ;   in Loop: Header=BB47_17 Depth=1
	flat_load_dwordx2 v[0:1], v[0:1]
	s_waitcnt vmcnt(0) lgkmcnt(0)
	v_cvt_f32_f64_e32 v64, v[0:1]
                                        ; implicit-def: $vgpr0_vgpr1
.LBB47_296:                             ;   in Loop: Header=BB47_17 Depth=1
	s_andn2_saveexec_b64 s[34:35], s[34:35]
	s_cbranch_execz .LBB47_298
; %bb.297:                              ;   in Loop: Header=BB47_17 Depth=1
	flat_load_dword v64, v[0:1]
.LBB47_298:                             ;   in Loop: Header=BB47_17 Depth=1
	s_or_b64 exec, exec, s[34:35]
                                        ; implicit-def: $vgpr0_vgpr1
.LBB47_299:                             ;   in Loop: Header=BB47_17 Depth=1
	s_andn2_saveexec_b64 s[30:31], s[30:31]
	s_cbranch_execz .LBB47_301
; %bb.300:                              ;   in Loop: Header=BB47_17 Depth=1
	flat_load_dword v0, v[0:1]
	s_waitcnt vmcnt(0) lgkmcnt(0)
	v_cvt_f32_f16_e32 v64, v0
.LBB47_301:                             ;   in Loop: Header=BB47_17 Depth=1
	s_or_b64 exec, exec, s[30:31]
                                        ; implicit-def: $vgpr0_vgpr1
.LBB47_302:                             ;   in Loop: Header=BB47_17 Depth=1
	s_andn2_saveexec_b64 vcc, vcc
	s_cbranch_execz .LBB47_312
; %bb.303:                              ;   in Loop: Header=BB47_17 Depth=1
	v_cmp_gt_i16_sdwa s[30:31], v7, v48 src0_sel:BYTE_0 src1_sel:DWORD
                                        ; implicit-def: $vgpr64
	s_and_saveexec_b64 s[34:35], s[30:31]
	s_xor_b64 s[30:31], exec, s[34:35]
	s_cbranch_execz .LBB47_309
; %bb.304:                              ;   in Loop: Header=BB47_17 Depth=1
	v_cmp_gt_i16_sdwa s[34:35], v7, v49 src0_sel:BYTE_0 src1_sel:DWORD
                                        ; implicit-def: $vgpr64
	s_and_saveexec_b64 s[36:37], s[34:35]
	s_xor_b64 s[34:35], exec, s[36:37]
	s_cbranch_execz .LBB47_306
; %bb.305:                              ;   in Loop: Header=BB47_17 Depth=1
	flat_load_dwordx2 v[0:1], v[0:1]
	s_waitcnt vmcnt(0) lgkmcnt(0)
	v_cvt_f32_f64_e32 v64, v[0:1]
                                        ; implicit-def: $vgpr0_vgpr1
.LBB47_306:                             ;   in Loop: Header=BB47_17 Depth=1
	s_andn2_saveexec_b64 s[34:35], s[34:35]
	s_cbranch_execz .LBB47_308
; %bb.307:                              ;   in Loop: Header=BB47_17 Depth=1
	s_waitcnt vmcnt(0) lgkmcnt(0)
	flat_load_dword v64, v[0:1]
.LBB47_308:                             ;   in Loop: Header=BB47_17 Depth=1
	s_or_b64 exec, exec, s[34:35]
                                        ; implicit-def: $vgpr0_vgpr1
.LBB47_309:                             ;   in Loop: Header=BB47_17 Depth=1
	s_andn2_saveexec_b64 s[30:31], s[30:31]
	s_cbranch_execz .LBB47_311
; %bb.310:                              ;   in Loop: Header=BB47_17 Depth=1
	flat_load_ushort v0, v[0:1]
	s_waitcnt vmcnt(0) lgkmcnt(0)
	v_cvt_f32_f16_e32 v64, v0
.LBB47_311:                             ;   in Loop: Header=BB47_17 Depth=1
	s_or_b64 exec, exec, s[30:31]
.LBB47_312:                             ;   in Loop: Header=BB47_17 Depth=1
	s_or_b64 exec, exec, vcc
                                        ; implicit-def: $vgpr0_vgpr1
.LBB47_313:                             ;   in Loop: Header=BB47_17 Depth=1
	s_andn2_saveexec_b64 s[28:29], s[28:29]
	s_cbranch_execz .LBB47_331
; %bb.314:                              ;   in Loop: Header=BB47_17 Depth=1
	v_cmp_gt_i16_sdwa vcc, v7, v50 src0_sel:BYTE_0 src1_sel:DWORD
                                        ; implicit-def: $vgpr64
	s_and_saveexec_b64 s[30:31], vcc
	s_xor_b64 vcc, exec, s[30:31]
	s_cbranch_execz .LBB47_324
; %bb.315:                              ;   in Loop: Header=BB47_17 Depth=1
	v_cmp_gt_i16_sdwa s[30:31], v7, v51 src0_sel:BYTE_0 src1_sel:DWORD
                                        ; implicit-def: $vgpr64
	s_and_saveexec_b64 s[34:35], s[30:31]
	s_xor_b64 s[30:31], exec, s[34:35]
	s_cbranch_execz .LBB47_321
; %bb.316:                              ;   in Loop: Header=BB47_17 Depth=1
	v_cmp_gt_i16_sdwa s[34:35], v7, v52 src0_sel:BYTE_0 src1_sel:DWORD
                                        ; implicit-def: $vgpr64
	s_and_saveexec_b64 s[36:37], s[34:35]
	s_xor_b64 s[34:35], exec, s[36:37]
	s_cbranch_execz .LBB47_318
; %bb.317:                              ;   in Loop: Header=BB47_17 Depth=1
	flat_load_dwordx2 v[0:1], v[0:1]
	s_waitcnt vmcnt(0) lgkmcnt(0)
	v_xor_b32_e32 v64, v0, v1
	v_ffbh_i32_e32 v55, v1
	v_ashrrev_i32_e32 v64, 31, v64
	v_add_u32_e32 v55, -1, v55
	v_add_u32_e32 v64, 32, v64
	v_min_u32_e32 v55, v55, v64
	s_waitcnt vmcnt(0) expcnt(0) lgkmcnt(0)
	v_swap_b32 v2, v55
	v_lshlrev_b64 v[0:1], v2, v[0:1]
	v_swap_b32 v55, v2
	v_min_u32_e32 v0, 1, v0
	v_or_b32_e32 v0, v1, v0
	v_cvt_f32_i32_e32 v0, v0
	v_sub_u32_e32 v1, 32, v55
	v_ldexp_f32 v64, v0, v1
                                        ; implicit-def: $vgpr0_vgpr1
.LBB47_318:                             ;   in Loop: Header=BB47_17 Depth=1
	s_andn2_saveexec_b64 s[34:35], s[34:35]
	s_cbranch_execz .LBB47_320
; %bb.319:                              ;   in Loop: Header=BB47_17 Depth=1
	flat_load_dword v0, v[0:1]
	s_waitcnt vmcnt(0) lgkmcnt(0)
	v_cvt_f32_i32_e32 v64, v0
.LBB47_320:                             ;   in Loop: Header=BB47_17 Depth=1
	s_or_b64 exec, exec, s[34:35]
                                        ; implicit-def: $vgpr0_vgpr1
.LBB47_321:                             ;   in Loop: Header=BB47_17 Depth=1
	s_andn2_saveexec_b64 s[30:31], s[30:31]
	s_cbranch_execz .LBB47_323
; %bb.322:                              ;   in Loop: Header=BB47_17 Depth=1
	flat_load_sshort v0, v[0:1]
	s_waitcnt vmcnt(0) lgkmcnt(0)
	v_cvt_f32_i32_e32 v64, v0
.LBB47_323:                             ;   in Loop: Header=BB47_17 Depth=1
	s_or_b64 exec, exec, s[30:31]
                                        ; implicit-def: $vgpr0_vgpr1
.LBB47_324:                             ;   in Loop: Header=BB47_17 Depth=1
	s_andn2_saveexec_b64 vcc, vcc
	s_cbranch_execz .LBB47_330
; %bb.325:                              ;   in Loop: Header=BB47_17 Depth=1
	v_cmp_gt_i16_sdwa s[30:31], v7, v14 src0_sel:BYTE_0 src1_sel:DWORD
                                        ; implicit-def: $vgpr64
	s_and_saveexec_b64 s[34:35], s[30:31]
	s_xor_b64 s[30:31], exec, s[34:35]
	s_cbranch_execz .LBB47_327
; %bb.326:                              ;   in Loop: Header=BB47_17 Depth=1
	flat_load_sbyte v0, v[0:1]
	s_waitcnt vmcnt(0) lgkmcnt(0)
	v_cvt_f32_i32_e32 v64, v0
                                        ; implicit-def: $vgpr0_vgpr1
.LBB47_327:                             ;   in Loop: Header=BB47_17 Depth=1
	s_andn2_saveexec_b64 s[30:31], s[30:31]
	s_cbranch_execz .LBB47_329
; %bb.328:                              ;   in Loop: Header=BB47_17 Depth=1
	flat_load_ubyte v0, v[0:1]
	s_waitcnt vmcnt(0) lgkmcnt(0)
	v_cvt_f32_ubyte0_e32 v64, v0
.LBB47_329:                             ;   in Loop: Header=BB47_17 Depth=1
	s_or_b64 exec, exec, s[30:31]
.LBB47_330:                             ;   in Loop: Header=BB47_17 Depth=1
	s_or_b64 exec, exec, vcc
.LBB47_331:                             ;   in Loop: Header=BB47_17 Depth=1
	s_or_b64 exec, exec, s[28:29]
	s_andn2_b64 s[18:19], s[18:19], exec
	s_andn2_b64 s[16:17], s[16:17], exec
	s_or_b64 s[26:27], s[26:27], exec
	s_or_b64 exec, exec, s[24:25]
	s_mov_b64 s[28:29], 0
	s_and_saveexec_b64 s[24:25], s[26:27]
	s_cbranch_execz .LBB47_337
.LBB47_332:                             ;   in Loop: Header=BB47_17 Depth=1
	v_mul_lo_u32 v0, v54, v10
	v_readlane_b32 s26, v44, 0
	v_add_co_u32_e32 v0, vcc, v4, v0
	v_add_u32_e32 v55, s26, v15
	v_addc_co_u32_e32 v1, vcc, 0, v5, vcc
	v_cmp_gt_i16_sdwa s[26:27], v8, v16 src0_sel:BYTE_0 src1_sel:DWORD
	s_mov_b64 s[30:31], 0
	s_waitcnt vmcnt(0) lgkmcnt(0)
	buffer_store_dword v64, v55, s[0:3], 0 offen offset:12
                                        ; implicit-def: $sgpr28_sgpr29
                                        ; implicit-def: $vcc
                                        ; implicit-def: $vgpr54
	s_and_saveexec_b64 s[34:35], s[26:27]
	s_xor_b64 s[26:27], exec, s[34:35]
	s_cbranch_execnz .LBB47_343
; %bb.333:                              ;   in Loop: Header=BB47_17 Depth=1
	s_andn2_saveexec_b64 s[26:27], s[26:27]
	s_cbranch_execnz .LBB47_402
.LBB47_334:                             ;   in Loop: Header=BB47_17 Depth=1
	s_or_b64 exec, exec, s[26:27]
	s_mov_b64 s[26:27], 0
	s_and_saveexec_b64 s[34:35], s[30:31]
	s_cbranch_execz .LBB47_336
.LBB47_335:                             ;   in Loop: Header=BB47_17 Depth=1
	s_mov_b64 s[26:27], exec
	v_add_u32_e32 v53, 0x200, v53
	s_andn2_b64 vcc, vcc, exec
	s_andn2_b64 s[28:29], s[28:29], exec
	s_waitcnt vmcnt(0) lgkmcnt(0)
	buffer_store_dword v54, v55, s[0:3], 0 offen offset:8
.LBB47_336:                             ;   in Loop: Header=BB47_17 Depth=1
	s_or_b64 exec, exec, s[34:35]
	s_andn2_b64 s[18:19], s[18:19], exec
	s_and_b64 vcc, vcc, exec
	s_andn2_b64 s[16:17], s[16:17], exec
	s_and_b64 s[28:29], s[28:29], exec
	s_or_b64 s[18:19], s[18:19], vcc
	s_or_b64 s[16:17], s[16:17], s[28:29]
	s_and_b64 s[28:29], s[26:27], exec
.LBB47_337:                             ;   in Loop: Header=BB47_17 Depth=1
	s_or_b64 exec, exec, s[24:25]
	s_and_b64 s[18:19], s[18:19], exec
	s_and_b64 s[16:17], s[16:17], exec
	s_orn2_b64 s[24:25], s[28:29], exec
.LBB47_338:                             ;   in Loop: Header=BB47_17 Depth=1
	s_or_b64 exec, exec, s[20:21]
	s_and_saveexec_b64 s[20:21], s[24:25]
	s_cbranch_execz .LBB47_15
; %bb.339:                              ;   in Loop: Header=BB47_17 Depth=1
	v_cmp_lt_i32_e32 vcc, v53, v6
	s_mov_b64 s[28:29], -1
	s_mov_b64 s[30:31], -1
                                        ; implicit-def: $sgpr22_sgpr23
                                        ; implicit-def: $sgpr24_sgpr25
	s_and_saveexec_b64 s[26:27], vcc
	s_cbranch_execz .LBB47_549
; %bb.340:                              ;   in Loop: Header=BB47_17 Depth=1
	v_readlane_b32 s22, v44, 1
	s_waitcnt vmcnt(0) lgkmcnt(0)
	v_add_u32_e32 v54, s22, v53
	v_mul_lo_u32 v0, v54, v9
	v_add_co_u32_e32 v0, vcc, v2, v0
	v_addc_co_u32_e32 v1, vcc, 0, v3, vcc
	v_cmp_gt_i16_sdwa s[30:31], v7, v16 src0_sel:BYTE_0 src1_sel:DWORD
	s_mov_b64 vcc, 0
                                        ; implicit-def: $sgpr22_sgpr23
                                        ; implicit-def: $sgpr24_sgpr25
                                        ; implicit-def: $vgpr64
	s_and_saveexec_b64 s[34:35], s[30:31]
	s_xor_b64 s[30:31], exec, s[34:35]
	s_cbranch_execnz .LBB47_443
; %bb.341:                              ;   in Loop: Header=BB47_17 Depth=1
	s_andn2_saveexec_b64 s[30:31], s[30:31]
	s_cbranch_execnz .LBB47_502
.LBB47_342:                             ;   in Loop: Header=BB47_17 Depth=1
	s_or_b64 exec, exec, s[30:31]
	s_mov_b64 s[34:35], 0
	s_and_saveexec_b64 s[30:31], vcc
	s_cbranch_execnz .LBB47_543
	s_branch .LBB47_548
.LBB47_343:                             ;   in Loop: Header=BB47_17 Depth=1
	v_cmp_gt_i16_sdwa s[28:29], v8, v17 src0_sel:BYTE_0 src1_sel:DWORD
                                        ; implicit-def: $sgpr34_sgpr35
                                        ; implicit-def: $sgpr36_sgpr37
                                        ; implicit-def: $vgpr54
	s_and_saveexec_b64 vcc, s[28:29]
	s_xor_b64 s[28:29], exec, vcc
	s_cbranch_execz .LBB47_375
; %bb.344:                              ;   in Loop: Header=BB47_17 Depth=1
	v_cmp_gt_i16_sdwa vcc, v8, v18 src0_sel:BYTE_0 src1_sel:DWORD
                                        ; implicit-def: $sgpr34_sgpr35
                                        ; implicit-def: $sgpr38_sgpr39
                                        ; implicit-def: $vgpr54
	s_and_saveexec_b64 s[36:37], vcc
	s_xor_b64 s[36:37], exec, s[36:37]
	s_cbranch_execz .LBB47_360
; %bb.345:                              ;   in Loop: Header=BB47_17 Depth=1
	v_cmp_gt_i16_sdwa s[30:31], v8, v19 src0_sel:BYTE_0 src1_sel:DWORD
	s_mov_b64 s[40:41], 0
                                        ; implicit-def: $vcc
                                        ; implicit-def: $sgpr38_sgpr39
                                        ; implicit-def: $vgpr54
	s_and_saveexec_b64 s[34:35], s[30:31]
	s_xor_b64 s[30:31], exec, s[34:35]
	s_cbranch_execz .LBB47_355
; %bb.346:                              ;   in Loop: Header=BB47_17 Depth=1
	v_cmp_gt_i16_sdwa vcc, v8, v20 src0_sel:BYTE_0 src1_sel:DWORD
                                        ; implicit-def: $sgpr38_sgpr39
                                        ; implicit-def: $sgpr34_sgpr35
                                        ; implicit-def: $vgpr54
	s_and_saveexec_b64 s[42:43], vcc
	s_xor_b64 vcc, exec, s[42:43]
	s_cbranch_execz .LBB47_350
; %bb.347:                              ;   in Loop: Header=BB47_17 Depth=1
	v_cmp_eq_u16_sdwa s[42:43], v8, v21 src0_sel:BYTE_0 src1_sel:DWORD
	s_mov_b64 s[34:35], 0
                                        ; implicit-def: $vgpr54
	s_and_saveexec_b64 s[38:39], s[42:43]
	s_cbranch_execz .LBB47_349
; %bb.348:                              ;   in Loop: Header=BB47_17 Depth=1
	flat_load_dword v0, v[0:1]
	s_mov_b64 s[40:41], exec
	s_waitcnt vmcnt(0) lgkmcnt(0)
	v_lshlrev_b32_e32 v54, 16, v0
.LBB47_349:                             ;   in Loop: Header=BB47_17 Depth=1
	s_or_b64 exec, exec, s[38:39]
	s_mov_b64 s[38:39], -1
	s_and_b64 s[40:41], s[40:41], exec
                                        ; implicit-def: $vgpr0_vgpr1
.LBB47_350:                             ;   in Loop: Header=BB47_17 Depth=1
	s_andn2_saveexec_b64 s[42:43], vcc
	s_cbranch_execz .LBB47_354
; %bb.351:                              ;   in Loop: Header=BB47_17 Depth=1
	v_cmp_eq_u16_sdwa s[46:47], v8, v22 src0_sel:BYTE_0 src1_sel:DWORD
	s_mov_b64 vcc, s[40:41]
                                        ; implicit-def: $vgpr54
	s_and_saveexec_b64 s[44:45], s[46:47]
	s_cbranch_execz .LBB47_353
; %bb.352:                              ;   in Loop: Header=BB47_17 Depth=1
	flat_load_ubyte v0, v[0:1]
	s_movk_i32 vcc_lo, 0xff
	s_waitcnt vmcnt(0) lgkmcnt(0)
	v_lshlrev_b32_e32 v1, 23, v0
	v_cmp_ne_u32_e32 vcc, vcc_lo, v0
	v_cndmask_b32_e32 v1, v23, v1, vcc
	v_cmp_ne_u32_e32 vcc, 0, v0
	v_cndmask_b32_e32 v54, v24, v1, vcc
	s_or_b64 vcc, s[40:41], exec
.LBB47_353:                             ;   in Loop: Header=BB47_17 Depth=1
	s_or_b64 exec, exec, s[44:45]
	s_andn2_b64 s[40:41], s[40:41], exec
	s_and_b64 vcc, vcc, exec
	s_or_b64 s[38:39], s[38:39], exec
	s_andn2_b64 s[34:35], s[34:35], exec
	s_or_b64 s[40:41], s[40:41], vcc
.LBB47_354:                             ;   in Loop: Header=BB47_17 Depth=1
	s_or_b64 exec, exec, s[42:43]
	s_and_b64 s[38:39], s[38:39], exec
	s_and_b64 vcc, s[34:35], exec
	s_and_b64 s[40:41], s[40:41], exec
                                        ; implicit-def: $vgpr0_vgpr1
.LBB47_355:                             ;   in Loop: Header=BB47_17 Depth=1
	s_andn2_saveexec_b64 s[30:31], s[30:31]
	s_cbranch_execz .LBB47_359
; %bb.356:                              ;   in Loop: Header=BB47_17 Depth=1
	v_cmp_eq_u16_sdwa s[44:45], v8, v25 src0_sel:BYTE_0 src1_sel:DWORD
	s_mov_b64 s[42:43], s[40:41]
                                        ; implicit-def: $vgpr54
	s_and_saveexec_b64 s[34:35], s[44:45]
	s_cbranch_execz .LBB47_358
; %bb.357:                              ;   in Loop: Header=BB47_17 Depth=1
	flat_load_dwordx2 v[0:1], v[0:1]
	s_or_b64 s[42:43], s[40:41], exec
	s_waitcnt vmcnt(0) lgkmcnt(0)
	v_ffbh_u32_e32 v54, v1
	v_min_u32_e32 v54, 32, v54
	v_lshlrev_b64 v[0:1], v54, v[0:1]
	v_min_u32_e32 v0, 1, v0
	v_or_b32_e32 v0, v1, v0
	v_cvt_f32_u32_e32 v0, v0
	v_sub_u32_e32 v1, 32, v54
	v_ldexp_f32 v54, v0, v1
.LBB47_358:                             ;   in Loop: Header=BB47_17 Depth=1
	s_or_b64 exec, exec, s[34:35]
	s_andn2_b64 s[34:35], s[40:41], exec
	s_and_b64 s[40:41], s[42:43], exec
	s_or_b64 s[38:39], s[38:39], exec
	s_andn2_b64 vcc, vcc, exec
	s_or_b64 s[40:41], s[34:35], s[40:41]
.LBB47_359:                             ;   in Loop: Header=BB47_17 Depth=1
	s_or_b64 exec, exec, s[30:31]
	s_and_b64 s[38:39], s[38:39], exec
	s_and_b64 s[34:35], vcc, exec
	s_and_b64 s[30:31], s[40:41], exec
                                        ; implicit-def: $vgpr0_vgpr1
.LBB47_360:                             ;   in Loop: Header=BB47_17 Depth=1
	s_andn2_saveexec_b64 s[36:37], s[36:37]
	s_cbranch_execz .LBB47_374
; %bb.361:                              ;   in Loop: Header=BB47_17 Depth=1
	v_cmp_gt_i16_sdwa vcc, v8, v26 src0_sel:BYTE_0 src1_sel:DWORD
                                        ; implicit-def: $vgpr54
	s_and_saveexec_b64 s[40:41], vcc
	s_xor_b64 vcc, exec, s[40:41]
	s_cbranch_execz .LBB47_367
; %bb.362:                              ;   in Loop: Header=BB47_17 Depth=1
	v_cmp_gt_i16_sdwa s[40:41], v8, v27 src0_sel:BYTE_0 src1_sel:DWORD
                                        ; implicit-def: $vgpr54
	s_and_saveexec_b64 s[42:43], s[40:41]
	s_xor_b64 s[40:41], exec, s[42:43]
	s_cbranch_execz .LBB47_364
; %bb.363:                              ;   in Loop: Header=BB47_17 Depth=1
	flat_load_dword v0, v[0:1]
	s_waitcnt vmcnt(0) lgkmcnt(0)
	v_cvt_f32_u32_e32 v54, v0
                                        ; implicit-def: $vgpr0_vgpr1
.LBB47_364:                             ;   in Loop: Header=BB47_17 Depth=1
	s_andn2_saveexec_b64 s[40:41], s[40:41]
	s_cbranch_execz .LBB47_366
; %bb.365:                              ;   in Loop: Header=BB47_17 Depth=1
	flat_load_ushort v0, v[0:1]
	s_waitcnt vmcnt(0) lgkmcnt(0)
	v_cvt_f32_u32_e32 v54, v0
.LBB47_366:                             ;   in Loop: Header=BB47_17 Depth=1
	s_or_b64 exec, exec, s[40:41]
                                        ; implicit-def: $vgpr0_vgpr1
.LBB47_367:                             ;   in Loop: Header=BB47_17 Depth=1
	s_andn2_saveexec_b64 s[40:41], vcc
	s_cbranch_execz .LBB47_373
; %bb.368:                              ;   in Loop: Header=BB47_17 Depth=1
	flat_load_ubyte v0, v[0:1]
	s_movk_i32 vcc_lo, 0x7f
	s_mov_b64 s[42:43], 0
                                        ; implicit-def: $sgpr48
	s_waitcnt vmcnt(0) lgkmcnt(0)
	v_cmp_lt_i16_e32 vcc, vcc_lo, v0
	s_and_saveexec_b64 s[44:45], vcc
	s_xor_b64 s[44:45], exec, s[44:45]
	s_cbranch_execnz .LBB47_1211
; %bb.369:                              ;   in Loop: Header=BB47_17 Depth=1
	s_or_saveexec_b64 s[44:45], s[44:45]
	v_mov_b32_e32 v54, s48
	s_xor_b64 exec, exec, s[44:45]
	s_cbranch_execnz .LBB47_1214
.LBB47_370:                             ;   in Loop: Header=BB47_17 Depth=1
	s_or_b64 exec, exec, s[44:45]
	s_and_saveexec_b64 s[44:45], s[42:43]
	s_cbranch_execz .LBB47_372
.LBB47_371:                             ;   in Loop: Header=BB47_17 Depth=1
	v_lshlrev_b32_e32 v1, 24, v0
	v_and_b32_e32 v0, 0xffff, v0
	v_and_b32_e32 v54, 7, v0
	v_ffbh_u32_e32 v65, v54
	v_min_u32_e32 v65, 32, v65
	v_subrev_u32_e32 v66, 28, v65
	v_bfe_u32 v64, v0, 3, 4
	v_lshlrev_b32_e32 v0, v66, v0
	v_sub_u32_e32 v65, 29, v65
	v_and_b32_e32 v0, 7, v0
	v_cmp_eq_u32_e32 vcc, 0, v64
	v_cndmask_b32_e32 v64, v64, v65, vcc
	v_cndmask_b32_e32 v0, v54, v0, vcc
	v_lshlrev_b32_e32 v0, 20, v0
	v_and_b32_e32 v1, 0x80000000, v1
	v_lshl_add_u32 v54, v64, 23, v28
	v_or3_b32 v54, v1, v54, v0
.LBB47_372:                             ;   in Loop: Header=BB47_17 Depth=1
	s_or_b64 exec, exec, s[44:45]
.LBB47_373:                             ;   in Loop: Header=BB47_17 Depth=1
	s_or_b64 exec, exec, s[40:41]
	s_andn2_b64 s[38:39], s[38:39], exec
	s_andn2_b64 s[34:35], s[34:35], exec
	s_or_b64 s[30:31], s[30:31], exec
.LBB47_374:                             ;   in Loop: Header=BB47_17 Depth=1
	s_or_b64 exec, exec, s[36:37]
	s_and_b64 s[36:37], s[38:39], exec
	s_and_b64 s[34:35], s[34:35], exec
	;; [unrolled: 1-line block ×3, first 2 shown]
                                        ; implicit-def: $vgpr0_vgpr1
.LBB47_375:                             ;   in Loop: Header=BB47_17 Depth=1
	s_andn2_saveexec_b64 s[28:29], s[28:29]
	s_cbranch_execz .LBB47_401
; %bb.376:                              ;   in Loop: Header=BB47_17 Depth=1
	v_cmp_gt_i16_sdwa vcc, v8, v29 src0_sel:BYTE_0 src1_sel:DWORD
	s_mov_b64 s[40:41], s[30:31]
                                        ; implicit-def: $vgpr54
	s_and_saveexec_b64 s[38:39], vcc
	s_xor_b64 s[38:39], exec, s[38:39]
	s_cbranch_execz .LBB47_390
; %bb.377:                              ;   in Loop: Header=BB47_17 Depth=1
	v_cmp_gt_i16_sdwa vcc, v8, v30 src0_sel:BYTE_0 src1_sel:DWORD
                                        ; implicit-def: $vgpr54
	s_and_saveexec_b64 s[40:41], vcc
	s_xor_b64 s[40:41], exec, s[40:41]
	s_cbranch_execz .LBB47_387
; %bb.378:                              ;   in Loop: Header=BB47_17 Depth=1
	v_cmp_gt_i16_sdwa vcc, v8, v31 src0_sel:BYTE_0 src1_sel:DWORD
                                        ; implicit-def: $vgpr54
	s_and_saveexec_b64 s[42:43], vcc
	s_xor_b64 s[42:43], exec, s[42:43]
	s_cbranch_execz .LBB47_384
; %bb.379:                              ;   in Loop: Header=BB47_17 Depth=1
	flat_load_ubyte v0, v[0:1]
	s_movk_i32 vcc_lo, 0x7f
	s_mov_b64 s[44:45], 0
                                        ; implicit-def: $sgpr50
	s_waitcnt vmcnt(0) lgkmcnt(0)
	v_cmp_lt_i16_e32 vcc, vcc_lo, v0
	s_and_saveexec_b64 s[46:47], vcc
	s_xor_b64 s[46:47], exec, s[46:47]
	s_cbranch_execnz .LBB47_1430
; %bb.380:                              ;   in Loop: Header=BB47_17 Depth=1
	s_or_saveexec_b64 s[46:47], s[46:47]
	v_mov_b32_e32 v54, s50
	s_xor_b64 exec, exec, s[46:47]
	s_cbranch_execnz .LBB47_1433
.LBB47_381:                             ;   in Loop: Header=BB47_17 Depth=1
	s_or_b64 exec, exec, s[46:47]
	s_and_saveexec_b64 s[46:47], s[44:45]
	s_cbranch_execz .LBB47_383
.LBB47_382:                             ;   in Loop: Header=BB47_17 Depth=1
	v_lshlrev_b32_e32 v1, 24, v0
	v_and_b32_e32 v0, 0xffff, v0
	v_and_b32_e32 v54, 3, v0
	v_ffbh_u32_e32 v65, v54
	v_min_u32_e32 v65, 32, v65
	v_subrev_u32_e32 v66, 29, v65
	v_bfe_u32 v64, v0, 2, 5
	v_lshlrev_b32_e32 v0, v66, v0
	v_sub_u32_e32 v65, 30, v65
	v_and_b32_e32 v0, 3, v0
	v_cmp_eq_u32_e32 vcc, 0, v64
	v_cndmask_b32_e32 v64, v64, v65, vcc
	v_cndmask_b32_e32 v0, v54, v0, vcc
	v_lshlrev_b32_e32 v0, 21, v0
	v_and_b32_e32 v1, 0x80000000, v1
	v_lshl_add_u32 v54, v64, 23, v32
	v_or3_b32 v54, v1, v54, v0
.LBB47_383:                             ;   in Loop: Header=BB47_17 Depth=1
	s_or_b64 exec, exec, s[46:47]
                                        ; implicit-def: $vgpr0_vgpr1
.LBB47_384:                             ;   in Loop: Header=BB47_17 Depth=1
	s_andn2_saveexec_b64 s[42:43], s[42:43]
	s_cbranch_execz .LBB47_386
; %bb.385:                              ;   in Loop: Header=BB47_17 Depth=1
	flat_load_ubyte v0, v[0:1]
	s_mov_b32 vcc_lo, 0x7f800000
	s_waitcnt vmcnt(0) lgkmcnt(0)
	v_lshlrev_b32_e32 v0, 24, v0
	v_and_b32_e32 v1, 0x7f000000, v0
	v_ffbh_u32_e32 v54, v1
	v_min_u32_e32 v54, 32, v54
	v_sub_u32_e64 v54, v54, 4 clamp
	v_lshlrev_b32_e32 v65, v54, v1
	v_lshlrev_b32_e32 v54, 23, v54
	v_lshrrev_b32_e32 v65, 4, v65
	v_add_u32_e32 v64, 0x1000000, v1
	v_sub_u32_e32 v54, v65, v54
	v_ashrrev_i32_e32 v64, 8, v64
	v_add_u32_e32 v54, 0x3c000000, v54
	v_and_or_b32 v54, v64, vcc_lo, v54
	v_cmp_ne_u32_e32 vcc, 0, v1
	v_cndmask_b32_e32 v1, 0, v54, vcc
	s_brev_b32 vcc_lo, 1
	v_and_or_b32 v54, v0, vcc_lo, v1
.LBB47_386:                             ;   in Loop: Header=BB47_17 Depth=1
	s_or_b64 exec, exec, s[42:43]
                                        ; implicit-def: $vgpr0_vgpr1
.LBB47_387:                             ;   in Loop: Header=BB47_17 Depth=1
	s_andn2_saveexec_b64 s[40:41], s[40:41]
	s_cbranch_execz .LBB47_389
; %bb.388:                              ;   in Loop: Header=BB47_17 Depth=1
	flat_load_ubyte v0, v[0:1]
	s_movk_i32 vcc_lo, 0x7f00
	s_waitcnt vmcnt(0) lgkmcnt(0)
	v_lshlrev_b16_e32 v1, 8, v0
	v_lshlrev_b32_e32 v0, 25, v0
	v_lshrrev_b32_e32 v54, 4, v0
	v_and_or_b32 v64, v1, vcc_lo, 0.5
	v_or_b32_e32 v54, 0x70000000, v54
	s_brev_b32 vcc_lo, 16
	v_add_f32_e32 v64, -0.5, v64
	v_mul_f32_e32 v54, 0x7800000, v54
	v_cmp_gt_u32_e32 vcc, vcc_lo, v0
	v_cndmask_b32_e32 v0, v54, v64, vcc
	v_bfe_i32 v1, v1, 0, 16
	s_brev_b32 vcc_lo, 1
	v_and_or_b32 v54, v1, vcc_lo, v0
.LBB47_389:                             ;   in Loop: Header=BB47_17 Depth=1
	s_or_b64 exec, exec, s[40:41]
	s_or_b64 s[40:41], s[30:31], exec
                                        ; implicit-def: $vgpr0_vgpr1
.LBB47_390:                             ;   in Loop: Header=BB47_17 Depth=1
	s_or_saveexec_b64 s[38:39], s[38:39]
                                        ; implicit-def: $vcc
                                        ; implicit-def: $sgpr46_sgpr47
	s_xor_b64 exec, exec, s[38:39]
	s_cbranch_execz .LBB47_400
; %bb.391:                              ;   in Loop: Header=BB47_17 Depth=1
	v_cmp_gt_i16_sdwa vcc, v8, v33 src0_sel:BYTE_0 src1_sel:DWORD
	s_mov_b64 s[44:45], s[40:41]
                                        ; implicit-def: $sgpr46_sgpr47
                                        ; implicit-def: $sgpr42_sgpr43
                                        ; implicit-def: $vgpr54
	s_and_saveexec_b64 s[48:49], vcc
	s_xor_b64 vcc, exec, s[48:49]
	s_cbranch_execz .LBB47_395
; %bb.392:                              ;   in Loop: Header=BB47_17 Depth=1
	v_cmp_eq_u16_sdwa s[46:47], v8, v34 src0_sel:BYTE_0 src1_sel:DWORD
	s_mov_b64 s[44:45], s[40:41]
                                        ; implicit-def: $vgpr54
	s_and_saveexec_b64 s[42:43], s[46:47]
	s_cbranch_execz .LBB47_394
; %bb.393:                              ;   in Loop: Header=BB47_17 Depth=1
	flat_load_ushort v0, v[0:1]
	s_or_b64 s[44:45], s[40:41], exec
	s_waitcnt vmcnt(0) lgkmcnt(0)
	v_lshlrev_b32_e32 v54, 16, v0
.LBB47_394:                             ;   in Loop: Header=BB47_17 Depth=1
	s_or_b64 exec, exec, s[42:43]
	s_andn2_b64 s[48:49], s[40:41], exec
	s_and_b64 s[44:45], s[44:45], exec
	s_mov_b64 s[42:43], 0
	s_mov_b64 s[46:47], -1
	s_or_b64 s[44:45], s[48:49], s[44:45]
                                        ; implicit-def: $vgpr0_vgpr1
.LBB47_395:                             ;   in Loop: Header=BB47_17 Depth=1
	s_andn2_saveexec_b64 s[48:49], vcc
	s_cbranch_execz .LBB47_399
; %bb.396:                              ;   in Loop: Header=BB47_17 Depth=1
	v_cmp_eq_u16_sdwa s[52:53], v8, v35 src0_sel:BYTE_0 src1_sel:DWORD
	s_mov_b64 vcc, s[44:45]
                                        ; implicit-def: $vgpr54
	s_and_saveexec_b64 s[50:51], s[52:53]
	s_cbranch_execz .LBB47_398
; %bb.397:                              ;   in Loop: Header=BB47_17 Depth=1
	flat_load_ubyte v0, v[0:1]
	s_waitcnt vmcnt(0) lgkmcnt(0)
	v_cmp_ne_u16_e32 vcc, 0, v0
	v_cndmask_b32_e64 v54, 0, 1.0, vcc
	s_or_b64 vcc, s[44:45], exec
.LBB47_398:                             ;   in Loop: Header=BB47_17 Depth=1
	s_or_b64 exec, exec, s[50:51]
	s_andn2_b64 s[44:45], s[44:45], exec
	s_and_b64 vcc, vcc, exec
	s_or_b64 s[46:47], s[46:47], exec
	s_andn2_b64 s[42:43], s[42:43], exec
	s_or_b64 s[44:45], s[44:45], vcc
.LBB47_399:                             ;   in Loop: Header=BB47_17 Depth=1
	s_or_b64 exec, exec, s[48:49]
	s_and_b64 vcc, s[42:43], exec
	s_andn2_b64 s[40:41], s[40:41], exec
	s_and_b64 s[42:43], s[44:45], exec
	s_and_b64 s[46:47], s[46:47], exec
	s_or_b64 s[40:41], s[40:41], s[42:43]
.LBB47_400:                             ;   in Loop: Header=BB47_17 Depth=1
	s_or_b64 exec, exec, s[38:39]
	s_andn2_b64 s[34:35], s[34:35], exec
	s_and_b64 vcc, vcc, exec
	s_andn2_b64 s[36:37], s[36:37], exec
	s_and_b64 s[38:39], s[46:47], exec
	s_or_b64 s[34:35], s[34:35], vcc
	s_andn2_b64 vcc, s[30:31], exec
	s_and_b64 s[30:31], s[40:41], exec
	s_or_b64 s[36:37], s[36:37], s[38:39]
	s_or_b64 s[30:31], vcc, s[30:31]
.LBB47_401:                             ;   in Loop: Header=BB47_17 Depth=1
	s_or_b64 exec, exec, s[28:29]
	s_and_b64 vcc, s[36:37], exec
	s_and_b64 s[28:29], s[34:35], exec
	s_and_b64 s[30:31], s[30:31], exec
                                        ; implicit-def: $vgpr0_vgpr1
	s_andn2_saveexec_b64 s[26:27], s[26:27]
	s_cbranch_execz .LBB47_334
.LBB47_402:                             ;   in Loop: Header=BB47_17 Depth=1
	v_cmp_gt_i16_sdwa s[34:35], v8, v36 src0_sel:BYTE_0 src1_sel:DWORD
                                        ; implicit-def: $vgpr54
	s_and_saveexec_b64 s[36:37], s[34:35]
	s_xor_b64 s[34:35], exec, s[36:37]
	s_cbranch_execz .LBB47_424
; %bb.403:                              ;   in Loop: Header=BB47_17 Depth=1
	v_cmp_gt_i16_sdwa s[36:37], v8, v37 src0_sel:BYTE_0 src1_sel:DWORD
                                        ; implicit-def: $vgpr54
	s_and_saveexec_b64 s[38:39], s[36:37]
	s_xor_b64 s[36:37], exec, s[38:39]
	s_cbranch_execz .LBB47_413
; %bb.404:                              ;   in Loop: Header=BB47_17 Depth=1
	;; [unrolled: 6-line block ×4, first 2 shown]
	flat_load_dwordx2 v[0:1], v[0:1]
	s_waitcnt vmcnt(0) lgkmcnt(0)
	v_cvt_f32_f64_e32 v54, v[0:1]
                                        ; implicit-def: $vgpr0_vgpr1
.LBB47_407:                             ;   in Loop: Header=BB47_17 Depth=1
	s_andn2_saveexec_b64 s[40:41], s[40:41]
	s_cbranch_execz .LBB47_409
; %bb.408:                              ;   in Loop: Header=BB47_17 Depth=1
	flat_load_dword v54, v[0:1]
.LBB47_409:                             ;   in Loop: Header=BB47_17 Depth=1
	s_or_b64 exec, exec, s[40:41]
                                        ; implicit-def: $vgpr0_vgpr1
.LBB47_410:                             ;   in Loop: Header=BB47_17 Depth=1
	s_andn2_saveexec_b64 s[38:39], s[38:39]
	s_cbranch_execz .LBB47_412
; %bb.411:                              ;   in Loop: Header=BB47_17 Depth=1
	flat_load_dword v0, v[0:1]
	s_waitcnt vmcnt(0) lgkmcnt(0)
	v_cvt_f32_f16_e32 v54, v0
.LBB47_412:                             ;   in Loop: Header=BB47_17 Depth=1
	s_or_b64 exec, exec, s[38:39]
                                        ; implicit-def: $vgpr0_vgpr1
.LBB47_413:                             ;   in Loop: Header=BB47_17 Depth=1
	s_andn2_saveexec_b64 s[36:37], s[36:37]
	s_cbranch_execz .LBB47_423
; %bb.414:                              ;   in Loop: Header=BB47_17 Depth=1
	v_cmp_gt_i16_sdwa s[38:39], v8, v48 src0_sel:BYTE_0 src1_sel:DWORD
                                        ; implicit-def: $vgpr54
	s_and_saveexec_b64 s[40:41], s[38:39]
	s_xor_b64 s[38:39], exec, s[40:41]
	s_cbranch_execz .LBB47_420
; %bb.415:                              ;   in Loop: Header=BB47_17 Depth=1
	v_cmp_gt_i16_sdwa s[40:41], v8, v49 src0_sel:BYTE_0 src1_sel:DWORD
                                        ; implicit-def: $vgpr54
	s_and_saveexec_b64 s[42:43], s[40:41]
	s_xor_b64 s[40:41], exec, s[42:43]
	s_cbranch_execz .LBB47_417
; %bb.416:                              ;   in Loop: Header=BB47_17 Depth=1
	flat_load_dwordx2 v[0:1], v[0:1]
	s_waitcnt vmcnt(0) lgkmcnt(0)
	v_cvt_f32_f64_e32 v54, v[0:1]
                                        ; implicit-def: $vgpr0_vgpr1
.LBB47_417:                             ;   in Loop: Header=BB47_17 Depth=1
	s_andn2_saveexec_b64 s[40:41], s[40:41]
	s_cbranch_execz .LBB47_419
; %bb.418:                              ;   in Loop: Header=BB47_17 Depth=1
	s_waitcnt vmcnt(0) lgkmcnt(0)
	flat_load_dword v54, v[0:1]
.LBB47_419:                             ;   in Loop: Header=BB47_17 Depth=1
	s_or_b64 exec, exec, s[40:41]
                                        ; implicit-def: $vgpr0_vgpr1
.LBB47_420:                             ;   in Loop: Header=BB47_17 Depth=1
	s_andn2_saveexec_b64 s[38:39], s[38:39]
	s_cbranch_execz .LBB47_422
; %bb.421:                              ;   in Loop: Header=BB47_17 Depth=1
	flat_load_ushort v0, v[0:1]
	s_waitcnt vmcnt(0) lgkmcnt(0)
	v_cvt_f32_f16_e32 v54, v0
.LBB47_422:                             ;   in Loop: Header=BB47_17 Depth=1
	s_or_b64 exec, exec, s[38:39]
.LBB47_423:                             ;   in Loop: Header=BB47_17 Depth=1
	s_or_b64 exec, exec, s[36:37]
                                        ; implicit-def: $vgpr0_vgpr1
.LBB47_424:                             ;   in Loop: Header=BB47_17 Depth=1
	s_andn2_saveexec_b64 s[34:35], s[34:35]
	s_cbranch_execz .LBB47_442
; %bb.425:                              ;   in Loop: Header=BB47_17 Depth=1
	v_cmp_gt_i16_sdwa s[36:37], v8, v50 src0_sel:BYTE_0 src1_sel:DWORD
                                        ; implicit-def: $vgpr54
	s_and_saveexec_b64 s[38:39], s[36:37]
	s_xor_b64 s[36:37], exec, s[38:39]
	s_cbranch_execz .LBB47_435
; %bb.426:                              ;   in Loop: Header=BB47_17 Depth=1
	v_cmp_gt_i16_sdwa s[38:39], v8, v51 src0_sel:BYTE_0 src1_sel:DWORD
                                        ; implicit-def: $vgpr54
	s_and_saveexec_b64 s[40:41], s[38:39]
	s_xor_b64 s[38:39], exec, s[40:41]
	;; [unrolled: 6-line block ×3, first 2 shown]
	s_cbranch_execz .LBB47_429
; %bb.428:                              ;   in Loop: Header=BB47_17 Depth=1
	flat_load_dwordx2 v[0:1], v[0:1]
	s_waitcnt vmcnt(0) lgkmcnt(0)
	v_xor_b32_e32 v64, v0, v1
	v_ffbh_i32_e32 v54, v1
	v_ashrrev_i32_e32 v64, 31, v64
	v_add_u32_e32 v54, -1, v54
	v_add_u32_e32 v64, 32, v64
	v_min_u32_e32 v54, v54, v64
	v_lshlrev_b64 v[0:1], v54, v[0:1]
	v_min_u32_e32 v0, 1, v0
	v_or_b32_e32 v0, v1, v0
	v_cvt_f32_i32_e32 v0, v0
	v_sub_u32_e32 v1, 32, v54
	v_ldexp_f32 v54, v0, v1
                                        ; implicit-def: $vgpr0_vgpr1
.LBB47_429:                             ;   in Loop: Header=BB47_17 Depth=1
	s_andn2_saveexec_b64 s[40:41], s[40:41]
	s_cbranch_execz .LBB47_431
; %bb.430:                              ;   in Loop: Header=BB47_17 Depth=1
	flat_load_dword v0, v[0:1]
	s_waitcnt vmcnt(0) lgkmcnt(0)
	v_cvt_f32_i32_e32 v54, v0
.LBB47_431:                             ;   in Loop: Header=BB47_17 Depth=1
	s_or_b64 exec, exec, s[40:41]
                                        ; implicit-def: $vgpr0_vgpr1
.LBB47_432:                             ;   in Loop: Header=BB47_17 Depth=1
	s_andn2_saveexec_b64 s[38:39], s[38:39]
	s_cbranch_execz .LBB47_434
; %bb.433:                              ;   in Loop: Header=BB47_17 Depth=1
	flat_load_sshort v0, v[0:1]
	s_waitcnt vmcnt(0) lgkmcnt(0)
	v_cvt_f32_i32_e32 v54, v0
.LBB47_434:                             ;   in Loop: Header=BB47_17 Depth=1
	s_or_b64 exec, exec, s[38:39]
                                        ; implicit-def: $vgpr0_vgpr1
.LBB47_435:                             ;   in Loop: Header=BB47_17 Depth=1
	s_andn2_saveexec_b64 s[36:37], s[36:37]
	s_cbranch_execz .LBB47_441
; %bb.436:                              ;   in Loop: Header=BB47_17 Depth=1
	v_cmp_gt_i16_sdwa s[38:39], v8, v14 src0_sel:BYTE_0 src1_sel:DWORD
                                        ; implicit-def: $vgpr54
	s_and_saveexec_b64 s[40:41], s[38:39]
	s_xor_b64 s[38:39], exec, s[40:41]
	s_cbranch_execz .LBB47_438
; %bb.437:                              ;   in Loop: Header=BB47_17 Depth=1
	flat_load_sbyte v0, v[0:1]
	s_waitcnt vmcnt(0) lgkmcnt(0)
	v_cvt_f32_i32_e32 v54, v0
                                        ; implicit-def: $vgpr0_vgpr1
.LBB47_438:                             ;   in Loop: Header=BB47_17 Depth=1
	s_andn2_saveexec_b64 s[38:39], s[38:39]
	s_cbranch_execz .LBB47_440
; %bb.439:                              ;   in Loop: Header=BB47_17 Depth=1
	flat_load_ubyte v0, v[0:1]
	s_waitcnt vmcnt(0) lgkmcnt(0)
	v_cvt_f32_ubyte0_e32 v54, v0
.LBB47_440:                             ;   in Loop: Header=BB47_17 Depth=1
	s_or_b64 exec, exec, s[38:39]
.LBB47_441:                             ;   in Loop: Header=BB47_17 Depth=1
	s_or_b64 exec, exec, s[36:37]
.LBB47_442:                             ;   in Loop: Header=BB47_17 Depth=1
	s_or_b64 exec, exec, s[34:35]
	s_andn2_b64 vcc, vcc, exec
	s_andn2_b64 s[28:29], s[28:29], exec
	s_or_b64 s[30:31], s[30:31], exec
	s_or_b64 exec, exec, s[26:27]
	s_mov_b64 s[26:27], 0
	s_and_saveexec_b64 s[34:35], s[30:31]
	s_cbranch_execnz .LBB47_335
	s_branch .LBB47_336
.LBB47_443:                             ;   in Loop: Header=BB47_17 Depth=1
	v_cmp_gt_i16_sdwa s[22:23], v7, v17 src0_sel:BYTE_0 src1_sel:DWORD
	s_mov_b64 s[34:35], 0
                                        ; implicit-def: $sgpr36_sgpr37
                                        ; implicit-def: $sgpr24_sgpr25
                                        ; implicit-def: $vgpr64
	s_and_saveexec_b64 vcc, s[22:23]
	s_xor_b64 s[22:23], exec, vcc
	s_cbranch_execz .LBB47_475
; %bb.444:                              ;   in Loop: Header=BB47_17 Depth=1
	v_cmp_gt_i16_sdwa s[24:25], v7, v18 src0_sel:BYTE_0 src1_sel:DWORD
                                        ; implicit-def: $sgpr36_sgpr37
                                        ; implicit-def: $sgpr38_sgpr39
                                        ; implicit-def: $vgpr64
	s_and_saveexec_b64 vcc, s[24:25]
	s_xor_b64 s[24:25], exec, vcc
	s_cbranch_execz .LBB47_460
; %bb.445:                              ;   in Loop: Header=BB47_17 Depth=1
	v_cmp_gt_i16_sdwa s[34:35], v7, v19 src0_sel:BYTE_0 src1_sel:DWORD
	s_mov_b64 s[40:41], 0
                                        ; implicit-def: $vcc
                                        ; implicit-def: $sgpr36_sgpr37
                                        ; implicit-def: $vgpr64
	s_and_saveexec_b64 s[38:39], s[34:35]
	s_xor_b64 s[34:35], exec, s[38:39]
	s_cbranch_execz .LBB47_455
; %bb.446:                              ;   in Loop: Header=BB47_17 Depth=1
	v_cmp_gt_i16_sdwa vcc, v7, v20 src0_sel:BYTE_0 src1_sel:DWORD
	s_mov_b64 s[38:39], 0
                                        ; implicit-def: $sgpr36_sgpr37
                                        ; implicit-def: $sgpr40_sgpr41
                                        ; implicit-def: $vgpr64
	s_and_saveexec_b64 s[42:43], vcc
	s_xor_b64 vcc, exec, s[42:43]
	s_cbranch_execz .LBB47_450
; %bb.447:                              ;   in Loop: Header=BB47_17 Depth=1
	v_cmp_eq_u16_sdwa s[42:43], v7, v21 src0_sel:BYTE_0 src1_sel:DWORD
	s_mov_b64 s[36:37], 0
                                        ; implicit-def: $vgpr64
	s_and_saveexec_b64 s[40:41], s[42:43]
	s_cbranch_execz .LBB47_449
; %bb.448:                              ;   in Loop: Header=BB47_17 Depth=1
	flat_load_dword v0, v[0:1]
	s_mov_b64 s[38:39], exec
	s_waitcnt vmcnt(0) lgkmcnt(0)
	v_lshlrev_b32_e32 v64, 16, v0
.LBB47_449:                             ;   in Loop: Header=BB47_17 Depth=1
	s_or_b64 exec, exec, s[40:41]
	s_mov_b64 s[40:41], -1
	s_and_b64 s[38:39], s[38:39], exec
                                        ; implicit-def: $vgpr0_vgpr1
.LBB47_450:                             ;   in Loop: Header=BB47_17 Depth=1
	s_andn2_saveexec_b64 s[42:43], vcc
	s_cbranch_execz .LBB47_454
; %bb.451:                              ;   in Loop: Header=BB47_17 Depth=1
	v_cmp_eq_u16_sdwa s[46:47], v7, v22 src0_sel:BYTE_0 src1_sel:DWORD
	s_mov_b64 vcc, s[38:39]
                                        ; implicit-def: $vgpr64
	s_and_saveexec_b64 s[44:45], s[46:47]
	s_cbranch_execz .LBB47_453
; %bb.452:                              ;   in Loop: Header=BB47_17 Depth=1
	flat_load_ubyte v0, v[0:1]
	s_movk_i32 vcc_lo, 0xff
	s_waitcnt vmcnt(0) lgkmcnt(0)
	v_lshlrev_b32_e32 v1, 23, v0
	v_cmp_ne_u32_e32 vcc, vcc_lo, v0
	v_cndmask_b32_e32 v1, v23, v1, vcc
	v_cmp_ne_u32_e32 vcc, 0, v0
	v_cndmask_b32_e32 v64, v24, v1, vcc
	s_or_b64 vcc, s[38:39], exec
.LBB47_453:                             ;   in Loop: Header=BB47_17 Depth=1
	s_or_b64 exec, exec, s[44:45]
	s_andn2_b64 s[38:39], s[38:39], exec
	s_and_b64 vcc, vcc, exec
	s_andn2_b64 s[36:37], s[36:37], exec
	s_or_b64 s[40:41], s[40:41], exec
	s_or_b64 s[38:39], s[38:39], vcc
.LBB47_454:                             ;   in Loop: Header=BB47_17 Depth=1
	s_or_b64 exec, exec, s[42:43]
	s_and_b64 s[36:37], s[36:37], exec
	s_and_b64 vcc, s[40:41], exec
	s_and_b64 s[40:41], s[38:39], exec
                                        ; implicit-def: $vgpr0_vgpr1
.LBB47_455:                             ;   in Loop: Header=BB47_17 Depth=1
	s_andn2_saveexec_b64 s[34:35], s[34:35]
	s_cbranch_execz .LBB47_459
; %bb.456:                              ;   in Loop: Header=BB47_17 Depth=1
	v_cmp_eq_u16_sdwa s[44:45], v7, v25 src0_sel:BYTE_0 src1_sel:DWORD
	s_mov_b64 s[42:43], s[40:41]
                                        ; implicit-def: $vgpr64
	s_and_saveexec_b64 s[38:39], s[44:45]
	s_cbranch_execz .LBB47_458
; %bb.457:                              ;   in Loop: Header=BB47_17 Depth=1
	flat_load_dwordx2 v[0:1], v[0:1]
	s_or_b64 s[42:43], s[40:41], exec
	s_waitcnt vmcnt(0) lgkmcnt(0)
	v_ffbh_u32_e32 v55, v1
	v_min_u32_e32 v55, 32, v55
	s_waitcnt vmcnt(0) expcnt(0) lgkmcnt(0)
	v_swap_b32 v2, v55
	v_lshlrev_b64 v[0:1], v2, v[0:1]
	v_swap_b32 v55, v2
	v_min_u32_e32 v0, 1, v0
	v_or_b32_e32 v0, v1, v0
	v_cvt_f32_u32_e32 v0, v0
	v_sub_u32_e32 v1, 32, v55
	v_ldexp_f32 v64, v0, v1
.LBB47_458:                             ;   in Loop: Header=BB47_17 Depth=1
	s_or_b64 exec, exec, s[38:39]
	s_andn2_b64 s[38:39], s[40:41], exec
	s_and_b64 s[40:41], s[42:43], exec
	s_andn2_b64 s[36:37], s[36:37], exec
	s_or_b64 vcc, vcc, exec
	s_or_b64 s[40:41], s[38:39], s[40:41]
.LBB47_459:                             ;   in Loop: Header=BB47_17 Depth=1
	s_or_b64 exec, exec, s[34:35]
	s_and_b64 s[38:39], s[36:37], exec
	s_and_b64 s[36:37], vcc, exec
	s_and_b64 s[34:35], s[40:41], exec
                                        ; implicit-def: $vgpr0_vgpr1
.LBB47_460:                             ;   in Loop: Header=BB47_17 Depth=1
	s_andn2_saveexec_b64 s[24:25], s[24:25]
	s_cbranch_execz .LBB47_474
; %bb.461:                              ;   in Loop: Header=BB47_17 Depth=1
	v_cmp_gt_i16_sdwa vcc, v7, v26 src0_sel:BYTE_0 src1_sel:DWORD
                                        ; implicit-def: $vgpr64
	s_and_saveexec_b64 s[40:41], vcc
	s_xor_b64 vcc, exec, s[40:41]
	s_cbranch_execz .LBB47_467
; %bb.462:                              ;   in Loop: Header=BB47_17 Depth=1
	v_cmp_gt_i16_sdwa s[40:41], v7, v27 src0_sel:BYTE_0 src1_sel:DWORD
                                        ; implicit-def: $vgpr64
	s_and_saveexec_b64 s[42:43], s[40:41]
	s_xor_b64 s[40:41], exec, s[42:43]
	s_cbranch_execz .LBB47_464
; %bb.463:                              ;   in Loop: Header=BB47_17 Depth=1
	flat_load_dword v0, v[0:1]
	s_waitcnt vmcnt(0) lgkmcnt(0)
	v_cvt_f32_u32_e32 v64, v0
                                        ; implicit-def: $vgpr0_vgpr1
.LBB47_464:                             ;   in Loop: Header=BB47_17 Depth=1
	s_andn2_saveexec_b64 s[40:41], s[40:41]
	s_cbranch_execz .LBB47_466
; %bb.465:                              ;   in Loop: Header=BB47_17 Depth=1
	flat_load_ushort v0, v[0:1]
	s_waitcnt vmcnt(0) lgkmcnt(0)
	v_cvt_f32_u32_e32 v64, v0
.LBB47_466:                             ;   in Loop: Header=BB47_17 Depth=1
	s_or_b64 exec, exec, s[40:41]
                                        ; implicit-def: $vgpr0_vgpr1
.LBB47_467:                             ;   in Loop: Header=BB47_17 Depth=1
	s_andn2_saveexec_b64 s[40:41], vcc
	s_cbranch_execz .LBB47_473
; %bb.468:                              ;   in Loop: Header=BB47_17 Depth=1
	flat_load_ubyte v0, v[0:1]
	s_movk_i32 vcc_lo, 0x7f
	s_mov_b64 s[42:43], 0
                                        ; implicit-def: $sgpr48
	s_waitcnt vmcnt(0) lgkmcnt(0)
	v_cmp_lt_i16_e32 vcc, vcc_lo, v0
	s_and_saveexec_b64 s[44:45], vcc
	s_xor_b64 s[44:45], exec, s[44:45]
	s_cbranch_execnz .LBB47_1215
; %bb.469:                              ;   in Loop: Header=BB47_17 Depth=1
	s_or_saveexec_b64 s[44:45], s[44:45]
	v_mov_b32_e32 v64, s48
	s_xor_b64 exec, exec, s[44:45]
	s_cbranch_execnz .LBB47_1218
.LBB47_470:                             ;   in Loop: Header=BB47_17 Depth=1
	s_or_b64 exec, exec, s[44:45]
	s_and_saveexec_b64 s[44:45], s[42:43]
	s_cbranch_execz .LBB47_472
.LBB47_471:                             ;   in Loop: Header=BB47_17 Depth=1
	v_lshlrev_b32_e32 v1, 24, v0
	v_and_b32_e32 v0, 0xffff, v0
	v_and_b32_e32 v55, 7, v0
	v_ffbh_u32_e32 v65, v55
	v_min_u32_e32 v65, 32, v65
	v_subrev_u32_e32 v66, 28, v65
	v_bfe_u32 v64, v0, 3, 4
	v_lshlrev_b32_e32 v0, v66, v0
	v_sub_u32_e32 v65, 29, v65
	v_and_b32_e32 v0, 7, v0
	v_cmp_eq_u32_e32 vcc, 0, v64
	v_cndmask_b32_e32 v64, v64, v65, vcc
	v_cndmask_b32_e32 v0, v55, v0, vcc
	v_lshlrev_b32_e32 v0, 20, v0
	v_and_b32_e32 v1, 0x80000000, v1
	v_lshl_add_u32 v55, v64, 23, v28
	v_or3_b32 v64, v1, v55, v0
.LBB47_472:                             ;   in Loop: Header=BB47_17 Depth=1
	s_or_b64 exec, exec, s[44:45]
.LBB47_473:                             ;   in Loop: Header=BB47_17 Depth=1
	s_or_b64 exec, exec, s[40:41]
	s_andn2_b64 s[38:39], s[38:39], exec
	s_andn2_b64 s[36:37], s[36:37], exec
	s_or_b64 s[34:35], s[34:35], exec
.LBB47_474:                             ;   in Loop: Header=BB47_17 Depth=1
	s_or_b64 exec, exec, s[24:25]
	s_and_b64 s[24:25], s[38:39], exec
	s_and_b64 s[36:37], s[36:37], exec
	;; [unrolled: 1-line block ×3, first 2 shown]
                                        ; implicit-def: $vgpr0_vgpr1
.LBB47_475:                             ;   in Loop: Header=BB47_17 Depth=1
	s_andn2_saveexec_b64 s[22:23], s[22:23]
	s_cbranch_execz .LBB47_501
; %bb.476:                              ;   in Loop: Header=BB47_17 Depth=1
	v_cmp_gt_i16_sdwa vcc, v7, v29 src0_sel:BYTE_0 src1_sel:DWORD
	s_mov_b64 s[40:41], s[34:35]
                                        ; implicit-def: $vgpr64
	s_and_saveexec_b64 s[38:39], vcc
	s_xor_b64 s[38:39], exec, s[38:39]
	s_cbranch_execz .LBB47_490
; %bb.477:                              ;   in Loop: Header=BB47_17 Depth=1
	v_cmp_gt_i16_sdwa vcc, v7, v30 src0_sel:BYTE_0 src1_sel:DWORD
                                        ; implicit-def: $vgpr64
	s_and_saveexec_b64 s[40:41], vcc
	s_xor_b64 s[40:41], exec, s[40:41]
	s_cbranch_execz .LBB47_487
; %bb.478:                              ;   in Loop: Header=BB47_17 Depth=1
	v_cmp_gt_i16_sdwa vcc, v7, v31 src0_sel:BYTE_0 src1_sel:DWORD
                                        ; implicit-def: $vgpr64
	s_and_saveexec_b64 s[42:43], vcc
	s_xor_b64 s[42:43], exec, s[42:43]
	s_cbranch_execz .LBB47_484
; %bb.479:                              ;   in Loop: Header=BB47_17 Depth=1
	flat_load_ubyte v0, v[0:1]
	s_movk_i32 vcc_lo, 0x7f
	s_mov_b64 s[44:45], 0
                                        ; implicit-def: $sgpr50
	s_waitcnt vmcnt(0) lgkmcnt(0)
	v_cmp_lt_i16_e32 vcc, vcc_lo, v0
	s_and_saveexec_b64 s[46:47], vcc
	s_xor_b64 s[46:47], exec, s[46:47]
	s_cbranch_execnz .LBB47_1434
; %bb.480:                              ;   in Loop: Header=BB47_17 Depth=1
	s_or_saveexec_b64 s[46:47], s[46:47]
	v_mov_b32_e32 v64, s50
	s_xor_b64 exec, exec, s[46:47]
	s_cbranch_execnz .LBB47_1437
.LBB47_481:                             ;   in Loop: Header=BB47_17 Depth=1
	s_or_b64 exec, exec, s[46:47]
	s_and_saveexec_b64 s[46:47], s[44:45]
	s_cbranch_execz .LBB47_483
.LBB47_482:                             ;   in Loop: Header=BB47_17 Depth=1
	v_lshlrev_b32_e32 v1, 24, v0
	v_and_b32_e32 v0, 0xffff, v0
	v_and_b32_e32 v55, 3, v0
	v_ffbh_u32_e32 v65, v55
	v_min_u32_e32 v65, 32, v65
	v_subrev_u32_e32 v66, 29, v65
	v_bfe_u32 v64, v0, 2, 5
	v_lshlrev_b32_e32 v0, v66, v0
	v_sub_u32_e32 v65, 30, v65
	v_and_b32_e32 v0, 3, v0
	v_cmp_eq_u32_e32 vcc, 0, v64
	v_cndmask_b32_e32 v64, v64, v65, vcc
	v_cndmask_b32_e32 v0, v55, v0, vcc
	v_lshlrev_b32_e32 v0, 21, v0
	v_and_b32_e32 v1, 0x80000000, v1
	v_lshl_add_u32 v55, v64, 23, v32
	v_or3_b32 v64, v1, v55, v0
.LBB47_483:                             ;   in Loop: Header=BB47_17 Depth=1
	s_or_b64 exec, exec, s[46:47]
                                        ; implicit-def: $vgpr0_vgpr1
.LBB47_484:                             ;   in Loop: Header=BB47_17 Depth=1
	s_andn2_saveexec_b64 s[42:43], s[42:43]
	s_cbranch_execz .LBB47_486
; %bb.485:                              ;   in Loop: Header=BB47_17 Depth=1
	flat_load_ubyte v0, v[0:1]
	s_mov_b32 vcc_lo, 0x7f800000
	s_waitcnt vmcnt(0) lgkmcnt(0)
	v_lshlrev_b32_e32 v0, 24, v0
	v_and_b32_e32 v1, 0x7f000000, v0
	v_ffbh_u32_e32 v55, v1
	v_min_u32_e32 v55, 32, v55
	v_sub_u32_e64 v55, v55, 4 clamp
	v_lshlrev_b32_e32 v65, v55, v1
	v_lshlrev_b32_e32 v55, 23, v55
	v_lshrrev_b32_e32 v65, 4, v65
	v_add_u32_e32 v64, 0x1000000, v1
	v_sub_u32_e32 v55, v65, v55
	v_ashrrev_i32_e32 v64, 8, v64
	v_add_u32_e32 v55, 0x3c000000, v55
	v_and_or_b32 v55, v64, vcc_lo, v55
	v_cmp_ne_u32_e32 vcc, 0, v1
	v_cndmask_b32_e32 v1, 0, v55, vcc
	s_brev_b32 vcc_lo, 1
	v_and_or_b32 v64, v0, vcc_lo, v1
.LBB47_486:                             ;   in Loop: Header=BB47_17 Depth=1
	s_or_b64 exec, exec, s[42:43]
                                        ; implicit-def: $vgpr0_vgpr1
.LBB47_487:                             ;   in Loop: Header=BB47_17 Depth=1
	s_andn2_saveexec_b64 s[40:41], s[40:41]
	s_cbranch_execz .LBB47_489
; %bb.488:                              ;   in Loop: Header=BB47_17 Depth=1
	flat_load_ubyte v0, v[0:1]
	s_movk_i32 vcc_lo, 0x7f00
	s_waitcnt vmcnt(0) lgkmcnt(0)
	v_lshlrev_b16_e32 v1, 8, v0
	v_lshlrev_b32_e32 v0, 25, v0
	v_lshrrev_b32_e32 v55, 4, v0
	v_and_or_b32 v64, v1, vcc_lo, 0.5
	v_or_b32_e32 v55, 0x70000000, v55
	s_brev_b32 vcc_lo, 16
	v_add_f32_e32 v64, -0.5, v64
	v_mul_f32_e32 v55, 0x7800000, v55
	v_cmp_gt_u32_e32 vcc, vcc_lo, v0
	v_cndmask_b32_e32 v0, v55, v64, vcc
	v_bfe_i32 v1, v1, 0, 16
	s_brev_b32 vcc_lo, 1
	v_and_or_b32 v64, v1, vcc_lo, v0
.LBB47_489:                             ;   in Loop: Header=BB47_17 Depth=1
	s_or_b64 exec, exec, s[40:41]
	s_or_b64 s[40:41], s[34:35], exec
                                        ; implicit-def: $vgpr0_vgpr1
.LBB47_490:                             ;   in Loop: Header=BB47_17 Depth=1
	s_or_saveexec_b64 s[38:39], s[38:39]
                                        ; implicit-def: $vcc
                                        ; implicit-def: $sgpr46_sgpr47
	s_xor_b64 exec, exec, s[38:39]
	s_cbranch_execz .LBB47_500
; %bb.491:                              ;   in Loop: Header=BB47_17 Depth=1
	v_cmp_gt_i16_sdwa vcc, v7, v33 src0_sel:BYTE_0 src1_sel:DWORD
	s_mov_b64 s[44:45], s[40:41]
                                        ; implicit-def: $sgpr46_sgpr47
                                        ; implicit-def: $sgpr42_sgpr43
                                        ; implicit-def: $vgpr64
	s_and_saveexec_b64 s[48:49], vcc
	s_xor_b64 vcc, exec, s[48:49]
	s_cbranch_execz .LBB47_495
; %bb.492:                              ;   in Loop: Header=BB47_17 Depth=1
	v_cmp_eq_u16_sdwa s[46:47], v7, v34 src0_sel:BYTE_0 src1_sel:DWORD
	s_mov_b64 s[44:45], s[40:41]
                                        ; implicit-def: $vgpr64
	s_and_saveexec_b64 s[42:43], s[46:47]
	s_cbranch_execz .LBB47_494
; %bb.493:                              ;   in Loop: Header=BB47_17 Depth=1
	flat_load_ushort v0, v[0:1]
	s_or_b64 s[44:45], s[40:41], exec
	s_waitcnt vmcnt(0) lgkmcnt(0)
	v_lshlrev_b32_e32 v64, 16, v0
.LBB47_494:                             ;   in Loop: Header=BB47_17 Depth=1
	s_or_b64 exec, exec, s[42:43]
	s_andn2_b64 s[48:49], s[40:41], exec
	s_and_b64 s[44:45], s[44:45], exec
	s_mov_b64 s[42:43], -1
	s_mov_b64 s[46:47], 0
	s_or_b64 s[44:45], s[48:49], s[44:45]
                                        ; implicit-def: $vgpr0_vgpr1
.LBB47_495:                             ;   in Loop: Header=BB47_17 Depth=1
	s_andn2_saveexec_b64 s[48:49], vcc
	s_cbranch_execz .LBB47_499
; %bb.496:                              ;   in Loop: Header=BB47_17 Depth=1
	v_cmp_eq_u16_sdwa s[52:53], v7, v35 src0_sel:BYTE_0 src1_sel:DWORD
	s_mov_b64 vcc, s[44:45]
                                        ; implicit-def: $vgpr64
	s_and_saveexec_b64 s[50:51], s[52:53]
	s_cbranch_execz .LBB47_498
; %bb.497:                              ;   in Loop: Header=BB47_17 Depth=1
	flat_load_ubyte v0, v[0:1]
	s_waitcnt vmcnt(0) lgkmcnt(0)
	v_cmp_ne_u16_e32 vcc, 0, v0
	v_cndmask_b32_e64 v64, 0, 1.0, vcc
	s_or_b64 vcc, s[44:45], exec
.LBB47_498:                             ;   in Loop: Header=BB47_17 Depth=1
	s_or_b64 exec, exec, s[50:51]
	s_andn2_b64 s[44:45], s[44:45], exec
	s_and_b64 vcc, vcc, exec
	s_andn2_b64 s[46:47], s[46:47], exec
	s_or_b64 s[42:43], s[42:43], exec
	s_or_b64 s[44:45], s[44:45], vcc
.LBB47_499:                             ;   in Loop: Header=BB47_17 Depth=1
	s_or_b64 exec, exec, s[48:49]
	s_and_b64 vcc, s[42:43], exec
	s_andn2_b64 s[40:41], s[40:41], exec
	s_and_b64 s[42:43], s[44:45], exec
	s_and_b64 s[46:47], s[46:47], exec
	s_or_b64 s[40:41], s[40:41], s[42:43]
.LBB47_500:                             ;   in Loop: Header=BB47_17 Depth=1
	s_or_b64 exec, exec, s[38:39]
	s_andn2_b64 s[36:37], s[36:37], exec
	s_and_b64 vcc, vcc, exec
	s_andn2_b64 s[24:25], s[24:25], exec
	s_and_b64 s[38:39], s[46:47], exec
	s_or_b64 s[36:37], s[36:37], vcc
	s_andn2_b64 vcc, s[34:35], exec
	s_and_b64 s[34:35], s[40:41], exec
	s_or_b64 s[24:25], s[24:25], s[38:39]
	s_or_b64 s[34:35], vcc, s[34:35]
.LBB47_501:                             ;   in Loop: Header=BB47_17 Depth=1
	s_or_b64 exec, exec, s[22:23]
	s_and_b64 s[24:25], s[24:25], exec
	s_and_b64 s[22:23], s[36:37], exec
	s_and_b64 vcc, s[34:35], exec
                                        ; implicit-def: $vgpr0_vgpr1
	s_andn2_saveexec_b64 s[30:31], s[30:31]
	s_cbranch_execz .LBB47_342
.LBB47_502:                             ;   in Loop: Header=BB47_17 Depth=1
	v_cmp_gt_i16_sdwa s[34:35], v7, v36 src0_sel:BYTE_0 src1_sel:DWORD
                                        ; implicit-def: $vgpr64
	s_and_saveexec_b64 s[36:37], s[34:35]
	s_xor_b64 s[34:35], exec, s[36:37]
	s_cbranch_execz .LBB47_524
; %bb.503:                              ;   in Loop: Header=BB47_17 Depth=1
	v_cmp_gt_i16_sdwa s[36:37], v7, v37 src0_sel:BYTE_0 src1_sel:DWORD
                                        ; implicit-def: $vgpr64
	s_and_saveexec_b64 s[38:39], s[36:37]
	s_xor_b64 s[36:37], exec, s[38:39]
	s_cbranch_execz .LBB47_513
; %bb.504:                              ;   in Loop: Header=BB47_17 Depth=1
	;; [unrolled: 6-line block ×4, first 2 shown]
	flat_load_dwordx2 v[0:1], v[0:1]
	s_waitcnt vmcnt(0) lgkmcnt(0)
	v_cvt_f32_f64_e32 v64, v[0:1]
                                        ; implicit-def: $vgpr0_vgpr1
.LBB47_507:                             ;   in Loop: Header=BB47_17 Depth=1
	s_andn2_saveexec_b64 s[40:41], s[40:41]
	s_cbranch_execz .LBB47_509
; %bb.508:                              ;   in Loop: Header=BB47_17 Depth=1
	flat_load_dword v64, v[0:1]
.LBB47_509:                             ;   in Loop: Header=BB47_17 Depth=1
	s_or_b64 exec, exec, s[40:41]
                                        ; implicit-def: $vgpr0_vgpr1
.LBB47_510:                             ;   in Loop: Header=BB47_17 Depth=1
	s_andn2_saveexec_b64 s[38:39], s[38:39]
	s_cbranch_execz .LBB47_512
; %bb.511:                              ;   in Loop: Header=BB47_17 Depth=1
	flat_load_dword v0, v[0:1]
	s_waitcnt vmcnt(0) lgkmcnt(0)
	v_cvt_f32_f16_e32 v64, v0
.LBB47_512:                             ;   in Loop: Header=BB47_17 Depth=1
	s_or_b64 exec, exec, s[38:39]
                                        ; implicit-def: $vgpr0_vgpr1
.LBB47_513:                             ;   in Loop: Header=BB47_17 Depth=1
	s_andn2_saveexec_b64 s[36:37], s[36:37]
	s_cbranch_execz .LBB47_523
; %bb.514:                              ;   in Loop: Header=BB47_17 Depth=1
	v_cmp_gt_i16_sdwa s[38:39], v7, v48 src0_sel:BYTE_0 src1_sel:DWORD
                                        ; implicit-def: $vgpr64
	s_and_saveexec_b64 s[40:41], s[38:39]
	s_xor_b64 s[38:39], exec, s[40:41]
	s_cbranch_execz .LBB47_520
; %bb.515:                              ;   in Loop: Header=BB47_17 Depth=1
	v_cmp_gt_i16_sdwa s[40:41], v7, v49 src0_sel:BYTE_0 src1_sel:DWORD
                                        ; implicit-def: $vgpr64
	s_and_saveexec_b64 s[42:43], s[40:41]
	s_xor_b64 s[40:41], exec, s[42:43]
	s_cbranch_execz .LBB47_517
; %bb.516:                              ;   in Loop: Header=BB47_17 Depth=1
	flat_load_dwordx2 v[0:1], v[0:1]
	s_waitcnt vmcnt(0) lgkmcnt(0)
	v_cvt_f32_f64_e32 v64, v[0:1]
                                        ; implicit-def: $vgpr0_vgpr1
.LBB47_517:                             ;   in Loop: Header=BB47_17 Depth=1
	s_andn2_saveexec_b64 s[40:41], s[40:41]
	s_cbranch_execz .LBB47_519
; %bb.518:                              ;   in Loop: Header=BB47_17 Depth=1
	s_waitcnt vmcnt(0) lgkmcnt(0)
	flat_load_dword v64, v[0:1]
.LBB47_519:                             ;   in Loop: Header=BB47_17 Depth=1
	s_or_b64 exec, exec, s[40:41]
                                        ; implicit-def: $vgpr0_vgpr1
.LBB47_520:                             ;   in Loop: Header=BB47_17 Depth=1
	s_andn2_saveexec_b64 s[38:39], s[38:39]
	s_cbranch_execz .LBB47_522
; %bb.521:                              ;   in Loop: Header=BB47_17 Depth=1
	flat_load_ushort v0, v[0:1]
	s_waitcnt vmcnt(0) lgkmcnt(0)
	v_cvt_f32_f16_e32 v64, v0
.LBB47_522:                             ;   in Loop: Header=BB47_17 Depth=1
	s_or_b64 exec, exec, s[38:39]
.LBB47_523:                             ;   in Loop: Header=BB47_17 Depth=1
	s_or_b64 exec, exec, s[36:37]
                                        ; implicit-def: $vgpr0_vgpr1
.LBB47_524:                             ;   in Loop: Header=BB47_17 Depth=1
	s_andn2_saveexec_b64 s[34:35], s[34:35]
	s_cbranch_execz .LBB47_542
; %bb.525:                              ;   in Loop: Header=BB47_17 Depth=1
	v_cmp_gt_i16_sdwa s[36:37], v7, v50 src0_sel:BYTE_0 src1_sel:DWORD
                                        ; implicit-def: $vgpr64
	s_and_saveexec_b64 s[38:39], s[36:37]
	s_xor_b64 s[36:37], exec, s[38:39]
	s_cbranch_execz .LBB47_535
; %bb.526:                              ;   in Loop: Header=BB47_17 Depth=1
	v_cmp_gt_i16_sdwa s[38:39], v7, v51 src0_sel:BYTE_0 src1_sel:DWORD
                                        ; implicit-def: $vgpr64
	s_and_saveexec_b64 s[40:41], s[38:39]
	s_xor_b64 s[38:39], exec, s[40:41]
	;; [unrolled: 6-line block ×3, first 2 shown]
	s_cbranch_execz .LBB47_529
; %bb.528:                              ;   in Loop: Header=BB47_17 Depth=1
	flat_load_dwordx2 v[0:1], v[0:1]
	s_waitcnt vmcnt(0) lgkmcnt(0)
	v_xor_b32_e32 v64, v0, v1
	v_ffbh_i32_e32 v55, v1
	v_ashrrev_i32_e32 v64, 31, v64
	v_add_u32_e32 v55, -1, v55
	v_add_u32_e32 v64, 32, v64
	v_min_u32_e32 v55, v55, v64
	s_waitcnt vmcnt(0) expcnt(0) lgkmcnt(0)
	v_swap_b32 v2, v55
	v_lshlrev_b64 v[0:1], v2, v[0:1]
	v_swap_b32 v55, v2
	v_min_u32_e32 v0, 1, v0
	v_or_b32_e32 v0, v1, v0
	v_cvt_f32_i32_e32 v0, v0
	v_sub_u32_e32 v1, 32, v55
	v_ldexp_f32 v64, v0, v1
                                        ; implicit-def: $vgpr0_vgpr1
.LBB47_529:                             ;   in Loop: Header=BB47_17 Depth=1
	s_andn2_saveexec_b64 s[40:41], s[40:41]
	s_cbranch_execz .LBB47_531
; %bb.530:                              ;   in Loop: Header=BB47_17 Depth=1
	flat_load_dword v0, v[0:1]
	s_waitcnt vmcnt(0) lgkmcnt(0)
	v_cvt_f32_i32_e32 v64, v0
.LBB47_531:                             ;   in Loop: Header=BB47_17 Depth=1
	s_or_b64 exec, exec, s[40:41]
                                        ; implicit-def: $vgpr0_vgpr1
.LBB47_532:                             ;   in Loop: Header=BB47_17 Depth=1
	s_andn2_saveexec_b64 s[38:39], s[38:39]
	s_cbranch_execz .LBB47_534
; %bb.533:                              ;   in Loop: Header=BB47_17 Depth=1
	flat_load_sshort v0, v[0:1]
	s_waitcnt vmcnt(0) lgkmcnt(0)
	v_cvt_f32_i32_e32 v64, v0
.LBB47_534:                             ;   in Loop: Header=BB47_17 Depth=1
	s_or_b64 exec, exec, s[38:39]
                                        ; implicit-def: $vgpr0_vgpr1
.LBB47_535:                             ;   in Loop: Header=BB47_17 Depth=1
	s_andn2_saveexec_b64 s[36:37], s[36:37]
	s_cbranch_execz .LBB47_541
; %bb.536:                              ;   in Loop: Header=BB47_17 Depth=1
	v_cmp_gt_i16_sdwa s[38:39], v7, v14 src0_sel:BYTE_0 src1_sel:DWORD
                                        ; implicit-def: $vgpr64
	s_and_saveexec_b64 s[40:41], s[38:39]
	s_xor_b64 s[38:39], exec, s[40:41]
	s_cbranch_execz .LBB47_538
; %bb.537:                              ;   in Loop: Header=BB47_17 Depth=1
	flat_load_sbyte v0, v[0:1]
	s_waitcnt vmcnt(0) lgkmcnt(0)
	v_cvt_f32_i32_e32 v64, v0
                                        ; implicit-def: $vgpr0_vgpr1
.LBB47_538:                             ;   in Loop: Header=BB47_17 Depth=1
	s_andn2_saveexec_b64 s[38:39], s[38:39]
	s_cbranch_execz .LBB47_540
; %bb.539:                              ;   in Loop: Header=BB47_17 Depth=1
	flat_load_ubyte v0, v[0:1]
	s_waitcnt vmcnt(0) lgkmcnt(0)
	v_cvt_f32_ubyte0_e32 v64, v0
.LBB47_540:                             ;   in Loop: Header=BB47_17 Depth=1
	s_or_b64 exec, exec, s[38:39]
.LBB47_541:                             ;   in Loop: Header=BB47_17 Depth=1
	s_or_b64 exec, exec, s[36:37]
.LBB47_542:                             ;   in Loop: Header=BB47_17 Depth=1
	s_or_b64 exec, exec, s[34:35]
	s_andn2_b64 s[24:25], s[24:25], exec
	s_andn2_b64 s[22:23], s[22:23], exec
	s_or_b64 vcc, vcc, exec
	s_or_b64 exec, exec, s[30:31]
	s_mov_b64 s[34:35], 0
	s_and_saveexec_b64 s[30:31], vcc
	s_cbranch_execz .LBB47_548
.LBB47_543:                             ;   in Loop: Header=BB47_17 Depth=1
	v_mul_lo_u32 v0, v54, v10
	v_readlane_b32 s34, v44, 0
	v_add_co_u32_e32 v0, vcc, v4, v0
	v_add_u32_e32 v55, s34, v15
	v_addc_co_u32_e32 v1, vcc, 0, v5, vcc
	v_cmp_gt_i16_sdwa s[34:35], v8, v16 src0_sel:BYTE_0 src1_sel:DWORD
	s_mov_b64 s[38:39], 0
	s_waitcnt vmcnt(0) lgkmcnt(0)
	buffer_store_dword v64, v55, s[0:3], 0 offen offset:20
                                        ; implicit-def: $vcc
                                        ; implicit-def: $sgpr36_sgpr37
                                        ; implicit-def: $vgpr54
	s_and_saveexec_b64 s[40:41], s[34:35]
	s_xor_b64 s[34:35], exec, s[40:41]
	s_cbranch_execnz .LBB47_554
; %bb.544:                              ;   in Loop: Header=BB47_17 Depth=1
	s_andn2_saveexec_b64 s[34:35], s[34:35]
	s_cbranch_execnz .LBB47_613
.LBB47_545:                             ;   in Loop: Header=BB47_17 Depth=1
	s_or_b64 exec, exec, s[34:35]
	s_mov_b64 s[34:35], 0
	s_and_saveexec_b64 s[40:41], s[38:39]
	s_cbranch_execz .LBB47_547
.LBB47_546:                             ;   in Loop: Header=BB47_17 Depth=1
	s_mov_b64 s[34:35], exec
	v_add_u32_e32 v53, 0x200, v53
	s_andn2_b64 s[36:37], s[36:37], exec
	s_andn2_b64 vcc, vcc, exec
	s_waitcnt vmcnt(0) lgkmcnt(0)
	buffer_store_dword v54, v55, s[0:3], 0 offen offset:16
.LBB47_547:                             ;   in Loop: Header=BB47_17 Depth=1
	s_or_b64 exec, exec, s[40:41]
	s_andn2_b64 s[24:25], s[24:25], exec
	s_and_b64 s[36:37], s[36:37], exec
	s_andn2_b64 s[22:23], s[22:23], exec
	s_and_b64 vcc, vcc, exec
	s_or_b64 s[24:25], s[24:25], s[36:37]
	s_or_b64 s[22:23], s[22:23], vcc
	s_and_b64 s[34:35], s[34:35], exec
.LBB47_548:                             ;   in Loop: Header=BB47_17 Depth=1
	s_or_b64 exec, exec, s[30:31]
	s_and_b64 s[24:25], s[24:25], exec
	s_and_b64 s[22:23], s[22:23], exec
	s_orn2_b64 s[30:31], s[34:35], exec
.LBB47_549:                             ;   in Loop: Header=BB47_17 Depth=1
	s_or_b64 exec, exec, s[26:27]
	s_and_saveexec_b64 s[26:27], s[30:31]
	s_cbranch_execz .LBB47_14
; %bb.550:                              ;   in Loop: Header=BB47_17 Depth=1
	v_cmp_lt_i32_e32 vcc, v53, v6
	s_mov_b64 s[36:37], -1
	s_mov_b64 s[38:39], -1
                                        ; implicit-def: $sgpr28_sgpr29
                                        ; implicit-def: $sgpr30_sgpr31
	s_and_saveexec_b64 s[34:35], vcc
	s_cbranch_execz .LBB47_760
; %bb.551:                              ;   in Loop: Header=BB47_17 Depth=1
	v_readlane_b32 s28, v44, 1
	s_waitcnt vmcnt(0) lgkmcnt(0)
	v_add_u32_e32 v54, s28, v53
	v_mul_lo_u32 v0, v54, v9
	v_add_co_u32_e32 v0, vcc, v2, v0
	v_addc_co_u32_e32 v1, vcc, 0, v3, vcc
	v_cmp_gt_i16_sdwa s[38:39], v7, v16 src0_sel:BYTE_0 src1_sel:DWORD
	s_mov_b64 vcc, 0
                                        ; implicit-def: $sgpr28_sgpr29
                                        ; implicit-def: $sgpr30_sgpr31
                                        ; implicit-def: $vgpr64
	s_and_saveexec_b64 s[40:41], s[38:39]
	s_xor_b64 s[38:39], exec, s[40:41]
	s_cbranch_execnz .LBB47_654
; %bb.552:                              ;   in Loop: Header=BB47_17 Depth=1
	s_andn2_saveexec_b64 s[38:39], s[38:39]
	s_cbranch_execnz .LBB47_713
.LBB47_553:                             ;   in Loop: Header=BB47_17 Depth=1
	s_or_b64 exec, exec, s[38:39]
	s_mov_b64 s[40:41], 0
	s_and_saveexec_b64 s[38:39], vcc
	s_cbranch_execnz .LBB47_754
	s_branch .LBB47_759
.LBB47_554:                             ;   in Loop: Header=BB47_17 Depth=1
	v_cmp_gt_i16_sdwa vcc, v8, v17 src0_sel:BYTE_0 src1_sel:DWORD
                                        ; implicit-def: $sgpr40_sgpr41
                                        ; implicit-def: $sgpr42_sgpr43
                                        ; implicit-def: $vgpr54
	s_and_saveexec_b64 s[36:37], vcc
	s_xor_b64 s[36:37], exec, s[36:37]
	s_cbranch_execz .LBB47_586
; %bb.555:                              ;   in Loop: Header=BB47_17 Depth=1
	v_cmp_gt_i16_sdwa vcc, v8, v18 src0_sel:BYTE_0 src1_sel:DWORD
                                        ; implicit-def: $sgpr40_sgpr41
                                        ; implicit-def: $sgpr44_sgpr45
                                        ; implicit-def: $vgpr54
	s_and_saveexec_b64 s[42:43], vcc
	s_xor_b64 s[42:43], exec, s[42:43]
	s_cbranch_execz .LBB47_571
; %bb.556:                              ;   in Loop: Header=BB47_17 Depth=1
	v_cmp_gt_i16_sdwa s[38:39], v8, v19 src0_sel:BYTE_0 src1_sel:DWORD
	s_mov_b64 s[46:47], 0
                                        ; implicit-def: $vcc
                                        ; implicit-def: $sgpr44_sgpr45
                                        ; implicit-def: $vgpr54
	s_and_saveexec_b64 s[40:41], s[38:39]
	s_xor_b64 s[38:39], exec, s[40:41]
	s_cbranch_execz .LBB47_566
; %bb.557:                              ;   in Loop: Header=BB47_17 Depth=1
	v_cmp_gt_i16_sdwa vcc, v8, v20 src0_sel:BYTE_0 src1_sel:DWORD
                                        ; implicit-def: $sgpr44_sgpr45
                                        ; implicit-def: $sgpr40_sgpr41
                                        ; implicit-def: $vgpr54
	s_and_saveexec_b64 s[48:49], vcc
	s_xor_b64 vcc, exec, s[48:49]
	s_cbranch_execz .LBB47_561
; %bb.558:                              ;   in Loop: Header=BB47_17 Depth=1
	v_cmp_eq_u16_sdwa s[48:49], v8, v21 src0_sel:BYTE_0 src1_sel:DWORD
	s_mov_b64 s[40:41], 0
                                        ; implicit-def: $vgpr54
	s_and_saveexec_b64 s[44:45], s[48:49]
	s_cbranch_execz .LBB47_560
; %bb.559:                              ;   in Loop: Header=BB47_17 Depth=1
	flat_load_dword v0, v[0:1]
	s_mov_b64 s[46:47], exec
	s_waitcnt vmcnt(0) lgkmcnt(0)
	v_lshlrev_b32_e32 v54, 16, v0
.LBB47_560:                             ;   in Loop: Header=BB47_17 Depth=1
	s_or_b64 exec, exec, s[44:45]
	s_mov_b64 s[44:45], -1
	s_and_b64 s[46:47], s[46:47], exec
                                        ; implicit-def: $vgpr0_vgpr1
.LBB47_561:                             ;   in Loop: Header=BB47_17 Depth=1
	s_andn2_saveexec_b64 s[48:49], vcc
	s_cbranch_execz .LBB47_565
; %bb.562:                              ;   in Loop: Header=BB47_17 Depth=1
	v_cmp_eq_u16_sdwa s[52:53], v8, v22 src0_sel:BYTE_0 src1_sel:DWORD
	s_mov_b64 vcc, s[46:47]
                                        ; implicit-def: $vgpr54
	s_and_saveexec_b64 s[50:51], s[52:53]
	s_cbranch_execz .LBB47_564
; %bb.563:                              ;   in Loop: Header=BB47_17 Depth=1
	flat_load_ubyte v0, v[0:1]
	s_movk_i32 vcc_lo, 0xff
	s_waitcnt vmcnt(0) lgkmcnt(0)
	v_lshlrev_b32_e32 v1, 23, v0
	v_cmp_ne_u32_e32 vcc, vcc_lo, v0
	v_cndmask_b32_e32 v1, v23, v1, vcc
	v_cmp_ne_u32_e32 vcc, 0, v0
	v_cndmask_b32_e32 v54, v24, v1, vcc
	s_or_b64 vcc, s[46:47], exec
.LBB47_564:                             ;   in Loop: Header=BB47_17 Depth=1
	s_or_b64 exec, exec, s[50:51]
	s_andn2_b64 s[46:47], s[46:47], exec
	s_and_b64 vcc, vcc, exec
	s_or_b64 s[44:45], s[44:45], exec
	s_andn2_b64 s[40:41], s[40:41], exec
	s_or_b64 s[46:47], s[46:47], vcc
.LBB47_565:                             ;   in Loop: Header=BB47_17 Depth=1
	s_or_b64 exec, exec, s[48:49]
	s_and_b64 s[44:45], s[44:45], exec
	s_and_b64 vcc, s[40:41], exec
	s_and_b64 s[46:47], s[46:47], exec
                                        ; implicit-def: $vgpr0_vgpr1
.LBB47_566:                             ;   in Loop: Header=BB47_17 Depth=1
	s_andn2_saveexec_b64 s[38:39], s[38:39]
	s_cbranch_execz .LBB47_570
; %bb.567:                              ;   in Loop: Header=BB47_17 Depth=1
	v_cmp_eq_u16_sdwa s[50:51], v8, v25 src0_sel:BYTE_0 src1_sel:DWORD
	s_mov_b64 s[48:49], s[46:47]
                                        ; implicit-def: $vgpr54
	s_and_saveexec_b64 s[40:41], s[50:51]
	s_cbranch_execz .LBB47_569
; %bb.568:                              ;   in Loop: Header=BB47_17 Depth=1
	flat_load_dwordx2 v[0:1], v[0:1]
	s_or_b64 s[48:49], s[46:47], exec
	s_waitcnt vmcnt(0) lgkmcnt(0)
	v_ffbh_u32_e32 v54, v1
	v_min_u32_e32 v54, 32, v54
	v_lshlrev_b64 v[0:1], v54, v[0:1]
	v_min_u32_e32 v0, 1, v0
	v_or_b32_e32 v0, v1, v0
	v_cvt_f32_u32_e32 v0, v0
	v_sub_u32_e32 v1, 32, v54
	v_ldexp_f32 v54, v0, v1
.LBB47_569:                             ;   in Loop: Header=BB47_17 Depth=1
	s_or_b64 exec, exec, s[40:41]
	s_andn2_b64 s[40:41], s[46:47], exec
	s_and_b64 s[46:47], s[48:49], exec
	s_or_b64 s[44:45], s[44:45], exec
	s_andn2_b64 vcc, vcc, exec
	s_or_b64 s[46:47], s[40:41], s[46:47]
.LBB47_570:                             ;   in Loop: Header=BB47_17 Depth=1
	s_or_b64 exec, exec, s[38:39]
	s_and_b64 s[44:45], s[44:45], exec
	s_and_b64 s[40:41], vcc, exec
	s_and_b64 s[38:39], s[46:47], exec
                                        ; implicit-def: $vgpr0_vgpr1
.LBB47_571:                             ;   in Loop: Header=BB47_17 Depth=1
	s_andn2_saveexec_b64 s[42:43], s[42:43]
	s_cbranch_execz .LBB47_585
; %bb.572:                              ;   in Loop: Header=BB47_17 Depth=1
	v_cmp_gt_i16_sdwa vcc, v8, v26 src0_sel:BYTE_0 src1_sel:DWORD
                                        ; implicit-def: $vgpr54
	s_and_saveexec_b64 s[46:47], vcc
	s_xor_b64 vcc, exec, s[46:47]
	s_cbranch_execz .LBB47_578
; %bb.573:                              ;   in Loop: Header=BB47_17 Depth=1
	v_cmp_gt_i16_sdwa s[46:47], v8, v27 src0_sel:BYTE_0 src1_sel:DWORD
                                        ; implicit-def: $vgpr54
	s_and_saveexec_b64 s[48:49], s[46:47]
	s_xor_b64 s[46:47], exec, s[48:49]
	s_cbranch_execz .LBB47_575
; %bb.574:                              ;   in Loop: Header=BB47_17 Depth=1
	flat_load_dword v0, v[0:1]
	s_waitcnt vmcnt(0) lgkmcnt(0)
	v_cvt_f32_u32_e32 v54, v0
                                        ; implicit-def: $vgpr0_vgpr1
.LBB47_575:                             ;   in Loop: Header=BB47_17 Depth=1
	s_andn2_saveexec_b64 s[46:47], s[46:47]
	s_cbranch_execz .LBB47_577
; %bb.576:                              ;   in Loop: Header=BB47_17 Depth=1
	flat_load_ushort v0, v[0:1]
	s_waitcnt vmcnt(0) lgkmcnt(0)
	v_cvt_f32_u32_e32 v54, v0
.LBB47_577:                             ;   in Loop: Header=BB47_17 Depth=1
	s_or_b64 exec, exec, s[46:47]
                                        ; implicit-def: $vgpr0_vgpr1
.LBB47_578:                             ;   in Loop: Header=BB47_17 Depth=1
	s_andn2_saveexec_b64 s[46:47], vcc
	s_cbranch_execz .LBB47_584
; %bb.579:                              ;   in Loop: Header=BB47_17 Depth=1
	flat_load_ubyte v0, v[0:1]
	s_movk_i32 vcc_lo, 0x7f
	s_mov_b64 s[48:49], 0
                                        ; implicit-def: $sgpr54
	s_waitcnt vmcnt(0) lgkmcnt(0)
	v_cmp_lt_i16_e32 vcc, vcc_lo, v0
	s_and_saveexec_b64 s[50:51], vcc
	s_xor_b64 s[50:51], exec, s[50:51]
	s_cbranch_execnz .LBB47_1438
; %bb.580:                              ;   in Loop: Header=BB47_17 Depth=1
	s_or_saveexec_b64 s[50:51], s[50:51]
	v_mov_b32_e32 v54, s54
	s_xor_b64 exec, exec, s[50:51]
	s_cbranch_execnz .LBB47_1441
.LBB47_581:                             ;   in Loop: Header=BB47_17 Depth=1
	s_or_b64 exec, exec, s[50:51]
	s_and_saveexec_b64 s[50:51], s[48:49]
	s_cbranch_execz .LBB47_583
.LBB47_582:                             ;   in Loop: Header=BB47_17 Depth=1
	v_lshlrev_b32_e32 v1, 24, v0
	v_and_b32_e32 v0, 0xffff, v0
	v_and_b32_e32 v54, 7, v0
	v_ffbh_u32_e32 v65, v54
	v_min_u32_e32 v65, 32, v65
	v_subrev_u32_e32 v66, 28, v65
	v_bfe_u32 v64, v0, 3, 4
	v_lshlrev_b32_e32 v0, v66, v0
	v_sub_u32_e32 v65, 29, v65
	v_and_b32_e32 v0, 7, v0
	v_cmp_eq_u32_e32 vcc, 0, v64
	v_cndmask_b32_e32 v64, v64, v65, vcc
	v_cndmask_b32_e32 v0, v54, v0, vcc
	v_lshlrev_b32_e32 v0, 20, v0
	v_and_b32_e32 v1, 0x80000000, v1
	v_lshl_add_u32 v54, v64, 23, v28
	v_or3_b32 v54, v1, v54, v0
.LBB47_583:                             ;   in Loop: Header=BB47_17 Depth=1
	s_or_b64 exec, exec, s[50:51]
.LBB47_584:                             ;   in Loop: Header=BB47_17 Depth=1
	s_or_b64 exec, exec, s[46:47]
	s_andn2_b64 s[44:45], s[44:45], exec
	s_andn2_b64 s[40:41], s[40:41], exec
	s_or_b64 s[38:39], s[38:39], exec
.LBB47_585:                             ;   in Loop: Header=BB47_17 Depth=1
	s_or_b64 exec, exec, s[42:43]
	s_and_b64 s[42:43], s[44:45], exec
	s_and_b64 s[40:41], s[40:41], exec
	;; [unrolled: 1-line block ×3, first 2 shown]
                                        ; implicit-def: $vgpr0_vgpr1
.LBB47_586:                             ;   in Loop: Header=BB47_17 Depth=1
	s_andn2_saveexec_b64 s[36:37], s[36:37]
	s_cbranch_execz .LBB47_612
; %bb.587:                              ;   in Loop: Header=BB47_17 Depth=1
	v_cmp_gt_i16_sdwa vcc, v8, v29 src0_sel:BYTE_0 src1_sel:DWORD
	s_mov_b64 s[46:47], s[38:39]
                                        ; implicit-def: $vgpr54
	s_and_saveexec_b64 s[44:45], vcc
	s_xor_b64 s[44:45], exec, s[44:45]
	s_cbranch_execz .LBB47_601
; %bb.588:                              ;   in Loop: Header=BB47_17 Depth=1
	v_cmp_gt_i16_sdwa vcc, v8, v30 src0_sel:BYTE_0 src1_sel:DWORD
                                        ; implicit-def: $vgpr54
	s_and_saveexec_b64 s[46:47], vcc
	s_xor_b64 s[46:47], exec, s[46:47]
	s_cbranch_execz .LBB47_598
; %bb.589:                              ;   in Loop: Header=BB47_17 Depth=1
	v_cmp_gt_i16_sdwa vcc, v8, v31 src0_sel:BYTE_0 src1_sel:DWORD
                                        ; implicit-def: $vgpr54
	s_and_saveexec_b64 s[48:49], vcc
	s_xor_b64 s[48:49], exec, s[48:49]
	s_cbranch_execz .LBB47_595
; %bb.590:                              ;   in Loop: Header=BB47_17 Depth=1
	flat_load_ubyte v0, v[0:1]
	s_movk_i32 vcc_lo, 0x7f
	s_mov_b64 s[50:51], 0
                                        ; implicit-def: $sgpr56
	s_waitcnt vmcnt(0) lgkmcnt(0)
	v_cmp_lt_i16_e32 vcc, vcc_lo, v0
	s_and_saveexec_b64 s[52:53], vcc
	s_xor_b64 s[52:53], exec, s[52:53]
	s_cbranch_execnz .LBB47_1657
; %bb.591:                              ;   in Loop: Header=BB47_17 Depth=1
	s_or_saveexec_b64 s[52:53], s[52:53]
	v_mov_b32_e32 v54, s56
	s_xor_b64 exec, exec, s[52:53]
	s_cbranch_execnz .LBB47_1660
.LBB47_592:                             ;   in Loop: Header=BB47_17 Depth=1
	s_or_b64 exec, exec, s[52:53]
	s_and_saveexec_b64 s[52:53], s[50:51]
	s_cbranch_execz .LBB47_594
.LBB47_593:                             ;   in Loop: Header=BB47_17 Depth=1
	v_lshlrev_b32_e32 v1, 24, v0
	v_and_b32_e32 v0, 0xffff, v0
	v_and_b32_e32 v54, 3, v0
	v_ffbh_u32_e32 v65, v54
	v_min_u32_e32 v65, 32, v65
	v_subrev_u32_e32 v66, 29, v65
	v_bfe_u32 v64, v0, 2, 5
	v_lshlrev_b32_e32 v0, v66, v0
	v_sub_u32_e32 v65, 30, v65
	v_and_b32_e32 v0, 3, v0
	v_cmp_eq_u32_e32 vcc, 0, v64
	v_cndmask_b32_e32 v64, v64, v65, vcc
	v_cndmask_b32_e32 v0, v54, v0, vcc
	v_lshlrev_b32_e32 v0, 21, v0
	v_and_b32_e32 v1, 0x80000000, v1
	v_lshl_add_u32 v54, v64, 23, v32
	v_or3_b32 v54, v1, v54, v0
.LBB47_594:                             ;   in Loop: Header=BB47_17 Depth=1
	s_or_b64 exec, exec, s[52:53]
                                        ; implicit-def: $vgpr0_vgpr1
.LBB47_595:                             ;   in Loop: Header=BB47_17 Depth=1
	s_andn2_saveexec_b64 s[48:49], s[48:49]
	s_cbranch_execz .LBB47_597
; %bb.596:                              ;   in Loop: Header=BB47_17 Depth=1
	flat_load_ubyte v0, v[0:1]
	s_mov_b32 vcc_lo, 0x7f800000
	s_waitcnt vmcnt(0) lgkmcnt(0)
	v_lshlrev_b32_e32 v0, 24, v0
	v_and_b32_e32 v1, 0x7f000000, v0
	v_ffbh_u32_e32 v54, v1
	v_min_u32_e32 v54, 32, v54
	v_sub_u32_e64 v54, v54, 4 clamp
	v_lshlrev_b32_e32 v65, v54, v1
	v_lshlrev_b32_e32 v54, 23, v54
	v_lshrrev_b32_e32 v65, 4, v65
	v_add_u32_e32 v64, 0x1000000, v1
	v_sub_u32_e32 v54, v65, v54
	v_ashrrev_i32_e32 v64, 8, v64
	v_add_u32_e32 v54, 0x3c000000, v54
	v_and_or_b32 v54, v64, vcc_lo, v54
	v_cmp_ne_u32_e32 vcc, 0, v1
	v_cndmask_b32_e32 v1, 0, v54, vcc
	s_brev_b32 vcc_lo, 1
	v_and_or_b32 v54, v0, vcc_lo, v1
.LBB47_597:                             ;   in Loop: Header=BB47_17 Depth=1
	s_or_b64 exec, exec, s[48:49]
                                        ; implicit-def: $vgpr0_vgpr1
.LBB47_598:                             ;   in Loop: Header=BB47_17 Depth=1
	s_andn2_saveexec_b64 s[46:47], s[46:47]
	s_cbranch_execz .LBB47_600
; %bb.599:                              ;   in Loop: Header=BB47_17 Depth=1
	flat_load_ubyte v0, v[0:1]
	s_movk_i32 vcc_lo, 0x7f00
	s_waitcnt vmcnt(0) lgkmcnt(0)
	v_lshlrev_b16_e32 v1, 8, v0
	v_lshlrev_b32_e32 v0, 25, v0
	v_lshrrev_b32_e32 v54, 4, v0
	v_and_or_b32 v64, v1, vcc_lo, 0.5
	v_or_b32_e32 v54, 0x70000000, v54
	s_brev_b32 vcc_lo, 16
	v_add_f32_e32 v64, -0.5, v64
	v_mul_f32_e32 v54, 0x7800000, v54
	v_cmp_gt_u32_e32 vcc, vcc_lo, v0
	v_cndmask_b32_e32 v0, v54, v64, vcc
	v_bfe_i32 v1, v1, 0, 16
	s_brev_b32 vcc_lo, 1
	v_and_or_b32 v54, v1, vcc_lo, v0
.LBB47_600:                             ;   in Loop: Header=BB47_17 Depth=1
	s_or_b64 exec, exec, s[46:47]
	s_or_b64 s[46:47], s[38:39], exec
                                        ; implicit-def: $vgpr0_vgpr1
.LBB47_601:                             ;   in Loop: Header=BB47_17 Depth=1
	s_or_saveexec_b64 s[44:45], s[44:45]
                                        ; implicit-def: $vcc
                                        ; implicit-def: $sgpr52_sgpr53
	s_xor_b64 exec, exec, s[44:45]
	s_cbranch_execz .LBB47_611
; %bb.602:                              ;   in Loop: Header=BB47_17 Depth=1
	v_cmp_gt_i16_sdwa vcc, v8, v33 src0_sel:BYTE_0 src1_sel:DWORD
	s_mov_b64 s[50:51], s[46:47]
                                        ; implicit-def: $sgpr52_sgpr53
                                        ; implicit-def: $sgpr48_sgpr49
                                        ; implicit-def: $vgpr54
	s_and_saveexec_b64 s[54:55], vcc
	s_xor_b64 vcc, exec, s[54:55]
	s_cbranch_execz .LBB47_606
; %bb.603:                              ;   in Loop: Header=BB47_17 Depth=1
	v_cmp_eq_u16_sdwa s[52:53], v8, v34 src0_sel:BYTE_0 src1_sel:DWORD
	s_mov_b64 s[50:51], s[46:47]
                                        ; implicit-def: $vgpr54
	s_and_saveexec_b64 s[48:49], s[52:53]
	s_cbranch_execz .LBB47_605
; %bb.604:                              ;   in Loop: Header=BB47_17 Depth=1
	flat_load_ushort v0, v[0:1]
	s_or_b64 s[50:51], s[46:47], exec
	s_waitcnt vmcnt(0) lgkmcnt(0)
	v_lshlrev_b32_e32 v54, 16, v0
.LBB47_605:                             ;   in Loop: Header=BB47_17 Depth=1
	s_or_b64 exec, exec, s[48:49]
	s_andn2_b64 s[54:55], s[46:47], exec
	s_and_b64 s[50:51], s[50:51], exec
	s_mov_b64 s[48:49], 0
	s_mov_b64 s[52:53], -1
	s_or_b64 s[50:51], s[54:55], s[50:51]
                                        ; implicit-def: $vgpr0_vgpr1
.LBB47_606:                             ;   in Loop: Header=BB47_17 Depth=1
	s_andn2_saveexec_b64 s[54:55], vcc
	s_cbranch_execz .LBB47_610
; %bb.607:                              ;   in Loop: Header=BB47_17 Depth=1
	v_cmp_eq_u16_sdwa s[58:59], v8, v35 src0_sel:BYTE_0 src1_sel:DWORD
	s_mov_b64 vcc, s[50:51]
                                        ; implicit-def: $vgpr54
	s_and_saveexec_b64 s[56:57], s[58:59]
	s_cbranch_execz .LBB47_609
; %bb.608:                              ;   in Loop: Header=BB47_17 Depth=1
	flat_load_ubyte v0, v[0:1]
	s_waitcnt vmcnt(0) lgkmcnt(0)
	v_cmp_ne_u16_e32 vcc, 0, v0
	v_cndmask_b32_e64 v54, 0, 1.0, vcc
	s_or_b64 vcc, s[50:51], exec
.LBB47_609:                             ;   in Loop: Header=BB47_17 Depth=1
	s_or_b64 exec, exec, s[56:57]
	s_andn2_b64 s[50:51], s[50:51], exec
	s_and_b64 vcc, vcc, exec
	s_or_b64 s[52:53], s[52:53], exec
	s_andn2_b64 s[48:49], s[48:49], exec
	s_or_b64 s[50:51], s[50:51], vcc
.LBB47_610:                             ;   in Loop: Header=BB47_17 Depth=1
	s_or_b64 exec, exec, s[54:55]
	s_and_b64 vcc, s[48:49], exec
	s_andn2_b64 s[46:47], s[46:47], exec
	s_and_b64 s[48:49], s[50:51], exec
	s_and_b64 s[52:53], s[52:53], exec
	s_or_b64 s[46:47], s[46:47], s[48:49]
.LBB47_611:                             ;   in Loop: Header=BB47_17 Depth=1
	s_or_b64 exec, exec, s[44:45]
	s_andn2_b64 s[40:41], s[40:41], exec
	s_and_b64 vcc, vcc, exec
	s_andn2_b64 s[42:43], s[42:43], exec
	s_and_b64 s[44:45], s[52:53], exec
	s_or_b64 s[40:41], s[40:41], vcc
	s_andn2_b64 vcc, s[38:39], exec
	s_and_b64 s[38:39], s[46:47], exec
	s_or_b64 s[42:43], s[42:43], s[44:45]
	s_or_b64 s[38:39], vcc, s[38:39]
.LBB47_612:                             ;   in Loop: Header=BB47_17 Depth=1
	s_or_b64 exec, exec, s[36:37]
	s_and_b64 s[36:37], s[42:43], exec
	s_and_b64 vcc, s[40:41], exec
	s_and_b64 s[38:39], s[38:39], exec
                                        ; implicit-def: $vgpr0_vgpr1
	s_andn2_saveexec_b64 s[34:35], s[34:35]
	s_cbranch_execz .LBB47_545
.LBB47_613:                             ;   in Loop: Header=BB47_17 Depth=1
	v_cmp_gt_i16_sdwa s[40:41], v8, v36 src0_sel:BYTE_0 src1_sel:DWORD
                                        ; implicit-def: $vgpr54
	s_and_saveexec_b64 s[42:43], s[40:41]
	s_xor_b64 s[40:41], exec, s[42:43]
	s_cbranch_execz .LBB47_635
; %bb.614:                              ;   in Loop: Header=BB47_17 Depth=1
	v_cmp_gt_i16_sdwa s[42:43], v8, v37 src0_sel:BYTE_0 src1_sel:DWORD
                                        ; implicit-def: $vgpr54
	s_and_saveexec_b64 s[44:45], s[42:43]
	s_xor_b64 s[42:43], exec, s[44:45]
	s_cbranch_execz .LBB47_624
; %bb.615:                              ;   in Loop: Header=BB47_17 Depth=1
	;; [unrolled: 6-line block ×4, first 2 shown]
	flat_load_dwordx2 v[0:1], v[0:1]
	s_waitcnt vmcnt(0) lgkmcnt(0)
	v_cvt_f32_f64_e32 v54, v[0:1]
                                        ; implicit-def: $vgpr0_vgpr1
.LBB47_618:                             ;   in Loop: Header=BB47_17 Depth=1
	s_andn2_saveexec_b64 s[46:47], s[46:47]
	s_cbranch_execz .LBB47_620
; %bb.619:                              ;   in Loop: Header=BB47_17 Depth=1
	flat_load_dword v54, v[0:1]
.LBB47_620:                             ;   in Loop: Header=BB47_17 Depth=1
	s_or_b64 exec, exec, s[46:47]
                                        ; implicit-def: $vgpr0_vgpr1
.LBB47_621:                             ;   in Loop: Header=BB47_17 Depth=1
	s_andn2_saveexec_b64 s[44:45], s[44:45]
	s_cbranch_execz .LBB47_623
; %bb.622:                              ;   in Loop: Header=BB47_17 Depth=1
	flat_load_dword v0, v[0:1]
	s_waitcnt vmcnt(0) lgkmcnt(0)
	v_cvt_f32_f16_e32 v54, v0
.LBB47_623:                             ;   in Loop: Header=BB47_17 Depth=1
	s_or_b64 exec, exec, s[44:45]
                                        ; implicit-def: $vgpr0_vgpr1
.LBB47_624:                             ;   in Loop: Header=BB47_17 Depth=1
	s_andn2_saveexec_b64 s[42:43], s[42:43]
	s_cbranch_execz .LBB47_634
; %bb.625:                              ;   in Loop: Header=BB47_17 Depth=1
	v_cmp_gt_i16_sdwa s[44:45], v8, v48 src0_sel:BYTE_0 src1_sel:DWORD
                                        ; implicit-def: $vgpr54
	s_and_saveexec_b64 s[46:47], s[44:45]
	s_xor_b64 s[44:45], exec, s[46:47]
	s_cbranch_execz .LBB47_631
; %bb.626:                              ;   in Loop: Header=BB47_17 Depth=1
	v_cmp_gt_i16_sdwa s[46:47], v8, v49 src0_sel:BYTE_0 src1_sel:DWORD
                                        ; implicit-def: $vgpr54
	s_and_saveexec_b64 s[48:49], s[46:47]
	s_xor_b64 s[46:47], exec, s[48:49]
	s_cbranch_execz .LBB47_628
; %bb.627:                              ;   in Loop: Header=BB47_17 Depth=1
	flat_load_dwordx2 v[0:1], v[0:1]
	s_waitcnt vmcnt(0) lgkmcnt(0)
	v_cvt_f32_f64_e32 v54, v[0:1]
                                        ; implicit-def: $vgpr0_vgpr1
.LBB47_628:                             ;   in Loop: Header=BB47_17 Depth=1
	s_andn2_saveexec_b64 s[46:47], s[46:47]
	s_cbranch_execz .LBB47_630
; %bb.629:                              ;   in Loop: Header=BB47_17 Depth=1
	s_waitcnt vmcnt(0) lgkmcnt(0)
	flat_load_dword v54, v[0:1]
.LBB47_630:                             ;   in Loop: Header=BB47_17 Depth=1
	s_or_b64 exec, exec, s[46:47]
                                        ; implicit-def: $vgpr0_vgpr1
.LBB47_631:                             ;   in Loop: Header=BB47_17 Depth=1
	s_andn2_saveexec_b64 s[44:45], s[44:45]
	s_cbranch_execz .LBB47_633
; %bb.632:                              ;   in Loop: Header=BB47_17 Depth=1
	flat_load_ushort v0, v[0:1]
	s_waitcnt vmcnt(0) lgkmcnt(0)
	v_cvt_f32_f16_e32 v54, v0
.LBB47_633:                             ;   in Loop: Header=BB47_17 Depth=1
	s_or_b64 exec, exec, s[44:45]
.LBB47_634:                             ;   in Loop: Header=BB47_17 Depth=1
	s_or_b64 exec, exec, s[42:43]
                                        ; implicit-def: $vgpr0_vgpr1
.LBB47_635:                             ;   in Loop: Header=BB47_17 Depth=1
	s_andn2_saveexec_b64 s[40:41], s[40:41]
	s_cbranch_execz .LBB47_653
; %bb.636:                              ;   in Loop: Header=BB47_17 Depth=1
	v_cmp_gt_i16_sdwa s[42:43], v8, v50 src0_sel:BYTE_0 src1_sel:DWORD
                                        ; implicit-def: $vgpr54
	s_and_saveexec_b64 s[44:45], s[42:43]
	s_xor_b64 s[42:43], exec, s[44:45]
	s_cbranch_execz .LBB47_646
; %bb.637:                              ;   in Loop: Header=BB47_17 Depth=1
	v_cmp_gt_i16_sdwa s[44:45], v8, v51 src0_sel:BYTE_0 src1_sel:DWORD
                                        ; implicit-def: $vgpr54
	s_and_saveexec_b64 s[46:47], s[44:45]
	s_xor_b64 s[44:45], exec, s[46:47]
	;; [unrolled: 6-line block ×3, first 2 shown]
	s_cbranch_execz .LBB47_640
; %bb.639:                              ;   in Loop: Header=BB47_17 Depth=1
	flat_load_dwordx2 v[0:1], v[0:1]
	s_waitcnt vmcnt(0) lgkmcnt(0)
	v_xor_b32_e32 v64, v0, v1
	v_ffbh_i32_e32 v54, v1
	v_ashrrev_i32_e32 v64, 31, v64
	v_add_u32_e32 v54, -1, v54
	v_add_u32_e32 v64, 32, v64
	v_min_u32_e32 v54, v54, v64
	v_lshlrev_b64 v[0:1], v54, v[0:1]
	v_min_u32_e32 v0, 1, v0
	v_or_b32_e32 v0, v1, v0
	v_cvt_f32_i32_e32 v0, v0
	v_sub_u32_e32 v1, 32, v54
	v_ldexp_f32 v54, v0, v1
                                        ; implicit-def: $vgpr0_vgpr1
.LBB47_640:                             ;   in Loop: Header=BB47_17 Depth=1
	s_andn2_saveexec_b64 s[46:47], s[46:47]
	s_cbranch_execz .LBB47_642
; %bb.641:                              ;   in Loop: Header=BB47_17 Depth=1
	flat_load_dword v0, v[0:1]
	s_waitcnt vmcnt(0) lgkmcnt(0)
	v_cvt_f32_i32_e32 v54, v0
.LBB47_642:                             ;   in Loop: Header=BB47_17 Depth=1
	s_or_b64 exec, exec, s[46:47]
                                        ; implicit-def: $vgpr0_vgpr1
.LBB47_643:                             ;   in Loop: Header=BB47_17 Depth=1
	s_andn2_saveexec_b64 s[44:45], s[44:45]
	s_cbranch_execz .LBB47_645
; %bb.644:                              ;   in Loop: Header=BB47_17 Depth=1
	flat_load_sshort v0, v[0:1]
	s_waitcnt vmcnt(0) lgkmcnt(0)
	v_cvt_f32_i32_e32 v54, v0
.LBB47_645:                             ;   in Loop: Header=BB47_17 Depth=1
	s_or_b64 exec, exec, s[44:45]
                                        ; implicit-def: $vgpr0_vgpr1
.LBB47_646:                             ;   in Loop: Header=BB47_17 Depth=1
	s_andn2_saveexec_b64 s[42:43], s[42:43]
	s_cbranch_execz .LBB47_652
; %bb.647:                              ;   in Loop: Header=BB47_17 Depth=1
	v_cmp_gt_i16_sdwa s[44:45], v8, v14 src0_sel:BYTE_0 src1_sel:DWORD
                                        ; implicit-def: $vgpr54
	s_and_saveexec_b64 s[46:47], s[44:45]
	s_xor_b64 s[44:45], exec, s[46:47]
	s_cbranch_execz .LBB47_649
; %bb.648:                              ;   in Loop: Header=BB47_17 Depth=1
	flat_load_sbyte v0, v[0:1]
	s_waitcnt vmcnt(0) lgkmcnt(0)
	v_cvt_f32_i32_e32 v54, v0
                                        ; implicit-def: $vgpr0_vgpr1
.LBB47_649:                             ;   in Loop: Header=BB47_17 Depth=1
	s_andn2_saveexec_b64 s[44:45], s[44:45]
	s_cbranch_execz .LBB47_651
; %bb.650:                              ;   in Loop: Header=BB47_17 Depth=1
	flat_load_ubyte v0, v[0:1]
	s_waitcnt vmcnt(0) lgkmcnt(0)
	v_cvt_f32_ubyte0_e32 v54, v0
.LBB47_651:                             ;   in Loop: Header=BB47_17 Depth=1
	s_or_b64 exec, exec, s[44:45]
.LBB47_652:                             ;   in Loop: Header=BB47_17 Depth=1
	s_or_b64 exec, exec, s[42:43]
.LBB47_653:                             ;   in Loop: Header=BB47_17 Depth=1
	s_or_b64 exec, exec, s[40:41]
	s_andn2_b64 s[36:37], s[36:37], exec
	s_andn2_b64 vcc, vcc, exec
	s_or_b64 s[38:39], s[38:39], exec
	s_or_b64 exec, exec, s[34:35]
	s_mov_b64 s[34:35], 0
	s_and_saveexec_b64 s[40:41], s[38:39]
	s_cbranch_execnz .LBB47_546
	s_branch .LBB47_547
.LBB47_654:                             ;   in Loop: Header=BB47_17 Depth=1
	v_cmp_gt_i16_sdwa s[28:29], v7, v17 src0_sel:BYTE_0 src1_sel:DWORD
	s_mov_b64 s[40:41], 0
                                        ; implicit-def: $sgpr42_sgpr43
                                        ; implicit-def: $sgpr30_sgpr31
                                        ; implicit-def: $vgpr64
	s_and_saveexec_b64 vcc, s[28:29]
	s_xor_b64 s[28:29], exec, vcc
	s_cbranch_execz .LBB47_686
; %bb.655:                              ;   in Loop: Header=BB47_17 Depth=1
	v_cmp_gt_i16_sdwa vcc, v7, v18 src0_sel:BYTE_0 src1_sel:DWORD
                                        ; implicit-def: $sgpr42_sgpr43
                                        ; implicit-def: $sgpr44_sgpr45
                                        ; implicit-def: $vgpr64
	s_and_saveexec_b64 s[30:31], vcc
	s_xor_b64 s[30:31], exec, s[30:31]
	s_cbranch_execz .LBB47_671
; %bb.656:                              ;   in Loop: Header=BB47_17 Depth=1
	v_cmp_gt_i16_sdwa s[40:41], v7, v19 src0_sel:BYTE_0 src1_sel:DWORD
	s_mov_b64 s[46:47], 0
                                        ; implicit-def: $vcc
                                        ; implicit-def: $sgpr42_sgpr43
                                        ; implicit-def: $vgpr64
	s_and_saveexec_b64 s[44:45], s[40:41]
	s_xor_b64 s[40:41], exec, s[44:45]
	s_cbranch_execz .LBB47_666
; %bb.657:                              ;   in Loop: Header=BB47_17 Depth=1
	v_cmp_gt_i16_sdwa vcc, v7, v20 src0_sel:BYTE_0 src1_sel:DWORD
	s_mov_b64 s[44:45], 0
                                        ; implicit-def: $sgpr42_sgpr43
                                        ; implicit-def: $sgpr46_sgpr47
                                        ; implicit-def: $vgpr64
	s_and_saveexec_b64 s[48:49], vcc
	s_xor_b64 vcc, exec, s[48:49]
	s_cbranch_execz .LBB47_661
; %bb.658:                              ;   in Loop: Header=BB47_17 Depth=1
	v_cmp_eq_u16_sdwa s[48:49], v7, v21 src0_sel:BYTE_0 src1_sel:DWORD
	s_mov_b64 s[42:43], 0
                                        ; implicit-def: $vgpr64
	s_and_saveexec_b64 s[46:47], s[48:49]
	s_cbranch_execz .LBB47_660
; %bb.659:                              ;   in Loop: Header=BB47_17 Depth=1
	flat_load_dword v0, v[0:1]
	s_mov_b64 s[44:45], exec
	s_waitcnt vmcnt(0) lgkmcnt(0)
	v_lshlrev_b32_e32 v64, 16, v0
.LBB47_660:                             ;   in Loop: Header=BB47_17 Depth=1
	s_or_b64 exec, exec, s[46:47]
	s_mov_b64 s[46:47], -1
	s_and_b64 s[44:45], s[44:45], exec
                                        ; implicit-def: $vgpr0_vgpr1
.LBB47_661:                             ;   in Loop: Header=BB47_17 Depth=1
	s_andn2_saveexec_b64 s[48:49], vcc
	s_cbranch_execz .LBB47_665
; %bb.662:                              ;   in Loop: Header=BB47_17 Depth=1
	v_cmp_eq_u16_sdwa s[52:53], v7, v22 src0_sel:BYTE_0 src1_sel:DWORD
	s_mov_b64 vcc, s[44:45]
                                        ; implicit-def: $vgpr64
	s_and_saveexec_b64 s[50:51], s[52:53]
	s_cbranch_execz .LBB47_664
; %bb.663:                              ;   in Loop: Header=BB47_17 Depth=1
	flat_load_ubyte v0, v[0:1]
	s_movk_i32 vcc_lo, 0xff
	s_waitcnt vmcnt(0) lgkmcnt(0)
	v_lshlrev_b32_e32 v1, 23, v0
	v_cmp_ne_u32_e32 vcc, vcc_lo, v0
	v_cndmask_b32_e32 v1, v23, v1, vcc
	v_cmp_ne_u32_e32 vcc, 0, v0
	v_cndmask_b32_e32 v64, v24, v1, vcc
	s_or_b64 vcc, s[44:45], exec
.LBB47_664:                             ;   in Loop: Header=BB47_17 Depth=1
	s_or_b64 exec, exec, s[50:51]
	s_andn2_b64 s[44:45], s[44:45], exec
	s_and_b64 vcc, vcc, exec
	s_andn2_b64 s[42:43], s[42:43], exec
	s_or_b64 s[46:47], s[46:47], exec
	s_or_b64 s[44:45], s[44:45], vcc
.LBB47_665:                             ;   in Loop: Header=BB47_17 Depth=1
	s_or_b64 exec, exec, s[48:49]
	s_and_b64 s[42:43], s[42:43], exec
	s_and_b64 vcc, s[46:47], exec
	s_and_b64 s[46:47], s[44:45], exec
                                        ; implicit-def: $vgpr0_vgpr1
.LBB47_666:                             ;   in Loop: Header=BB47_17 Depth=1
	s_andn2_saveexec_b64 s[40:41], s[40:41]
	s_cbranch_execz .LBB47_670
; %bb.667:                              ;   in Loop: Header=BB47_17 Depth=1
	v_cmp_eq_u16_sdwa s[50:51], v7, v25 src0_sel:BYTE_0 src1_sel:DWORD
	s_mov_b64 s[48:49], s[46:47]
                                        ; implicit-def: $vgpr64
	s_and_saveexec_b64 s[44:45], s[50:51]
	s_cbranch_execz .LBB47_669
; %bb.668:                              ;   in Loop: Header=BB47_17 Depth=1
	flat_load_dwordx2 v[0:1], v[0:1]
	s_or_b64 s[48:49], s[46:47], exec
	s_waitcnt vmcnt(0) lgkmcnt(0)
	v_ffbh_u32_e32 v55, v1
	v_min_u32_e32 v55, 32, v55
	s_waitcnt vmcnt(0) expcnt(0) lgkmcnt(0)
	v_swap_b32 v2, v55
	v_lshlrev_b64 v[0:1], v2, v[0:1]
	v_swap_b32 v55, v2
	v_min_u32_e32 v0, 1, v0
	v_or_b32_e32 v0, v1, v0
	v_cvt_f32_u32_e32 v0, v0
	v_sub_u32_e32 v1, 32, v55
	v_ldexp_f32 v64, v0, v1
.LBB47_669:                             ;   in Loop: Header=BB47_17 Depth=1
	s_or_b64 exec, exec, s[44:45]
	s_andn2_b64 s[44:45], s[46:47], exec
	s_and_b64 s[46:47], s[48:49], exec
	s_andn2_b64 s[42:43], s[42:43], exec
	s_or_b64 vcc, vcc, exec
	s_or_b64 s[46:47], s[44:45], s[46:47]
.LBB47_670:                             ;   in Loop: Header=BB47_17 Depth=1
	s_or_b64 exec, exec, s[40:41]
	s_and_b64 s[44:45], s[42:43], exec
	s_and_b64 s[42:43], vcc, exec
	s_and_b64 s[40:41], s[46:47], exec
                                        ; implicit-def: $vgpr0_vgpr1
.LBB47_671:                             ;   in Loop: Header=BB47_17 Depth=1
	s_andn2_saveexec_b64 s[30:31], s[30:31]
	s_cbranch_execz .LBB47_685
; %bb.672:                              ;   in Loop: Header=BB47_17 Depth=1
	v_cmp_gt_i16_sdwa vcc, v7, v26 src0_sel:BYTE_0 src1_sel:DWORD
                                        ; implicit-def: $vgpr64
	s_and_saveexec_b64 s[46:47], vcc
	s_xor_b64 vcc, exec, s[46:47]
	s_cbranch_execz .LBB47_678
; %bb.673:                              ;   in Loop: Header=BB47_17 Depth=1
	v_cmp_gt_i16_sdwa s[46:47], v7, v27 src0_sel:BYTE_0 src1_sel:DWORD
                                        ; implicit-def: $vgpr64
	s_and_saveexec_b64 s[48:49], s[46:47]
	s_xor_b64 s[46:47], exec, s[48:49]
	s_cbranch_execz .LBB47_675
; %bb.674:                              ;   in Loop: Header=BB47_17 Depth=1
	flat_load_dword v0, v[0:1]
	s_waitcnt vmcnt(0) lgkmcnt(0)
	v_cvt_f32_u32_e32 v64, v0
                                        ; implicit-def: $vgpr0_vgpr1
.LBB47_675:                             ;   in Loop: Header=BB47_17 Depth=1
	s_andn2_saveexec_b64 s[46:47], s[46:47]
	s_cbranch_execz .LBB47_677
; %bb.676:                              ;   in Loop: Header=BB47_17 Depth=1
	flat_load_ushort v0, v[0:1]
	s_waitcnt vmcnt(0) lgkmcnt(0)
	v_cvt_f32_u32_e32 v64, v0
.LBB47_677:                             ;   in Loop: Header=BB47_17 Depth=1
	s_or_b64 exec, exec, s[46:47]
                                        ; implicit-def: $vgpr0_vgpr1
.LBB47_678:                             ;   in Loop: Header=BB47_17 Depth=1
	s_andn2_saveexec_b64 s[46:47], vcc
	s_cbranch_execz .LBB47_684
; %bb.679:                              ;   in Loop: Header=BB47_17 Depth=1
	flat_load_ubyte v0, v[0:1]
	s_movk_i32 vcc_lo, 0x7f
	s_mov_b64 s[48:49], 0
                                        ; implicit-def: $sgpr54
	s_waitcnt vmcnt(0) lgkmcnt(0)
	v_cmp_lt_i16_e32 vcc, vcc_lo, v0
	s_and_saveexec_b64 s[50:51], vcc
	s_xor_b64 s[50:51], exec, s[50:51]
	s_cbranch_execnz .LBB47_1442
; %bb.680:                              ;   in Loop: Header=BB47_17 Depth=1
	s_or_saveexec_b64 s[50:51], s[50:51]
	v_mov_b32_e32 v64, s54
	s_xor_b64 exec, exec, s[50:51]
	s_cbranch_execnz .LBB47_1445
.LBB47_681:                             ;   in Loop: Header=BB47_17 Depth=1
	s_or_b64 exec, exec, s[50:51]
	s_and_saveexec_b64 s[50:51], s[48:49]
	s_cbranch_execz .LBB47_683
.LBB47_682:                             ;   in Loop: Header=BB47_17 Depth=1
	v_lshlrev_b32_e32 v1, 24, v0
	v_and_b32_e32 v0, 0xffff, v0
	v_and_b32_e32 v55, 7, v0
	v_ffbh_u32_e32 v65, v55
	v_min_u32_e32 v65, 32, v65
	v_subrev_u32_e32 v66, 28, v65
	v_bfe_u32 v64, v0, 3, 4
	v_lshlrev_b32_e32 v0, v66, v0
	v_sub_u32_e32 v65, 29, v65
	v_and_b32_e32 v0, 7, v0
	v_cmp_eq_u32_e32 vcc, 0, v64
	v_cndmask_b32_e32 v64, v64, v65, vcc
	v_cndmask_b32_e32 v0, v55, v0, vcc
	v_lshlrev_b32_e32 v0, 20, v0
	v_and_b32_e32 v1, 0x80000000, v1
	v_lshl_add_u32 v55, v64, 23, v28
	v_or3_b32 v64, v1, v55, v0
.LBB47_683:                             ;   in Loop: Header=BB47_17 Depth=1
	s_or_b64 exec, exec, s[50:51]
.LBB47_684:                             ;   in Loop: Header=BB47_17 Depth=1
	s_or_b64 exec, exec, s[46:47]
	s_andn2_b64 s[44:45], s[44:45], exec
	s_andn2_b64 s[42:43], s[42:43], exec
	s_or_b64 s[40:41], s[40:41], exec
.LBB47_685:                             ;   in Loop: Header=BB47_17 Depth=1
	s_or_b64 exec, exec, s[30:31]
	s_and_b64 s[30:31], s[44:45], exec
	s_and_b64 s[42:43], s[42:43], exec
	;; [unrolled: 1-line block ×3, first 2 shown]
                                        ; implicit-def: $vgpr0_vgpr1
.LBB47_686:                             ;   in Loop: Header=BB47_17 Depth=1
	s_andn2_saveexec_b64 s[28:29], s[28:29]
	s_cbranch_execz .LBB47_712
; %bb.687:                              ;   in Loop: Header=BB47_17 Depth=1
	v_cmp_gt_i16_sdwa vcc, v7, v29 src0_sel:BYTE_0 src1_sel:DWORD
	s_mov_b64 s[46:47], s[40:41]
                                        ; implicit-def: $vgpr64
	s_and_saveexec_b64 s[44:45], vcc
	s_xor_b64 s[44:45], exec, s[44:45]
	s_cbranch_execz .LBB47_701
; %bb.688:                              ;   in Loop: Header=BB47_17 Depth=1
	v_cmp_gt_i16_sdwa vcc, v7, v30 src0_sel:BYTE_0 src1_sel:DWORD
                                        ; implicit-def: $vgpr64
	s_and_saveexec_b64 s[46:47], vcc
	s_xor_b64 s[46:47], exec, s[46:47]
	s_cbranch_execz .LBB47_698
; %bb.689:                              ;   in Loop: Header=BB47_17 Depth=1
	v_cmp_gt_i16_sdwa vcc, v7, v31 src0_sel:BYTE_0 src1_sel:DWORD
                                        ; implicit-def: $vgpr64
	s_and_saveexec_b64 s[48:49], vcc
	s_xor_b64 s[48:49], exec, s[48:49]
	s_cbranch_execz .LBB47_695
; %bb.690:                              ;   in Loop: Header=BB47_17 Depth=1
	flat_load_ubyte v0, v[0:1]
	s_movk_i32 vcc_lo, 0x7f
	s_mov_b64 s[50:51], 0
                                        ; implicit-def: $sgpr56
	s_waitcnt vmcnt(0) lgkmcnt(0)
	v_cmp_lt_i16_e32 vcc, vcc_lo, v0
	s_and_saveexec_b64 s[52:53], vcc
	s_xor_b64 s[52:53], exec, s[52:53]
	s_cbranch_execnz .LBB47_1661
; %bb.691:                              ;   in Loop: Header=BB47_17 Depth=1
	s_or_saveexec_b64 s[52:53], s[52:53]
	v_mov_b32_e32 v64, s56
	s_xor_b64 exec, exec, s[52:53]
	s_cbranch_execnz .LBB47_1664
.LBB47_692:                             ;   in Loop: Header=BB47_17 Depth=1
	s_or_b64 exec, exec, s[52:53]
	s_and_saveexec_b64 s[52:53], s[50:51]
	s_cbranch_execz .LBB47_694
.LBB47_693:                             ;   in Loop: Header=BB47_17 Depth=1
	v_lshlrev_b32_e32 v1, 24, v0
	v_and_b32_e32 v0, 0xffff, v0
	v_and_b32_e32 v55, 3, v0
	v_ffbh_u32_e32 v65, v55
	v_min_u32_e32 v65, 32, v65
	v_subrev_u32_e32 v66, 29, v65
	v_bfe_u32 v64, v0, 2, 5
	v_lshlrev_b32_e32 v0, v66, v0
	v_sub_u32_e32 v65, 30, v65
	v_and_b32_e32 v0, 3, v0
	v_cmp_eq_u32_e32 vcc, 0, v64
	v_cndmask_b32_e32 v64, v64, v65, vcc
	v_cndmask_b32_e32 v0, v55, v0, vcc
	v_lshlrev_b32_e32 v0, 21, v0
	v_and_b32_e32 v1, 0x80000000, v1
	v_lshl_add_u32 v55, v64, 23, v32
	v_or3_b32 v64, v1, v55, v0
.LBB47_694:                             ;   in Loop: Header=BB47_17 Depth=1
	s_or_b64 exec, exec, s[52:53]
                                        ; implicit-def: $vgpr0_vgpr1
.LBB47_695:                             ;   in Loop: Header=BB47_17 Depth=1
	s_andn2_saveexec_b64 s[48:49], s[48:49]
	s_cbranch_execz .LBB47_697
; %bb.696:                              ;   in Loop: Header=BB47_17 Depth=1
	flat_load_ubyte v0, v[0:1]
	s_mov_b32 vcc_lo, 0x7f800000
	s_waitcnt vmcnt(0) lgkmcnt(0)
	v_lshlrev_b32_e32 v0, 24, v0
	v_and_b32_e32 v1, 0x7f000000, v0
	v_ffbh_u32_e32 v55, v1
	v_min_u32_e32 v55, 32, v55
	v_sub_u32_e64 v55, v55, 4 clamp
	v_lshlrev_b32_e32 v65, v55, v1
	v_lshlrev_b32_e32 v55, 23, v55
	v_lshrrev_b32_e32 v65, 4, v65
	v_add_u32_e32 v64, 0x1000000, v1
	v_sub_u32_e32 v55, v65, v55
	v_ashrrev_i32_e32 v64, 8, v64
	v_add_u32_e32 v55, 0x3c000000, v55
	v_and_or_b32 v55, v64, vcc_lo, v55
	v_cmp_ne_u32_e32 vcc, 0, v1
	v_cndmask_b32_e32 v1, 0, v55, vcc
	s_brev_b32 vcc_lo, 1
	v_and_or_b32 v64, v0, vcc_lo, v1
.LBB47_697:                             ;   in Loop: Header=BB47_17 Depth=1
	s_or_b64 exec, exec, s[48:49]
                                        ; implicit-def: $vgpr0_vgpr1
.LBB47_698:                             ;   in Loop: Header=BB47_17 Depth=1
	s_andn2_saveexec_b64 s[46:47], s[46:47]
	s_cbranch_execz .LBB47_700
; %bb.699:                              ;   in Loop: Header=BB47_17 Depth=1
	flat_load_ubyte v0, v[0:1]
	s_movk_i32 vcc_lo, 0x7f00
	s_waitcnt vmcnt(0) lgkmcnt(0)
	v_lshlrev_b16_e32 v1, 8, v0
	v_lshlrev_b32_e32 v0, 25, v0
	v_lshrrev_b32_e32 v55, 4, v0
	v_and_or_b32 v64, v1, vcc_lo, 0.5
	v_or_b32_e32 v55, 0x70000000, v55
	s_brev_b32 vcc_lo, 16
	v_add_f32_e32 v64, -0.5, v64
	v_mul_f32_e32 v55, 0x7800000, v55
	v_cmp_gt_u32_e32 vcc, vcc_lo, v0
	v_cndmask_b32_e32 v0, v55, v64, vcc
	v_bfe_i32 v1, v1, 0, 16
	s_brev_b32 vcc_lo, 1
	v_and_or_b32 v64, v1, vcc_lo, v0
.LBB47_700:                             ;   in Loop: Header=BB47_17 Depth=1
	s_or_b64 exec, exec, s[46:47]
	s_or_b64 s[46:47], s[40:41], exec
                                        ; implicit-def: $vgpr0_vgpr1
.LBB47_701:                             ;   in Loop: Header=BB47_17 Depth=1
	s_or_saveexec_b64 s[44:45], s[44:45]
                                        ; implicit-def: $vcc
                                        ; implicit-def: $sgpr52_sgpr53
	s_xor_b64 exec, exec, s[44:45]
	s_cbranch_execz .LBB47_711
; %bb.702:                              ;   in Loop: Header=BB47_17 Depth=1
	v_cmp_gt_i16_sdwa vcc, v7, v33 src0_sel:BYTE_0 src1_sel:DWORD
	s_mov_b64 s[50:51], s[46:47]
                                        ; implicit-def: $sgpr52_sgpr53
                                        ; implicit-def: $sgpr48_sgpr49
                                        ; implicit-def: $vgpr64
	s_and_saveexec_b64 s[54:55], vcc
	s_xor_b64 vcc, exec, s[54:55]
	s_cbranch_execz .LBB47_706
; %bb.703:                              ;   in Loop: Header=BB47_17 Depth=1
	v_cmp_eq_u16_sdwa s[52:53], v7, v34 src0_sel:BYTE_0 src1_sel:DWORD
	s_mov_b64 s[50:51], s[46:47]
                                        ; implicit-def: $vgpr64
	s_and_saveexec_b64 s[48:49], s[52:53]
	s_cbranch_execz .LBB47_705
; %bb.704:                              ;   in Loop: Header=BB47_17 Depth=1
	flat_load_ushort v0, v[0:1]
	s_or_b64 s[50:51], s[46:47], exec
	s_waitcnt vmcnt(0) lgkmcnt(0)
	v_lshlrev_b32_e32 v64, 16, v0
.LBB47_705:                             ;   in Loop: Header=BB47_17 Depth=1
	s_or_b64 exec, exec, s[48:49]
	s_andn2_b64 s[54:55], s[46:47], exec
	s_and_b64 s[50:51], s[50:51], exec
	s_mov_b64 s[48:49], -1
	s_mov_b64 s[52:53], 0
	s_or_b64 s[50:51], s[54:55], s[50:51]
                                        ; implicit-def: $vgpr0_vgpr1
.LBB47_706:                             ;   in Loop: Header=BB47_17 Depth=1
	s_andn2_saveexec_b64 s[54:55], vcc
	s_cbranch_execz .LBB47_710
; %bb.707:                              ;   in Loop: Header=BB47_17 Depth=1
	v_cmp_eq_u16_sdwa s[58:59], v7, v35 src0_sel:BYTE_0 src1_sel:DWORD
	s_mov_b64 vcc, s[50:51]
                                        ; implicit-def: $vgpr64
	s_and_saveexec_b64 s[56:57], s[58:59]
	s_cbranch_execz .LBB47_709
; %bb.708:                              ;   in Loop: Header=BB47_17 Depth=1
	flat_load_ubyte v0, v[0:1]
	s_waitcnt vmcnt(0) lgkmcnt(0)
	v_cmp_ne_u16_e32 vcc, 0, v0
	v_cndmask_b32_e64 v64, 0, 1.0, vcc
	s_or_b64 vcc, s[50:51], exec
.LBB47_709:                             ;   in Loop: Header=BB47_17 Depth=1
	s_or_b64 exec, exec, s[56:57]
	s_andn2_b64 s[50:51], s[50:51], exec
	s_and_b64 vcc, vcc, exec
	s_andn2_b64 s[52:53], s[52:53], exec
	s_or_b64 s[48:49], s[48:49], exec
	s_or_b64 s[50:51], s[50:51], vcc
.LBB47_710:                             ;   in Loop: Header=BB47_17 Depth=1
	s_or_b64 exec, exec, s[54:55]
	s_and_b64 vcc, s[48:49], exec
	s_andn2_b64 s[46:47], s[46:47], exec
	s_and_b64 s[48:49], s[50:51], exec
	s_and_b64 s[52:53], s[52:53], exec
	s_or_b64 s[46:47], s[46:47], s[48:49]
.LBB47_711:                             ;   in Loop: Header=BB47_17 Depth=1
	s_or_b64 exec, exec, s[44:45]
	s_andn2_b64 s[42:43], s[42:43], exec
	s_and_b64 vcc, vcc, exec
	s_andn2_b64 s[30:31], s[30:31], exec
	s_and_b64 s[44:45], s[52:53], exec
	s_or_b64 s[42:43], s[42:43], vcc
	s_andn2_b64 vcc, s[40:41], exec
	s_and_b64 s[40:41], s[46:47], exec
	s_or_b64 s[30:31], s[30:31], s[44:45]
	s_or_b64 s[40:41], vcc, s[40:41]
.LBB47_712:                             ;   in Loop: Header=BB47_17 Depth=1
	s_or_b64 exec, exec, s[28:29]
	s_and_b64 s[30:31], s[30:31], exec
	s_and_b64 s[28:29], s[42:43], exec
	s_and_b64 vcc, s[40:41], exec
                                        ; implicit-def: $vgpr0_vgpr1
	s_andn2_saveexec_b64 s[38:39], s[38:39]
	s_cbranch_execz .LBB47_553
.LBB47_713:                             ;   in Loop: Header=BB47_17 Depth=1
	v_cmp_gt_i16_sdwa s[40:41], v7, v36 src0_sel:BYTE_0 src1_sel:DWORD
                                        ; implicit-def: $vgpr64
	s_and_saveexec_b64 s[42:43], s[40:41]
	s_xor_b64 s[40:41], exec, s[42:43]
	s_cbranch_execz .LBB47_735
; %bb.714:                              ;   in Loop: Header=BB47_17 Depth=1
	v_cmp_gt_i16_sdwa s[42:43], v7, v37 src0_sel:BYTE_0 src1_sel:DWORD
                                        ; implicit-def: $vgpr64
	s_and_saveexec_b64 s[44:45], s[42:43]
	s_xor_b64 s[42:43], exec, s[44:45]
	s_cbranch_execz .LBB47_724
; %bb.715:                              ;   in Loop: Header=BB47_17 Depth=1
	;; [unrolled: 6-line block ×4, first 2 shown]
	flat_load_dwordx2 v[0:1], v[0:1]
	s_waitcnt vmcnt(0) lgkmcnt(0)
	v_cvt_f32_f64_e32 v64, v[0:1]
                                        ; implicit-def: $vgpr0_vgpr1
.LBB47_718:                             ;   in Loop: Header=BB47_17 Depth=1
	s_andn2_saveexec_b64 s[46:47], s[46:47]
	s_cbranch_execz .LBB47_720
; %bb.719:                              ;   in Loop: Header=BB47_17 Depth=1
	flat_load_dword v64, v[0:1]
.LBB47_720:                             ;   in Loop: Header=BB47_17 Depth=1
	s_or_b64 exec, exec, s[46:47]
                                        ; implicit-def: $vgpr0_vgpr1
.LBB47_721:                             ;   in Loop: Header=BB47_17 Depth=1
	s_andn2_saveexec_b64 s[44:45], s[44:45]
	s_cbranch_execz .LBB47_723
; %bb.722:                              ;   in Loop: Header=BB47_17 Depth=1
	flat_load_dword v0, v[0:1]
	s_waitcnt vmcnt(0) lgkmcnt(0)
	v_cvt_f32_f16_e32 v64, v0
.LBB47_723:                             ;   in Loop: Header=BB47_17 Depth=1
	s_or_b64 exec, exec, s[44:45]
                                        ; implicit-def: $vgpr0_vgpr1
.LBB47_724:                             ;   in Loop: Header=BB47_17 Depth=1
	s_andn2_saveexec_b64 s[42:43], s[42:43]
	s_cbranch_execz .LBB47_734
; %bb.725:                              ;   in Loop: Header=BB47_17 Depth=1
	v_cmp_gt_i16_sdwa s[44:45], v7, v48 src0_sel:BYTE_0 src1_sel:DWORD
                                        ; implicit-def: $vgpr64
	s_and_saveexec_b64 s[46:47], s[44:45]
	s_xor_b64 s[44:45], exec, s[46:47]
	s_cbranch_execz .LBB47_731
; %bb.726:                              ;   in Loop: Header=BB47_17 Depth=1
	v_cmp_gt_i16_sdwa s[46:47], v7, v49 src0_sel:BYTE_0 src1_sel:DWORD
                                        ; implicit-def: $vgpr64
	s_and_saveexec_b64 s[48:49], s[46:47]
	s_xor_b64 s[46:47], exec, s[48:49]
	s_cbranch_execz .LBB47_728
; %bb.727:                              ;   in Loop: Header=BB47_17 Depth=1
	flat_load_dwordx2 v[0:1], v[0:1]
	s_waitcnt vmcnt(0) lgkmcnt(0)
	v_cvt_f32_f64_e32 v64, v[0:1]
                                        ; implicit-def: $vgpr0_vgpr1
.LBB47_728:                             ;   in Loop: Header=BB47_17 Depth=1
	s_andn2_saveexec_b64 s[46:47], s[46:47]
	s_cbranch_execz .LBB47_730
; %bb.729:                              ;   in Loop: Header=BB47_17 Depth=1
	s_waitcnt vmcnt(0) lgkmcnt(0)
	flat_load_dword v64, v[0:1]
.LBB47_730:                             ;   in Loop: Header=BB47_17 Depth=1
	s_or_b64 exec, exec, s[46:47]
                                        ; implicit-def: $vgpr0_vgpr1
.LBB47_731:                             ;   in Loop: Header=BB47_17 Depth=1
	s_andn2_saveexec_b64 s[44:45], s[44:45]
	s_cbranch_execz .LBB47_733
; %bb.732:                              ;   in Loop: Header=BB47_17 Depth=1
	flat_load_ushort v0, v[0:1]
	s_waitcnt vmcnt(0) lgkmcnt(0)
	v_cvt_f32_f16_e32 v64, v0
.LBB47_733:                             ;   in Loop: Header=BB47_17 Depth=1
	s_or_b64 exec, exec, s[44:45]
.LBB47_734:                             ;   in Loop: Header=BB47_17 Depth=1
	s_or_b64 exec, exec, s[42:43]
                                        ; implicit-def: $vgpr0_vgpr1
.LBB47_735:                             ;   in Loop: Header=BB47_17 Depth=1
	s_andn2_saveexec_b64 s[40:41], s[40:41]
	s_cbranch_execz .LBB47_753
; %bb.736:                              ;   in Loop: Header=BB47_17 Depth=1
	v_cmp_gt_i16_sdwa s[42:43], v7, v50 src0_sel:BYTE_0 src1_sel:DWORD
                                        ; implicit-def: $vgpr64
	s_and_saveexec_b64 s[44:45], s[42:43]
	s_xor_b64 s[42:43], exec, s[44:45]
	s_cbranch_execz .LBB47_746
; %bb.737:                              ;   in Loop: Header=BB47_17 Depth=1
	v_cmp_gt_i16_sdwa s[44:45], v7, v51 src0_sel:BYTE_0 src1_sel:DWORD
                                        ; implicit-def: $vgpr64
	s_and_saveexec_b64 s[46:47], s[44:45]
	s_xor_b64 s[44:45], exec, s[46:47]
	;; [unrolled: 6-line block ×3, first 2 shown]
	s_cbranch_execz .LBB47_740
; %bb.739:                              ;   in Loop: Header=BB47_17 Depth=1
	flat_load_dwordx2 v[0:1], v[0:1]
	s_waitcnt vmcnt(0) lgkmcnt(0)
	v_xor_b32_e32 v64, v0, v1
	v_ffbh_i32_e32 v55, v1
	v_ashrrev_i32_e32 v64, 31, v64
	v_add_u32_e32 v55, -1, v55
	v_add_u32_e32 v64, 32, v64
	v_min_u32_e32 v55, v55, v64
	s_waitcnt vmcnt(0) expcnt(0) lgkmcnt(0)
	v_swap_b32 v2, v55
	v_lshlrev_b64 v[0:1], v2, v[0:1]
	v_swap_b32 v55, v2
	v_min_u32_e32 v0, 1, v0
	v_or_b32_e32 v0, v1, v0
	v_cvt_f32_i32_e32 v0, v0
	v_sub_u32_e32 v1, 32, v55
	v_ldexp_f32 v64, v0, v1
                                        ; implicit-def: $vgpr0_vgpr1
.LBB47_740:                             ;   in Loop: Header=BB47_17 Depth=1
	s_andn2_saveexec_b64 s[46:47], s[46:47]
	s_cbranch_execz .LBB47_742
; %bb.741:                              ;   in Loop: Header=BB47_17 Depth=1
	flat_load_dword v0, v[0:1]
	s_waitcnt vmcnt(0) lgkmcnt(0)
	v_cvt_f32_i32_e32 v64, v0
.LBB47_742:                             ;   in Loop: Header=BB47_17 Depth=1
	s_or_b64 exec, exec, s[46:47]
                                        ; implicit-def: $vgpr0_vgpr1
.LBB47_743:                             ;   in Loop: Header=BB47_17 Depth=1
	s_andn2_saveexec_b64 s[44:45], s[44:45]
	s_cbranch_execz .LBB47_745
; %bb.744:                              ;   in Loop: Header=BB47_17 Depth=1
	flat_load_sshort v0, v[0:1]
	s_waitcnt vmcnt(0) lgkmcnt(0)
	v_cvt_f32_i32_e32 v64, v0
.LBB47_745:                             ;   in Loop: Header=BB47_17 Depth=1
	s_or_b64 exec, exec, s[44:45]
                                        ; implicit-def: $vgpr0_vgpr1
.LBB47_746:                             ;   in Loop: Header=BB47_17 Depth=1
	s_andn2_saveexec_b64 s[42:43], s[42:43]
	s_cbranch_execz .LBB47_752
; %bb.747:                              ;   in Loop: Header=BB47_17 Depth=1
	v_cmp_gt_i16_sdwa s[44:45], v7, v14 src0_sel:BYTE_0 src1_sel:DWORD
                                        ; implicit-def: $vgpr64
	s_and_saveexec_b64 s[46:47], s[44:45]
	s_xor_b64 s[44:45], exec, s[46:47]
	s_cbranch_execz .LBB47_749
; %bb.748:                              ;   in Loop: Header=BB47_17 Depth=1
	flat_load_sbyte v0, v[0:1]
	s_waitcnt vmcnt(0) lgkmcnt(0)
	v_cvt_f32_i32_e32 v64, v0
                                        ; implicit-def: $vgpr0_vgpr1
.LBB47_749:                             ;   in Loop: Header=BB47_17 Depth=1
	s_andn2_saveexec_b64 s[44:45], s[44:45]
	s_cbranch_execz .LBB47_751
; %bb.750:                              ;   in Loop: Header=BB47_17 Depth=1
	flat_load_ubyte v0, v[0:1]
	s_waitcnt vmcnt(0) lgkmcnt(0)
	v_cvt_f32_ubyte0_e32 v64, v0
.LBB47_751:                             ;   in Loop: Header=BB47_17 Depth=1
	s_or_b64 exec, exec, s[44:45]
.LBB47_752:                             ;   in Loop: Header=BB47_17 Depth=1
	s_or_b64 exec, exec, s[42:43]
.LBB47_753:                             ;   in Loop: Header=BB47_17 Depth=1
	s_or_b64 exec, exec, s[40:41]
	s_andn2_b64 s[30:31], s[30:31], exec
	s_andn2_b64 s[28:29], s[28:29], exec
	s_or_b64 vcc, vcc, exec
	s_or_b64 exec, exec, s[38:39]
	s_mov_b64 s[40:41], 0
	s_and_saveexec_b64 s[38:39], vcc
	s_cbranch_execz .LBB47_759
.LBB47_754:                             ;   in Loop: Header=BB47_17 Depth=1
	v_mul_lo_u32 v0, v54, v10
	v_readlane_b32 s40, v44, 0
	v_add_co_u32_e32 v0, vcc, v4, v0
	v_add_u32_e32 v55, s40, v15
	v_addc_co_u32_e32 v1, vcc, 0, v5, vcc
	v_cmp_gt_i16_sdwa s[40:41], v8, v16 src0_sel:BYTE_0 src1_sel:DWORD
	s_mov_b64 s[44:45], 0
	s_waitcnt vmcnt(0) lgkmcnt(0)
	buffer_store_dword v64, v55, s[0:3], 0 offen offset:28
                                        ; implicit-def: $vcc
                                        ; implicit-def: $sgpr42_sgpr43
                                        ; implicit-def: $vgpr54
	s_and_saveexec_b64 s[46:47], s[40:41]
	s_xor_b64 s[40:41], exec, s[46:47]
	s_cbranch_execnz .LBB47_769
; %bb.755:                              ;   in Loop: Header=BB47_17 Depth=1
	s_andn2_saveexec_b64 s[40:41], s[40:41]
	s_cbranch_execnz .LBB47_828
.LBB47_756:                             ;   in Loop: Header=BB47_17 Depth=1
	s_or_b64 exec, exec, s[40:41]
	s_mov_b64 s[40:41], 0
	s_and_saveexec_b64 s[46:47], s[44:45]
	s_cbranch_execz .LBB47_758
.LBB47_757:                             ;   in Loop: Header=BB47_17 Depth=1
	s_mov_b64 s[40:41], exec
	v_add_u32_e32 v53, 0x200, v53
	s_andn2_b64 s[42:43], s[42:43], exec
	s_andn2_b64 vcc, vcc, exec
	s_waitcnt vmcnt(0) lgkmcnt(0)
	buffer_store_dword v54, v55, s[0:3], 0 offen offset:24
.LBB47_758:                             ;   in Loop: Header=BB47_17 Depth=1
	s_or_b64 exec, exec, s[46:47]
	s_andn2_b64 s[30:31], s[30:31], exec
	s_and_b64 s[42:43], s[42:43], exec
	s_andn2_b64 s[28:29], s[28:29], exec
	s_and_b64 vcc, vcc, exec
	s_or_b64 s[30:31], s[30:31], s[42:43]
	s_or_b64 s[28:29], s[28:29], vcc
	s_and_b64 s[40:41], s[40:41], exec
.LBB47_759:                             ;   in Loop: Header=BB47_17 Depth=1
	s_or_b64 exec, exec, s[38:39]
	s_and_b64 s[30:31], s[30:31], exec
	s_and_b64 s[28:29], s[28:29], exec
	s_orn2_b64 s[38:39], s[40:41], exec
.LBB47_760:                             ;   in Loop: Header=BB47_17 Depth=1
	s_or_b64 exec, exec, s[34:35]
	s_and_saveexec_b64 s[34:35], s[38:39]
	s_cbranch_execz .LBB47_13
; %bb.761:                              ;   in Loop: Header=BB47_17 Depth=1
	v_cmp_lt_i32_e32 vcc, v53, v6
	s_mov_b64 s[42:43], -1
	s_mov_b64 s[44:45], -1
                                        ; implicit-def: $sgpr36_sgpr37
                                        ; implicit-def: $sgpr38_sgpr39
	s_and_saveexec_b64 s[40:41], vcc
	s_cbranch_execz .LBB47_975
; %bb.762:                              ;   in Loop: Header=BB47_17 Depth=1
	v_readlane_b32 vcc_lo, v44, 1
	s_waitcnt vmcnt(0) lgkmcnt(0)
	v_add_u32_e32 v54, vcc_lo, v53
	v_mul_lo_u32 v0, v54, v9
	v_add_co_u32_e32 v0, vcc, v2, v0
	v_addc_co_u32_e32 v1, vcc, 0, v3, vcc
	v_cmp_gt_i16_sdwa s[44:45], v7, v16 src0_sel:BYTE_0 src1_sel:DWORD
	s_mov_b64 vcc, 0
                                        ; implicit-def: $sgpr36_sgpr37
                                        ; implicit-def: $sgpr38_sgpr39
                                        ; implicit-def: $vgpr64
	s_and_saveexec_b64 s[46:47], s[44:45]
	s_xor_b64 s[44:45], exec, s[46:47]
	s_cbranch_execnz .LBB47_869
; %bb.763:                              ;   in Loop: Header=BB47_17 Depth=1
	s_andn2_saveexec_b64 s[44:45], s[44:45]
	s_cbranch_execnz .LBB47_928
.LBB47_764:                             ;   in Loop: Header=BB47_17 Depth=1
	s_or_b64 exec, exec, s[44:45]
	s_mov_b64 s[46:47], 0
	s_and_saveexec_b64 s[44:45], vcc
	s_cbranch_execnz .LBB47_969
	s_branch .LBB47_974
.LBB47_765:                             ;   in Loop: Header=BB47_17 Depth=1
	s_movk_i32 vcc_lo, 0x80
	v_cmp_eq_u16_e32 vcc, vcc_lo, v0
	s_mov_b64 s[34:35], -1
                                        ; implicit-def: $sgpr40
	s_and_saveexec_b64 s[38:39], vcc
; %bb.766:                              ;   in Loop: Header=BB47_17 Depth=1
	s_mov_b32 s40, 0x7f800001
	s_xor_b64 s[34:35], exec, -1
; %bb.767:                              ;   in Loop: Header=BB47_17 Depth=1
	s_or_b64 exec, exec, s[38:39]
	s_and_b64 s[34:35], s[34:35], exec
	s_or_saveexec_b64 s[36:37], s[36:37]
	v_mov_b32_e32 v64, s40
	s_xor_b64 exec, exec, s[36:37]
	s_cbranch_execz .LBB47_48
.LBB47_768:                             ;   in Loop: Header=BB47_17 Depth=1
	v_cmp_ne_u16_e32 vcc, 0, v0
	s_andn2_b64 s[34:35], s[34:35], exec
	s_and_b64 vcc, vcc, exec
	v_mov_b32_e32 v64, 0
	s_or_b64 s[34:35], s[34:35], vcc
	s_or_b64 exec, exec, s[36:37]
	s_and_saveexec_b64 s[36:37], s[34:35]
	s_cbranch_execnz .LBB47_49
	s_branch .LBB47_50
.LBB47_769:                             ;   in Loop: Header=BB47_17 Depth=1
	v_cmp_gt_i16_sdwa vcc, v8, v17 src0_sel:BYTE_0 src1_sel:DWORD
                                        ; implicit-def: $sgpr46_sgpr47
                                        ; implicit-def: $sgpr48_sgpr49
                                        ; implicit-def: $vgpr54
	s_and_saveexec_b64 s[42:43], vcc
	s_xor_b64 s[42:43], exec, s[42:43]
	s_cbranch_execz .LBB47_801
; %bb.770:                              ;   in Loop: Header=BB47_17 Depth=1
	v_cmp_gt_i16_sdwa vcc, v8, v18 src0_sel:BYTE_0 src1_sel:DWORD
                                        ; implicit-def: $sgpr46_sgpr47
                                        ; implicit-def: $sgpr50_sgpr51
                                        ; implicit-def: $vgpr54
	s_and_saveexec_b64 s[48:49], vcc
	s_xor_b64 s[48:49], exec, s[48:49]
	s_cbranch_execz .LBB47_786
; %bb.771:                              ;   in Loop: Header=BB47_17 Depth=1
	v_cmp_gt_i16_sdwa s[44:45], v8, v19 src0_sel:BYTE_0 src1_sel:DWORD
	s_mov_b64 s[52:53], 0
                                        ; implicit-def: $vcc
                                        ; implicit-def: $sgpr50_sgpr51
                                        ; implicit-def: $vgpr54
	s_and_saveexec_b64 s[46:47], s[44:45]
	s_xor_b64 s[44:45], exec, s[46:47]
	s_cbranch_execz .LBB47_781
; %bb.772:                              ;   in Loop: Header=BB47_17 Depth=1
	v_cmp_gt_i16_sdwa vcc, v8, v20 src0_sel:BYTE_0 src1_sel:DWORD
                                        ; implicit-def: $sgpr50_sgpr51
                                        ; implicit-def: $sgpr46_sgpr47
                                        ; implicit-def: $vgpr54
	s_and_saveexec_b64 s[54:55], vcc
	s_xor_b64 vcc, exec, s[54:55]
	s_cbranch_execz .LBB47_776
; %bb.773:                              ;   in Loop: Header=BB47_17 Depth=1
	v_cmp_eq_u16_sdwa s[54:55], v8, v21 src0_sel:BYTE_0 src1_sel:DWORD
	s_mov_b64 s[46:47], 0
                                        ; implicit-def: $vgpr54
	s_and_saveexec_b64 s[50:51], s[54:55]
	s_cbranch_execz .LBB47_775
; %bb.774:                              ;   in Loop: Header=BB47_17 Depth=1
	flat_load_dword v0, v[0:1]
	s_mov_b64 s[52:53], exec
	s_waitcnt vmcnt(0) lgkmcnt(0)
	v_lshlrev_b32_e32 v54, 16, v0
.LBB47_775:                             ;   in Loop: Header=BB47_17 Depth=1
	s_or_b64 exec, exec, s[50:51]
	s_mov_b64 s[50:51], -1
	s_and_b64 s[52:53], s[52:53], exec
                                        ; implicit-def: $vgpr0_vgpr1
.LBB47_776:                             ;   in Loop: Header=BB47_17 Depth=1
	s_andn2_saveexec_b64 s[54:55], vcc
	s_cbranch_execz .LBB47_780
; %bb.777:                              ;   in Loop: Header=BB47_17 Depth=1
	v_cmp_eq_u16_sdwa s[58:59], v8, v22 src0_sel:BYTE_0 src1_sel:DWORD
	s_mov_b64 vcc, s[52:53]
                                        ; implicit-def: $vgpr54
	s_and_saveexec_b64 s[56:57], s[58:59]
	s_cbranch_execz .LBB47_779
; %bb.778:                              ;   in Loop: Header=BB47_17 Depth=1
	flat_load_ubyte v0, v[0:1]
	s_movk_i32 vcc_lo, 0xff
	s_waitcnt vmcnt(0) lgkmcnt(0)
	v_lshlrev_b32_e32 v1, 23, v0
	v_cmp_ne_u32_e32 vcc, vcc_lo, v0
	v_cndmask_b32_e32 v1, v23, v1, vcc
	v_cmp_ne_u32_e32 vcc, 0, v0
	v_cndmask_b32_e32 v54, v24, v1, vcc
	s_or_b64 vcc, s[52:53], exec
.LBB47_779:                             ;   in Loop: Header=BB47_17 Depth=1
	s_or_b64 exec, exec, s[56:57]
	s_andn2_b64 s[52:53], s[52:53], exec
	s_and_b64 vcc, vcc, exec
	s_or_b64 s[50:51], s[50:51], exec
	s_andn2_b64 s[46:47], s[46:47], exec
	s_or_b64 s[52:53], s[52:53], vcc
.LBB47_780:                             ;   in Loop: Header=BB47_17 Depth=1
	s_or_b64 exec, exec, s[54:55]
	s_and_b64 s[50:51], s[50:51], exec
	s_and_b64 vcc, s[46:47], exec
	s_and_b64 s[52:53], s[52:53], exec
                                        ; implicit-def: $vgpr0_vgpr1
.LBB47_781:                             ;   in Loop: Header=BB47_17 Depth=1
	s_andn2_saveexec_b64 s[44:45], s[44:45]
	s_cbranch_execz .LBB47_785
; %bb.782:                              ;   in Loop: Header=BB47_17 Depth=1
	v_cmp_eq_u16_sdwa s[56:57], v8, v25 src0_sel:BYTE_0 src1_sel:DWORD
	s_mov_b64 s[54:55], s[52:53]
                                        ; implicit-def: $vgpr54
	s_and_saveexec_b64 s[46:47], s[56:57]
	s_cbranch_execz .LBB47_784
; %bb.783:                              ;   in Loop: Header=BB47_17 Depth=1
	flat_load_dwordx2 v[0:1], v[0:1]
	s_or_b64 s[54:55], s[52:53], exec
	s_waitcnt vmcnt(0) lgkmcnt(0)
	v_ffbh_u32_e32 v54, v1
	v_min_u32_e32 v54, 32, v54
	v_lshlrev_b64 v[0:1], v54, v[0:1]
	v_min_u32_e32 v0, 1, v0
	v_or_b32_e32 v0, v1, v0
	v_cvt_f32_u32_e32 v0, v0
	v_sub_u32_e32 v1, 32, v54
	v_ldexp_f32 v54, v0, v1
.LBB47_784:                             ;   in Loop: Header=BB47_17 Depth=1
	s_or_b64 exec, exec, s[46:47]
	s_andn2_b64 s[46:47], s[52:53], exec
	s_and_b64 s[52:53], s[54:55], exec
	s_or_b64 s[50:51], s[50:51], exec
	s_andn2_b64 vcc, vcc, exec
	s_or_b64 s[52:53], s[46:47], s[52:53]
.LBB47_785:                             ;   in Loop: Header=BB47_17 Depth=1
	s_or_b64 exec, exec, s[44:45]
	s_and_b64 s[50:51], s[50:51], exec
	s_and_b64 s[46:47], vcc, exec
	s_and_b64 s[44:45], s[52:53], exec
                                        ; implicit-def: $vgpr0_vgpr1
.LBB47_786:                             ;   in Loop: Header=BB47_17 Depth=1
	s_andn2_saveexec_b64 s[48:49], s[48:49]
	s_cbranch_execz .LBB47_800
; %bb.787:                              ;   in Loop: Header=BB47_17 Depth=1
	v_cmp_gt_i16_sdwa vcc, v8, v26 src0_sel:BYTE_0 src1_sel:DWORD
                                        ; implicit-def: $vgpr54
	s_and_saveexec_b64 s[52:53], vcc
	s_xor_b64 vcc, exec, s[52:53]
	s_cbranch_execz .LBB47_793
; %bb.788:                              ;   in Loop: Header=BB47_17 Depth=1
	v_cmp_gt_i16_sdwa s[52:53], v8, v27 src0_sel:BYTE_0 src1_sel:DWORD
                                        ; implicit-def: $vgpr54
	s_and_saveexec_b64 s[54:55], s[52:53]
	s_xor_b64 s[52:53], exec, s[54:55]
	s_cbranch_execz .LBB47_790
; %bb.789:                              ;   in Loop: Header=BB47_17 Depth=1
	flat_load_dword v0, v[0:1]
	s_waitcnt vmcnt(0) lgkmcnt(0)
	v_cvt_f32_u32_e32 v54, v0
                                        ; implicit-def: $vgpr0_vgpr1
.LBB47_790:                             ;   in Loop: Header=BB47_17 Depth=1
	s_andn2_saveexec_b64 s[52:53], s[52:53]
	s_cbranch_execz .LBB47_792
; %bb.791:                              ;   in Loop: Header=BB47_17 Depth=1
	flat_load_ushort v0, v[0:1]
	s_waitcnt vmcnt(0) lgkmcnt(0)
	v_cvt_f32_u32_e32 v54, v0
.LBB47_792:                             ;   in Loop: Header=BB47_17 Depth=1
	s_or_b64 exec, exec, s[52:53]
                                        ; implicit-def: $vgpr0_vgpr1
.LBB47_793:                             ;   in Loop: Header=BB47_17 Depth=1
	s_andn2_saveexec_b64 s[52:53], vcc
	s_cbranch_execz .LBB47_799
; %bb.794:                              ;   in Loop: Header=BB47_17 Depth=1
	flat_load_ubyte v0, v[0:1]
	s_movk_i32 vcc_lo, 0x7f
	s_mov_b64 s[54:55], 0
                                        ; implicit-def: $sgpr60
	s_waitcnt vmcnt(0) lgkmcnt(0)
	v_cmp_lt_i16_e32 vcc, vcc_lo, v0
	s_and_saveexec_b64 s[56:57], vcc
	s_xor_b64 s[56:57], exec, s[56:57]
	s_cbranch_execnz .LBB47_1665
; %bb.795:                              ;   in Loop: Header=BB47_17 Depth=1
	s_or_saveexec_b64 s[56:57], s[56:57]
	v_mov_b32_e32 v54, s60
	s_xor_b64 exec, exec, s[56:57]
	s_cbranch_execnz .LBB47_1668
.LBB47_796:                             ;   in Loop: Header=BB47_17 Depth=1
	s_or_b64 exec, exec, s[56:57]
	s_and_saveexec_b64 s[56:57], s[54:55]
	s_cbranch_execz .LBB47_798
.LBB47_797:                             ;   in Loop: Header=BB47_17 Depth=1
	v_lshlrev_b32_e32 v1, 24, v0
	v_and_b32_e32 v0, 0xffff, v0
	v_and_b32_e32 v54, 7, v0
	v_ffbh_u32_e32 v65, v54
	v_min_u32_e32 v65, 32, v65
	v_subrev_u32_e32 v66, 28, v65
	v_bfe_u32 v64, v0, 3, 4
	v_lshlrev_b32_e32 v0, v66, v0
	v_sub_u32_e32 v65, 29, v65
	v_and_b32_e32 v0, 7, v0
	v_cmp_eq_u32_e32 vcc, 0, v64
	v_cndmask_b32_e32 v64, v64, v65, vcc
	v_cndmask_b32_e32 v0, v54, v0, vcc
	v_lshlrev_b32_e32 v0, 20, v0
	v_and_b32_e32 v1, 0x80000000, v1
	v_lshl_add_u32 v54, v64, 23, v28
	v_or3_b32 v54, v1, v54, v0
.LBB47_798:                             ;   in Loop: Header=BB47_17 Depth=1
	s_or_b64 exec, exec, s[56:57]
.LBB47_799:                             ;   in Loop: Header=BB47_17 Depth=1
	s_or_b64 exec, exec, s[52:53]
	s_andn2_b64 s[50:51], s[50:51], exec
	s_andn2_b64 s[46:47], s[46:47], exec
	s_or_b64 s[44:45], s[44:45], exec
.LBB47_800:                             ;   in Loop: Header=BB47_17 Depth=1
	s_or_b64 exec, exec, s[48:49]
	s_and_b64 s[48:49], s[50:51], exec
	s_and_b64 s[46:47], s[46:47], exec
	;; [unrolled: 1-line block ×3, first 2 shown]
                                        ; implicit-def: $vgpr0_vgpr1
.LBB47_801:                             ;   in Loop: Header=BB47_17 Depth=1
	s_andn2_saveexec_b64 s[42:43], s[42:43]
	s_cbranch_execz .LBB47_827
; %bb.802:                              ;   in Loop: Header=BB47_17 Depth=1
	v_cmp_gt_i16_sdwa vcc, v8, v29 src0_sel:BYTE_0 src1_sel:DWORD
	s_mov_b64 s[52:53], s[44:45]
                                        ; implicit-def: $vgpr54
	s_and_saveexec_b64 s[50:51], vcc
	s_xor_b64 s[50:51], exec, s[50:51]
	s_cbranch_execz .LBB47_816
; %bb.803:                              ;   in Loop: Header=BB47_17 Depth=1
	v_cmp_gt_i16_sdwa vcc, v8, v30 src0_sel:BYTE_0 src1_sel:DWORD
                                        ; implicit-def: $vgpr54
	s_and_saveexec_b64 s[52:53], vcc
	s_xor_b64 s[52:53], exec, s[52:53]
	s_cbranch_execz .LBB47_813
; %bb.804:                              ;   in Loop: Header=BB47_17 Depth=1
	v_cmp_gt_i16_sdwa vcc, v8, v31 src0_sel:BYTE_0 src1_sel:DWORD
                                        ; implicit-def: $vgpr54
	s_and_saveexec_b64 s[54:55], vcc
	s_xor_b64 s[54:55], exec, s[54:55]
	s_cbranch_execz .LBB47_810
; %bb.805:                              ;   in Loop: Header=BB47_17 Depth=1
	flat_load_ubyte v0, v[0:1]
	s_movk_i32 vcc_lo, 0x7f
	s_mov_b64 s[56:57], 0
                                        ; implicit-def: $sgpr62
	s_waitcnt vmcnt(0) lgkmcnt(0)
	v_cmp_lt_i16_e32 vcc, vcc_lo, v0
	s_and_saveexec_b64 s[58:59], vcc
	s_xor_b64 s[58:59], exec, s[58:59]
	s_cbranch_execnz .LBB47_1884
; %bb.806:                              ;   in Loop: Header=BB47_17 Depth=1
	s_or_saveexec_b64 s[58:59], s[58:59]
	v_mov_b32_e32 v54, s62
	s_xor_b64 exec, exec, s[58:59]
	s_cbranch_execnz .LBB47_1887
.LBB47_807:                             ;   in Loop: Header=BB47_17 Depth=1
	s_or_b64 exec, exec, s[58:59]
	s_and_saveexec_b64 s[58:59], s[56:57]
	s_cbranch_execz .LBB47_809
.LBB47_808:                             ;   in Loop: Header=BB47_17 Depth=1
	v_lshlrev_b32_e32 v1, 24, v0
	v_and_b32_e32 v0, 0xffff, v0
	v_and_b32_e32 v54, 3, v0
	v_ffbh_u32_e32 v65, v54
	v_min_u32_e32 v65, 32, v65
	v_subrev_u32_e32 v66, 29, v65
	v_bfe_u32 v64, v0, 2, 5
	v_lshlrev_b32_e32 v0, v66, v0
	v_sub_u32_e32 v65, 30, v65
	v_and_b32_e32 v0, 3, v0
	v_cmp_eq_u32_e32 vcc, 0, v64
	v_cndmask_b32_e32 v64, v64, v65, vcc
	v_cndmask_b32_e32 v0, v54, v0, vcc
	v_lshlrev_b32_e32 v0, 21, v0
	v_and_b32_e32 v1, 0x80000000, v1
	v_lshl_add_u32 v54, v64, 23, v32
	v_or3_b32 v54, v1, v54, v0
.LBB47_809:                             ;   in Loop: Header=BB47_17 Depth=1
	s_or_b64 exec, exec, s[58:59]
                                        ; implicit-def: $vgpr0_vgpr1
.LBB47_810:                             ;   in Loop: Header=BB47_17 Depth=1
	s_andn2_saveexec_b64 s[54:55], s[54:55]
	s_cbranch_execz .LBB47_812
; %bb.811:                              ;   in Loop: Header=BB47_17 Depth=1
	flat_load_ubyte v0, v[0:1]
	s_mov_b32 vcc_lo, 0x7f800000
	s_waitcnt vmcnt(0) lgkmcnt(0)
	v_lshlrev_b32_e32 v0, 24, v0
	v_and_b32_e32 v1, 0x7f000000, v0
	v_ffbh_u32_e32 v54, v1
	v_min_u32_e32 v54, 32, v54
	v_sub_u32_e64 v54, v54, 4 clamp
	v_lshlrev_b32_e32 v65, v54, v1
	v_lshlrev_b32_e32 v54, 23, v54
	v_lshrrev_b32_e32 v65, 4, v65
	v_add_u32_e32 v64, 0x1000000, v1
	v_sub_u32_e32 v54, v65, v54
	v_ashrrev_i32_e32 v64, 8, v64
	v_add_u32_e32 v54, 0x3c000000, v54
	v_and_or_b32 v54, v64, vcc_lo, v54
	v_cmp_ne_u32_e32 vcc, 0, v1
	v_cndmask_b32_e32 v1, 0, v54, vcc
	s_brev_b32 vcc_lo, 1
	v_and_or_b32 v54, v0, vcc_lo, v1
.LBB47_812:                             ;   in Loop: Header=BB47_17 Depth=1
	s_or_b64 exec, exec, s[54:55]
                                        ; implicit-def: $vgpr0_vgpr1
.LBB47_813:                             ;   in Loop: Header=BB47_17 Depth=1
	s_andn2_saveexec_b64 s[52:53], s[52:53]
	s_cbranch_execz .LBB47_815
; %bb.814:                              ;   in Loop: Header=BB47_17 Depth=1
	flat_load_ubyte v0, v[0:1]
	s_movk_i32 vcc_lo, 0x7f00
	s_waitcnt vmcnt(0) lgkmcnt(0)
	v_lshlrev_b16_e32 v1, 8, v0
	v_lshlrev_b32_e32 v0, 25, v0
	v_lshrrev_b32_e32 v54, 4, v0
	v_and_or_b32 v64, v1, vcc_lo, 0.5
	v_or_b32_e32 v54, 0x70000000, v54
	s_brev_b32 vcc_lo, 16
	v_add_f32_e32 v64, -0.5, v64
	v_mul_f32_e32 v54, 0x7800000, v54
	v_cmp_gt_u32_e32 vcc, vcc_lo, v0
	v_cndmask_b32_e32 v0, v54, v64, vcc
	v_bfe_i32 v1, v1, 0, 16
	s_brev_b32 vcc_lo, 1
	v_and_or_b32 v54, v1, vcc_lo, v0
.LBB47_815:                             ;   in Loop: Header=BB47_17 Depth=1
	s_or_b64 exec, exec, s[52:53]
	s_or_b64 s[52:53], s[44:45], exec
                                        ; implicit-def: $vgpr0_vgpr1
.LBB47_816:                             ;   in Loop: Header=BB47_17 Depth=1
	s_or_saveexec_b64 s[50:51], s[50:51]
                                        ; implicit-def: $vcc
                                        ; implicit-def: $sgpr58_sgpr59
	s_xor_b64 exec, exec, s[50:51]
	s_cbranch_execz .LBB47_826
; %bb.817:                              ;   in Loop: Header=BB47_17 Depth=1
	v_cmp_gt_i16_sdwa vcc, v8, v33 src0_sel:BYTE_0 src1_sel:DWORD
	s_mov_b64 s[56:57], s[52:53]
                                        ; implicit-def: $sgpr58_sgpr59
                                        ; implicit-def: $sgpr54_sgpr55
                                        ; implicit-def: $vgpr54
	s_and_saveexec_b64 s[60:61], vcc
	s_xor_b64 vcc, exec, s[60:61]
	s_cbranch_execz .LBB47_821
; %bb.818:                              ;   in Loop: Header=BB47_17 Depth=1
	v_cmp_eq_u16_sdwa s[58:59], v8, v34 src0_sel:BYTE_0 src1_sel:DWORD
	s_mov_b64 s[56:57], s[52:53]
                                        ; implicit-def: $vgpr54
	s_and_saveexec_b64 s[54:55], s[58:59]
	s_cbranch_execz .LBB47_820
; %bb.819:                              ;   in Loop: Header=BB47_17 Depth=1
	flat_load_ushort v0, v[0:1]
	s_or_b64 s[56:57], s[52:53], exec
	s_waitcnt vmcnt(0) lgkmcnt(0)
	v_lshlrev_b32_e32 v54, 16, v0
.LBB47_820:                             ;   in Loop: Header=BB47_17 Depth=1
	s_or_b64 exec, exec, s[54:55]
	s_andn2_b64 s[60:61], s[52:53], exec
	s_and_b64 s[56:57], s[56:57], exec
	s_mov_b64 s[54:55], 0
	s_mov_b64 s[58:59], -1
	s_or_b64 s[56:57], s[60:61], s[56:57]
                                        ; implicit-def: $vgpr0_vgpr1
.LBB47_821:                             ;   in Loop: Header=BB47_17 Depth=1
	s_andn2_saveexec_b64 s[60:61], vcc
	s_cbranch_execz .LBB47_825
; %bb.822:                              ;   in Loop: Header=BB47_17 Depth=1
	v_cmp_eq_u16_sdwa s[64:65], v8, v35 src0_sel:BYTE_0 src1_sel:DWORD
	s_mov_b64 vcc, s[56:57]
                                        ; implicit-def: $vgpr54
	s_and_saveexec_b64 s[62:63], s[64:65]
	s_cbranch_execz .LBB47_824
; %bb.823:                              ;   in Loop: Header=BB47_17 Depth=1
	flat_load_ubyte v0, v[0:1]
	s_waitcnt vmcnt(0) lgkmcnt(0)
	v_cmp_ne_u16_e32 vcc, 0, v0
	v_cndmask_b32_e64 v54, 0, 1.0, vcc
	s_or_b64 vcc, s[56:57], exec
.LBB47_824:                             ;   in Loop: Header=BB47_17 Depth=1
	s_or_b64 exec, exec, s[62:63]
	s_andn2_b64 s[56:57], s[56:57], exec
	s_and_b64 vcc, vcc, exec
	s_or_b64 s[58:59], s[58:59], exec
	s_andn2_b64 s[54:55], s[54:55], exec
	s_or_b64 s[56:57], s[56:57], vcc
.LBB47_825:                             ;   in Loop: Header=BB47_17 Depth=1
	s_or_b64 exec, exec, s[60:61]
	s_and_b64 vcc, s[54:55], exec
	s_andn2_b64 s[52:53], s[52:53], exec
	s_and_b64 s[54:55], s[56:57], exec
	s_and_b64 s[58:59], s[58:59], exec
	s_or_b64 s[52:53], s[52:53], s[54:55]
.LBB47_826:                             ;   in Loop: Header=BB47_17 Depth=1
	s_or_b64 exec, exec, s[50:51]
	s_andn2_b64 s[46:47], s[46:47], exec
	s_and_b64 vcc, vcc, exec
	s_andn2_b64 s[48:49], s[48:49], exec
	s_and_b64 s[50:51], s[58:59], exec
	s_or_b64 s[46:47], s[46:47], vcc
	s_andn2_b64 vcc, s[44:45], exec
	s_and_b64 s[44:45], s[52:53], exec
	s_or_b64 s[48:49], s[48:49], s[50:51]
	s_or_b64 s[44:45], vcc, s[44:45]
.LBB47_827:                             ;   in Loop: Header=BB47_17 Depth=1
	s_or_b64 exec, exec, s[42:43]
	s_and_b64 s[42:43], s[48:49], exec
	s_and_b64 vcc, s[46:47], exec
	s_and_b64 s[44:45], s[44:45], exec
                                        ; implicit-def: $vgpr0_vgpr1
	s_andn2_saveexec_b64 s[40:41], s[40:41]
	s_cbranch_execz .LBB47_756
.LBB47_828:                             ;   in Loop: Header=BB47_17 Depth=1
	v_cmp_gt_i16_sdwa s[46:47], v8, v36 src0_sel:BYTE_0 src1_sel:DWORD
                                        ; implicit-def: $vgpr54
	s_and_saveexec_b64 s[48:49], s[46:47]
	s_xor_b64 s[46:47], exec, s[48:49]
	s_cbranch_execz .LBB47_850
; %bb.829:                              ;   in Loop: Header=BB47_17 Depth=1
	v_cmp_gt_i16_sdwa s[48:49], v8, v37 src0_sel:BYTE_0 src1_sel:DWORD
                                        ; implicit-def: $vgpr54
	s_and_saveexec_b64 s[50:51], s[48:49]
	s_xor_b64 s[48:49], exec, s[50:51]
	s_cbranch_execz .LBB47_839
; %bb.830:                              ;   in Loop: Header=BB47_17 Depth=1
	;; [unrolled: 6-line block ×4, first 2 shown]
	flat_load_dwordx2 v[0:1], v[0:1]
	s_waitcnt vmcnt(0) lgkmcnt(0)
	v_cvt_f32_f64_e32 v54, v[0:1]
                                        ; implicit-def: $vgpr0_vgpr1
.LBB47_833:                             ;   in Loop: Header=BB47_17 Depth=1
	s_andn2_saveexec_b64 s[52:53], s[52:53]
	s_cbranch_execz .LBB47_835
; %bb.834:                              ;   in Loop: Header=BB47_17 Depth=1
	flat_load_dword v54, v[0:1]
.LBB47_835:                             ;   in Loop: Header=BB47_17 Depth=1
	s_or_b64 exec, exec, s[52:53]
                                        ; implicit-def: $vgpr0_vgpr1
.LBB47_836:                             ;   in Loop: Header=BB47_17 Depth=1
	s_andn2_saveexec_b64 s[50:51], s[50:51]
	s_cbranch_execz .LBB47_838
; %bb.837:                              ;   in Loop: Header=BB47_17 Depth=1
	flat_load_dword v0, v[0:1]
	s_waitcnt vmcnt(0) lgkmcnt(0)
	v_cvt_f32_f16_e32 v54, v0
.LBB47_838:                             ;   in Loop: Header=BB47_17 Depth=1
	s_or_b64 exec, exec, s[50:51]
                                        ; implicit-def: $vgpr0_vgpr1
.LBB47_839:                             ;   in Loop: Header=BB47_17 Depth=1
	s_andn2_saveexec_b64 s[48:49], s[48:49]
	s_cbranch_execz .LBB47_849
; %bb.840:                              ;   in Loop: Header=BB47_17 Depth=1
	v_cmp_gt_i16_sdwa s[50:51], v8, v48 src0_sel:BYTE_0 src1_sel:DWORD
                                        ; implicit-def: $vgpr54
	s_and_saveexec_b64 s[52:53], s[50:51]
	s_xor_b64 s[50:51], exec, s[52:53]
	s_cbranch_execz .LBB47_846
; %bb.841:                              ;   in Loop: Header=BB47_17 Depth=1
	v_cmp_gt_i16_sdwa s[52:53], v8, v49 src0_sel:BYTE_0 src1_sel:DWORD
                                        ; implicit-def: $vgpr54
	s_and_saveexec_b64 s[54:55], s[52:53]
	s_xor_b64 s[52:53], exec, s[54:55]
	s_cbranch_execz .LBB47_843
; %bb.842:                              ;   in Loop: Header=BB47_17 Depth=1
	flat_load_dwordx2 v[0:1], v[0:1]
	s_waitcnt vmcnt(0) lgkmcnt(0)
	v_cvt_f32_f64_e32 v54, v[0:1]
                                        ; implicit-def: $vgpr0_vgpr1
.LBB47_843:                             ;   in Loop: Header=BB47_17 Depth=1
	s_andn2_saveexec_b64 s[52:53], s[52:53]
	s_cbranch_execz .LBB47_845
; %bb.844:                              ;   in Loop: Header=BB47_17 Depth=1
	s_waitcnt vmcnt(0) lgkmcnt(0)
	flat_load_dword v54, v[0:1]
.LBB47_845:                             ;   in Loop: Header=BB47_17 Depth=1
	s_or_b64 exec, exec, s[52:53]
                                        ; implicit-def: $vgpr0_vgpr1
.LBB47_846:                             ;   in Loop: Header=BB47_17 Depth=1
	s_andn2_saveexec_b64 s[50:51], s[50:51]
	s_cbranch_execz .LBB47_848
; %bb.847:                              ;   in Loop: Header=BB47_17 Depth=1
	flat_load_ushort v0, v[0:1]
	s_waitcnt vmcnt(0) lgkmcnt(0)
	v_cvt_f32_f16_e32 v54, v0
.LBB47_848:                             ;   in Loop: Header=BB47_17 Depth=1
	s_or_b64 exec, exec, s[50:51]
.LBB47_849:                             ;   in Loop: Header=BB47_17 Depth=1
	s_or_b64 exec, exec, s[48:49]
                                        ; implicit-def: $vgpr0_vgpr1
.LBB47_850:                             ;   in Loop: Header=BB47_17 Depth=1
	s_andn2_saveexec_b64 s[46:47], s[46:47]
	s_cbranch_execz .LBB47_868
; %bb.851:                              ;   in Loop: Header=BB47_17 Depth=1
	v_cmp_gt_i16_sdwa s[48:49], v8, v50 src0_sel:BYTE_0 src1_sel:DWORD
                                        ; implicit-def: $vgpr54
	s_and_saveexec_b64 s[50:51], s[48:49]
	s_xor_b64 s[48:49], exec, s[50:51]
	s_cbranch_execz .LBB47_861
; %bb.852:                              ;   in Loop: Header=BB47_17 Depth=1
	v_cmp_gt_i16_sdwa s[50:51], v8, v51 src0_sel:BYTE_0 src1_sel:DWORD
                                        ; implicit-def: $vgpr54
	s_and_saveexec_b64 s[52:53], s[50:51]
	s_xor_b64 s[50:51], exec, s[52:53]
	;; [unrolled: 6-line block ×3, first 2 shown]
	s_cbranch_execz .LBB47_855
; %bb.854:                              ;   in Loop: Header=BB47_17 Depth=1
	flat_load_dwordx2 v[0:1], v[0:1]
	s_waitcnt vmcnt(0) lgkmcnt(0)
	v_xor_b32_e32 v64, v0, v1
	v_ffbh_i32_e32 v54, v1
	v_ashrrev_i32_e32 v64, 31, v64
	v_add_u32_e32 v54, -1, v54
	v_add_u32_e32 v64, 32, v64
	v_min_u32_e32 v54, v54, v64
	v_lshlrev_b64 v[0:1], v54, v[0:1]
	v_min_u32_e32 v0, 1, v0
	v_or_b32_e32 v0, v1, v0
	v_cvt_f32_i32_e32 v0, v0
	v_sub_u32_e32 v1, 32, v54
	v_ldexp_f32 v54, v0, v1
                                        ; implicit-def: $vgpr0_vgpr1
.LBB47_855:                             ;   in Loop: Header=BB47_17 Depth=1
	s_andn2_saveexec_b64 s[52:53], s[52:53]
	s_cbranch_execz .LBB47_857
; %bb.856:                              ;   in Loop: Header=BB47_17 Depth=1
	flat_load_dword v0, v[0:1]
	s_waitcnt vmcnt(0) lgkmcnt(0)
	v_cvt_f32_i32_e32 v54, v0
.LBB47_857:                             ;   in Loop: Header=BB47_17 Depth=1
	s_or_b64 exec, exec, s[52:53]
                                        ; implicit-def: $vgpr0_vgpr1
.LBB47_858:                             ;   in Loop: Header=BB47_17 Depth=1
	s_andn2_saveexec_b64 s[50:51], s[50:51]
	s_cbranch_execz .LBB47_860
; %bb.859:                              ;   in Loop: Header=BB47_17 Depth=1
	flat_load_sshort v0, v[0:1]
	s_waitcnt vmcnt(0) lgkmcnt(0)
	v_cvt_f32_i32_e32 v54, v0
.LBB47_860:                             ;   in Loop: Header=BB47_17 Depth=1
	s_or_b64 exec, exec, s[50:51]
                                        ; implicit-def: $vgpr0_vgpr1
.LBB47_861:                             ;   in Loop: Header=BB47_17 Depth=1
	s_andn2_saveexec_b64 s[48:49], s[48:49]
	s_cbranch_execz .LBB47_867
; %bb.862:                              ;   in Loop: Header=BB47_17 Depth=1
	v_cmp_gt_i16_sdwa s[50:51], v8, v14 src0_sel:BYTE_0 src1_sel:DWORD
                                        ; implicit-def: $vgpr54
	s_and_saveexec_b64 s[52:53], s[50:51]
	s_xor_b64 s[50:51], exec, s[52:53]
	s_cbranch_execz .LBB47_864
; %bb.863:                              ;   in Loop: Header=BB47_17 Depth=1
	flat_load_sbyte v0, v[0:1]
	s_waitcnt vmcnt(0) lgkmcnt(0)
	v_cvt_f32_i32_e32 v54, v0
                                        ; implicit-def: $vgpr0_vgpr1
.LBB47_864:                             ;   in Loop: Header=BB47_17 Depth=1
	s_andn2_saveexec_b64 s[50:51], s[50:51]
	s_cbranch_execz .LBB47_866
; %bb.865:                              ;   in Loop: Header=BB47_17 Depth=1
	flat_load_ubyte v0, v[0:1]
	s_waitcnt vmcnt(0) lgkmcnt(0)
	v_cvt_f32_ubyte0_e32 v54, v0
.LBB47_866:                             ;   in Loop: Header=BB47_17 Depth=1
	s_or_b64 exec, exec, s[50:51]
.LBB47_867:                             ;   in Loop: Header=BB47_17 Depth=1
	s_or_b64 exec, exec, s[48:49]
.LBB47_868:                             ;   in Loop: Header=BB47_17 Depth=1
	s_or_b64 exec, exec, s[46:47]
	s_andn2_b64 s[42:43], s[42:43], exec
	s_andn2_b64 vcc, vcc, exec
	s_or_b64 s[44:45], s[44:45], exec
	s_or_b64 exec, exec, s[40:41]
	s_mov_b64 s[40:41], 0
	s_and_saveexec_b64 s[46:47], s[44:45]
	s_cbranch_execnz .LBB47_757
	s_branch .LBB47_758
.LBB47_869:                             ;   in Loop: Header=BB47_17 Depth=1
	v_cmp_gt_i16_sdwa vcc, v7, v17 src0_sel:BYTE_0 src1_sel:DWORD
	s_mov_b64 s[46:47], 0
                                        ; implicit-def: $sgpr48_sgpr49
                                        ; implicit-def: $sgpr38_sgpr39
                                        ; implicit-def: $vgpr64
	s_and_saveexec_b64 s[36:37], vcc
	s_xor_b64 s[36:37], exec, s[36:37]
	s_cbranch_execz .LBB47_901
; %bb.870:                              ;   in Loop: Header=BB47_17 Depth=1
	v_cmp_gt_i16_sdwa vcc, v7, v18 src0_sel:BYTE_0 src1_sel:DWORD
                                        ; implicit-def: $sgpr48_sgpr49
                                        ; implicit-def: $sgpr50_sgpr51
                                        ; implicit-def: $vgpr64
	s_and_saveexec_b64 s[38:39], vcc
	s_xor_b64 s[38:39], exec, s[38:39]
	s_cbranch_execz .LBB47_886
; %bb.871:                              ;   in Loop: Header=BB47_17 Depth=1
	v_cmp_gt_i16_sdwa s[46:47], v7, v19 src0_sel:BYTE_0 src1_sel:DWORD
	s_mov_b64 s[52:53], 0
                                        ; implicit-def: $vcc
                                        ; implicit-def: $sgpr48_sgpr49
                                        ; implicit-def: $vgpr64
	s_and_saveexec_b64 s[50:51], s[46:47]
	s_xor_b64 s[46:47], exec, s[50:51]
	s_cbranch_execz .LBB47_881
; %bb.872:                              ;   in Loop: Header=BB47_17 Depth=1
	v_cmp_gt_i16_sdwa vcc, v7, v20 src0_sel:BYTE_0 src1_sel:DWORD
	s_mov_b64 s[50:51], 0
                                        ; implicit-def: $sgpr48_sgpr49
                                        ; implicit-def: $sgpr52_sgpr53
                                        ; implicit-def: $vgpr64
	s_and_saveexec_b64 s[54:55], vcc
	s_xor_b64 vcc, exec, s[54:55]
	s_cbranch_execz .LBB47_876
; %bb.873:                              ;   in Loop: Header=BB47_17 Depth=1
	v_cmp_eq_u16_sdwa s[54:55], v7, v21 src0_sel:BYTE_0 src1_sel:DWORD
	s_mov_b64 s[48:49], 0
                                        ; implicit-def: $vgpr64
	s_and_saveexec_b64 s[52:53], s[54:55]
	s_cbranch_execz .LBB47_875
; %bb.874:                              ;   in Loop: Header=BB47_17 Depth=1
	flat_load_dword v0, v[0:1]
	s_mov_b64 s[50:51], exec
	s_waitcnt vmcnt(0) lgkmcnt(0)
	v_lshlrev_b32_e32 v64, 16, v0
.LBB47_875:                             ;   in Loop: Header=BB47_17 Depth=1
	s_or_b64 exec, exec, s[52:53]
	s_mov_b64 s[52:53], -1
	s_and_b64 s[50:51], s[50:51], exec
                                        ; implicit-def: $vgpr0_vgpr1
.LBB47_876:                             ;   in Loop: Header=BB47_17 Depth=1
	s_andn2_saveexec_b64 s[54:55], vcc
	s_cbranch_execz .LBB47_880
; %bb.877:                              ;   in Loop: Header=BB47_17 Depth=1
	v_cmp_eq_u16_sdwa s[58:59], v7, v22 src0_sel:BYTE_0 src1_sel:DWORD
	s_mov_b64 vcc, s[50:51]
                                        ; implicit-def: $vgpr64
	s_and_saveexec_b64 s[56:57], s[58:59]
	s_cbranch_execz .LBB47_879
; %bb.878:                              ;   in Loop: Header=BB47_17 Depth=1
	flat_load_ubyte v0, v[0:1]
	s_movk_i32 vcc_lo, 0xff
	s_waitcnt vmcnt(0) lgkmcnt(0)
	v_lshlrev_b32_e32 v1, 23, v0
	v_cmp_ne_u32_e32 vcc, vcc_lo, v0
	v_cndmask_b32_e32 v1, v23, v1, vcc
	v_cmp_ne_u32_e32 vcc, 0, v0
	v_cndmask_b32_e32 v64, v24, v1, vcc
	s_or_b64 vcc, s[50:51], exec
.LBB47_879:                             ;   in Loop: Header=BB47_17 Depth=1
	s_or_b64 exec, exec, s[56:57]
	s_andn2_b64 s[50:51], s[50:51], exec
	s_and_b64 vcc, vcc, exec
	s_andn2_b64 s[48:49], s[48:49], exec
	s_or_b64 s[52:53], s[52:53], exec
	s_or_b64 s[50:51], s[50:51], vcc
.LBB47_880:                             ;   in Loop: Header=BB47_17 Depth=1
	s_or_b64 exec, exec, s[54:55]
	s_and_b64 s[48:49], s[48:49], exec
	s_and_b64 vcc, s[52:53], exec
	s_and_b64 s[52:53], s[50:51], exec
                                        ; implicit-def: $vgpr0_vgpr1
.LBB47_881:                             ;   in Loop: Header=BB47_17 Depth=1
	s_andn2_saveexec_b64 s[46:47], s[46:47]
	s_cbranch_execz .LBB47_885
; %bb.882:                              ;   in Loop: Header=BB47_17 Depth=1
	v_cmp_eq_u16_sdwa s[56:57], v7, v25 src0_sel:BYTE_0 src1_sel:DWORD
	s_mov_b64 s[54:55], s[52:53]
                                        ; implicit-def: $vgpr64
	s_and_saveexec_b64 s[50:51], s[56:57]
	s_cbranch_execz .LBB47_884
; %bb.883:                              ;   in Loop: Header=BB47_17 Depth=1
	flat_load_dwordx2 v[0:1], v[0:1]
	s_or_b64 s[54:55], s[52:53], exec
	s_waitcnt vmcnt(0) lgkmcnt(0)
	v_ffbh_u32_e32 v55, v1
	v_min_u32_e32 v55, 32, v55
	s_waitcnt vmcnt(0) expcnt(0) lgkmcnt(0)
	v_swap_b32 v2, v55
	v_lshlrev_b64 v[0:1], v2, v[0:1]
	v_swap_b32 v55, v2
	v_min_u32_e32 v0, 1, v0
	v_or_b32_e32 v0, v1, v0
	v_cvt_f32_u32_e32 v0, v0
	v_sub_u32_e32 v1, 32, v55
	v_ldexp_f32 v64, v0, v1
.LBB47_884:                             ;   in Loop: Header=BB47_17 Depth=1
	s_or_b64 exec, exec, s[50:51]
	s_andn2_b64 s[50:51], s[52:53], exec
	s_and_b64 s[52:53], s[54:55], exec
	s_andn2_b64 s[48:49], s[48:49], exec
	s_or_b64 vcc, vcc, exec
	s_or_b64 s[52:53], s[50:51], s[52:53]
.LBB47_885:                             ;   in Loop: Header=BB47_17 Depth=1
	s_or_b64 exec, exec, s[46:47]
	s_and_b64 s[50:51], s[48:49], exec
	s_and_b64 s[48:49], vcc, exec
	s_and_b64 s[46:47], s[52:53], exec
                                        ; implicit-def: $vgpr0_vgpr1
.LBB47_886:                             ;   in Loop: Header=BB47_17 Depth=1
	s_andn2_saveexec_b64 s[38:39], s[38:39]
	s_cbranch_execz .LBB47_900
; %bb.887:                              ;   in Loop: Header=BB47_17 Depth=1
	v_cmp_gt_i16_sdwa vcc, v7, v26 src0_sel:BYTE_0 src1_sel:DWORD
                                        ; implicit-def: $vgpr64
	s_and_saveexec_b64 s[52:53], vcc
	s_xor_b64 vcc, exec, s[52:53]
	s_cbranch_execz .LBB47_893
; %bb.888:                              ;   in Loop: Header=BB47_17 Depth=1
	v_cmp_gt_i16_sdwa s[52:53], v7, v27 src0_sel:BYTE_0 src1_sel:DWORD
                                        ; implicit-def: $vgpr64
	s_and_saveexec_b64 s[54:55], s[52:53]
	s_xor_b64 s[52:53], exec, s[54:55]
	s_cbranch_execz .LBB47_890
; %bb.889:                              ;   in Loop: Header=BB47_17 Depth=1
	flat_load_dword v0, v[0:1]
	s_waitcnt vmcnt(0) lgkmcnt(0)
	v_cvt_f32_u32_e32 v64, v0
                                        ; implicit-def: $vgpr0_vgpr1
.LBB47_890:                             ;   in Loop: Header=BB47_17 Depth=1
	s_andn2_saveexec_b64 s[52:53], s[52:53]
	s_cbranch_execz .LBB47_892
; %bb.891:                              ;   in Loop: Header=BB47_17 Depth=1
	flat_load_ushort v0, v[0:1]
	s_waitcnt vmcnt(0) lgkmcnt(0)
	v_cvt_f32_u32_e32 v64, v0
.LBB47_892:                             ;   in Loop: Header=BB47_17 Depth=1
	s_or_b64 exec, exec, s[52:53]
                                        ; implicit-def: $vgpr0_vgpr1
.LBB47_893:                             ;   in Loop: Header=BB47_17 Depth=1
	s_andn2_saveexec_b64 s[52:53], vcc
	s_cbranch_execz .LBB47_899
; %bb.894:                              ;   in Loop: Header=BB47_17 Depth=1
	flat_load_ubyte v0, v[0:1]
	s_movk_i32 vcc_lo, 0x7f
	s_mov_b64 s[54:55], 0
                                        ; implicit-def: $sgpr60
	s_waitcnt vmcnt(0) lgkmcnt(0)
	v_cmp_lt_i16_e32 vcc, vcc_lo, v0
	s_and_saveexec_b64 s[56:57], vcc
	s_xor_b64 s[56:57], exec, s[56:57]
	s_cbranch_execnz .LBB47_1669
; %bb.895:                              ;   in Loop: Header=BB47_17 Depth=1
	s_or_saveexec_b64 s[56:57], s[56:57]
	v_mov_b32_e32 v64, s60
	s_xor_b64 exec, exec, s[56:57]
	s_cbranch_execnz .LBB47_1672
.LBB47_896:                             ;   in Loop: Header=BB47_17 Depth=1
	s_or_b64 exec, exec, s[56:57]
	s_and_saveexec_b64 s[56:57], s[54:55]
	s_cbranch_execz .LBB47_898
.LBB47_897:                             ;   in Loop: Header=BB47_17 Depth=1
	v_lshlrev_b32_e32 v1, 24, v0
	v_and_b32_e32 v0, 0xffff, v0
	v_and_b32_e32 v55, 7, v0
	v_ffbh_u32_e32 v65, v55
	v_min_u32_e32 v65, 32, v65
	v_subrev_u32_e32 v66, 28, v65
	v_bfe_u32 v64, v0, 3, 4
	v_lshlrev_b32_e32 v0, v66, v0
	v_sub_u32_e32 v65, 29, v65
	v_and_b32_e32 v0, 7, v0
	v_cmp_eq_u32_e32 vcc, 0, v64
	v_cndmask_b32_e32 v64, v64, v65, vcc
	v_cndmask_b32_e32 v0, v55, v0, vcc
	v_lshlrev_b32_e32 v0, 20, v0
	v_and_b32_e32 v1, 0x80000000, v1
	v_lshl_add_u32 v55, v64, 23, v28
	v_or3_b32 v64, v1, v55, v0
.LBB47_898:                             ;   in Loop: Header=BB47_17 Depth=1
	s_or_b64 exec, exec, s[56:57]
.LBB47_899:                             ;   in Loop: Header=BB47_17 Depth=1
	s_or_b64 exec, exec, s[52:53]
	s_andn2_b64 s[50:51], s[50:51], exec
	s_andn2_b64 s[48:49], s[48:49], exec
	s_or_b64 s[46:47], s[46:47], exec
.LBB47_900:                             ;   in Loop: Header=BB47_17 Depth=1
	s_or_b64 exec, exec, s[38:39]
	s_and_b64 s[38:39], s[50:51], exec
	s_and_b64 s[48:49], s[48:49], exec
	;; [unrolled: 1-line block ×3, first 2 shown]
                                        ; implicit-def: $vgpr0_vgpr1
.LBB47_901:                             ;   in Loop: Header=BB47_17 Depth=1
	s_andn2_saveexec_b64 s[36:37], s[36:37]
	s_cbranch_execz .LBB47_927
; %bb.902:                              ;   in Loop: Header=BB47_17 Depth=1
	v_cmp_gt_i16_sdwa vcc, v7, v29 src0_sel:BYTE_0 src1_sel:DWORD
	s_mov_b64 s[52:53], s[46:47]
                                        ; implicit-def: $vgpr64
	s_and_saveexec_b64 s[50:51], vcc
	s_xor_b64 s[50:51], exec, s[50:51]
	s_cbranch_execz .LBB47_916
; %bb.903:                              ;   in Loop: Header=BB47_17 Depth=1
	v_cmp_gt_i16_sdwa vcc, v7, v30 src0_sel:BYTE_0 src1_sel:DWORD
                                        ; implicit-def: $vgpr64
	s_and_saveexec_b64 s[52:53], vcc
	s_xor_b64 s[52:53], exec, s[52:53]
	s_cbranch_execz .LBB47_913
; %bb.904:                              ;   in Loop: Header=BB47_17 Depth=1
	v_cmp_gt_i16_sdwa vcc, v7, v31 src0_sel:BYTE_0 src1_sel:DWORD
                                        ; implicit-def: $vgpr64
	s_and_saveexec_b64 s[54:55], vcc
	s_xor_b64 s[54:55], exec, s[54:55]
	s_cbranch_execz .LBB47_910
; %bb.905:                              ;   in Loop: Header=BB47_17 Depth=1
	flat_load_ubyte v0, v[0:1]
	s_movk_i32 vcc_lo, 0x7f
	s_mov_b64 s[56:57], 0
                                        ; implicit-def: $sgpr62
	s_waitcnt vmcnt(0) lgkmcnt(0)
	v_cmp_lt_i16_e32 vcc, vcc_lo, v0
	s_and_saveexec_b64 s[58:59], vcc
	s_xor_b64 s[58:59], exec, s[58:59]
	s_cbranch_execnz .LBB47_1888
; %bb.906:                              ;   in Loop: Header=BB47_17 Depth=1
	s_or_saveexec_b64 s[58:59], s[58:59]
	v_mov_b32_e32 v64, s62
	s_xor_b64 exec, exec, s[58:59]
	s_cbranch_execnz .LBB47_1891
.LBB47_907:                             ;   in Loop: Header=BB47_17 Depth=1
	s_or_b64 exec, exec, s[58:59]
	s_and_saveexec_b64 s[58:59], s[56:57]
	s_cbranch_execz .LBB47_909
.LBB47_908:                             ;   in Loop: Header=BB47_17 Depth=1
	v_lshlrev_b32_e32 v1, 24, v0
	v_and_b32_e32 v0, 0xffff, v0
	v_and_b32_e32 v55, 3, v0
	v_ffbh_u32_e32 v65, v55
	v_min_u32_e32 v65, 32, v65
	v_subrev_u32_e32 v66, 29, v65
	v_bfe_u32 v64, v0, 2, 5
	v_lshlrev_b32_e32 v0, v66, v0
	v_sub_u32_e32 v65, 30, v65
	v_and_b32_e32 v0, 3, v0
	v_cmp_eq_u32_e32 vcc, 0, v64
	v_cndmask_b32_e32 v64, v64, v65, vcc
	v_cndmask_b32_e32 v0, v55, v0, vcc
	v_lshlrev_b32_e32 v0, 21, v0
	v_and_b32_e32 v1, 0x80000000, v1
	v_lshl_add_u32 v55, v64, 23, v32
	v_or3_b32 v64, v1, v55, v0
.LBB47_909:                             ;   in Loop: Header=BB47_17 Depth=1
	s_or_b64 exec, exec, s[58:59]
                                        ; implicit-def: $vgpr0_vgpr1
.LBB47_910:                             ;   in Loop: Header=BB47_17 Depth=1
	s_andn2_saveexec_b64 s[54:55], s[54:55]
	s_cbranch_execz .LBB47_912
; %bb.911:                              ;   in Loop: Header=BB47_17 Depth=1
	flat_load_ubyte v0, v[0:1]
	s_mov_b32 vcc_lo, 0x7f800000
	s_waitcnt vmcnt(0) lgkmcnt(0)
	v_lshlrev_b32_e32 v0, 24, v0
	v_and_b32_e32 v1, 0x7f000000, v0
	v_ffbh_u32_e32 v55, v1
	v_min_u32_e32 v55, 32, v55
	v_sub_u32_e64 v55, v55, 4 clamp
	v_lshlrev_b32_e32 v65, v55, v1
	v_lshlrev_b32_e32 v55, 23, v55
	v_lshrrev_b32_e32 v65, 4, v65
	v_add_u32_e32 v64, 0x1000000, v1
	v_sub_u32_e32 v55, v65, v55
	v_ashrrev_i32_e32 v64, 8, v64
	v_add_u32_e32 v55, 0x3c000000, v55
	v_and_or_b32 v55, v64, vcc_lo, v55
	v_cmp_ne_u32_e32 vcc, 0, v1
	v_cndmask_b32_e32 v1, 0, v55, vcc
	s_brev_b32 vcc_lo, 1
	v_and_or_b32 v64, v0, vcc_lo, v1
.LBB47_912:                             ;   in Loop: Header=BB47_17 Depth=1
	s_or_b64 exec, exec, s[54:55]
                                        ; implicit-def: $vgpr0_vgpr1
.LBB47_913:                             ;   in Loop: Header=BB47_17 Depth=1
	s_andn2_saveexec_b64 s[52:53], s[52:53]
	s_cbranch_execz .LBB47_915
; %bb.914:                              ;   in Loop: Header=BB47_17 Depth=1
	flat_load_ubyte v0, v[0:1]
	s_movk_i32 vcc_lo, 0x7f00
	s_waitcnt vmcnt(0) lgkmcnt(0)
	v_lshlrev_b16_e32 v1, 8, v0
	v_lshlrev_b32_e32 v0, 25, v0
	v_lshrrev_b32_e32 v55, 4, v0
	v_and_or_b32 v64, v1, vcc_lo, 0.5
	v_or_b32_e32 v55, 0x70000000, v55
	s_brev_b32 vcc_lo, 16
	v_add_f32_e32 v64, -0.5, v64
	v_mul_f32_e32 v55, 0x7800000, v55
	v_cmp_gt_u32_e32 vcc, vcc_lo, v0
	v_cndmask_b32_e32 v0, v55, v64, vcc
	v_bfe_i32 v1, v1, 0, 16
	s_brev_b32 vcc_lo, 1
	v_and_or_b32 v64, v1, vcc_lo, v0
.LBB47_915:                             ;   in Loop: Header=BB47_17 Depth=1
	s_or_b64 exec, exec, s[52:53]
	s_or_b64 s[52:53], s[46:47], exec
                                        ; implicit-def: $vgpr0_vgpr1
.LBB47_916:                             ;   in Loop: Header=BB47_17 Depth=1
	s_or_saveexec_b64 s[50:51], s[50:51]
                                        ; implicit-def: $vcc
                                        ; implicit-def: $sgpr58_sgpr59
	s_xor_b64 exec, exec, s[50:51]
	s_cbranch_execz .LBB47_926
; %bb.917:                              ;   in Loop: Header=BB47_17 Depth=1
	v_cmp_gt_i16_sdwa vcc, v7, v33 src0_sel:BYTE_0 src1_sel:DWORD
	s_mov_b64 s[56:57], s[52:53]
                                        ; implicit-def: $sgpr58_sgpr59
                                        ; implicit-def: $sgpr54_sgpr55
                                        ; implicit-def: $vgpr64
	s_and_saveexec_b64 s[60:61], vcc
	s_xor_b64 vcc, exec, s[60:61]
	s_cbranch_execz .LBB47_921
; %bb.918:                              ;   in Loop: Header=BB47_17 Depth=1
	v_cmp_eq_u16_sdwa s[58:59], v7, v34 src0_sel:BYTE_0 src1_sel:DWORD
	s_mov_b64 s[56:57], s[52:53]
                                        ; implicit-def: $vgpr64
	s_and_saveexec_b64 s[54:55], s[58:59]
	s_cbranch_execz .LBB47_920
; %bb.919:                              ;   in Loop: Header=BB47_17 Depth=1
	flat_load_ushort v0, v[0:1]
	s_or_b64 s[56:57], s[52:53], exec
	s_waitcnt vmcnt(0) lgkmcnt(0)
	v_lshlrev_b32_e32 v64, 16, v0
.LBB47_920:                             ;   in Loop: Header=BB47_17 Depth=1
	s_or_b64 exec, exec, s[54:55]
	s_andn2_b64 s[60:61], s[52:53], exec
	s_and_b64 s[56:57], s[56:57], exec
	s_mov_b64 s[54:55], -1
	s_mov_b64 s[58:59], 0
	s_or_b64 s[56:57], s[60:61], s[56:57]
                                        ; implicit-def: $vgpr0_vgpr1
.LBB47_921:                             ;   in Loop: Header=BB47_17 Depth=1
	s_andn2_saveexec_b64 s[60:61], vcc
	s_cbranch_execz .LBB47_925
; %bb.922:                              ;   in Loop: Header=BB47_17 Depth=1
	v_cmp_eq_u16_sdwa s[64:65], v7, v35 src0_sel:BYTE_0 src1_sel:DWORD
	s_mov_b64 vcc, s[56:57]
                                        ; implicit-def: $vgpr64
	s_and_saveexec_b64 s[62:63], s[64:65]
	s_cbranch_execz .LBB47_924
; %bb.923:                              ;   in Loop: Header=BB47_17 Depth=1
	flat_load_ubyte v0, v[0:1]
	s_waitcnt vmcnt(0) lgkmcnt(0)
	v_cmp_ne_u16_e32 vcc, 0, v0
	v_cndmask_b32_e64 v64, 0, 1.0, vcc
	s_or_b64 vcc, s[56:57], exec
.LBB47_924:                             ;   in Loop: Header=BB47_17 Depth=1
	s_or_b64 exec, exec, s[62:63]
	s_andn2_b64 s[56:57], s[56:57], exec
	s_and_b64 vcc, vcc, exec
	s_andn2_b64 s[58:59], s[58:59], exec
	s_or_b64 s[54:55], s[54:55], exec
	s_or_b64 s[56:57], s[56:57], vcc
.LBB47_925:                             ;   in Loop: Header=BB47_17 Depth=1
	s_or_b64 exec, exec, s[60:61]
	s_and_b64 vcc, s[54:55], exec
	s_andn2_b64 s[52:53], s[52:53], exec
	s_and_b64 s[54:55], s[56:57], exec
	s_and_b64 s[58:59], s[58:59], exec
	s_or_b64 s[52:53], s[52:53], s[54:55]
.LBB47_926:                             ;   in Loop: Header=BB47_17 Depth=1
	s_or_b64 exec, exec, s[50:51]
	s_andn2_b64 s[48:49], s[48:49], exec
	s_and_b64 vcc, vcc, exec
	s_andn2_b64 s[38:39], s[38:39], exec
	s_and_b64 s[50:51], s[58:59], exec
	s_or_b64 s[48:49], s[48:49], vcc
	s_andn2_b64 vcc, s[46:47], exec
	s_and_b64 s[46:47], s[52:53], exec
	s_or_b64 s[38:39], s[38:39], s[50:51]
	s_or_b64 s[46:47], vcc, s[46:47]
.LBB47_927:                             ;   in Loop: Header=BB47_17 Depth=1
	s_or_b64 exec, exec, s[36:37]
	s_and_b64 s[38:39], s[38:39], exec
	s_and_b64 s[36:37], s[48:49], exec
	s_and_b64 vcc, s[46:47], exec
                                        ; implicit-def: $vgpr0_vgpr1
	s_andn2_saveexec_b64 s[44:45], s[44:45]
	s_cbranch_execz .LBB47_764
.LBB47_928:                             ;   in Loop: Header=BB47_17 Depth=1
	v_cmp_gt_i16_sdwa s[46:47], v7, v36 src0_sel:BYTE_0 src1_sel:DWORD
                                        ; implicit-def: $vgpr64
	s_and_saveexec_b64 s[48:49], s[46:47]
	s_xor_b64 s[46:47], exec, s[48:49]
	s_cbranch_execz .LBB47_950
; %bb.929:                              ;   in Loop: Header=BB47_17 Depth=1
	v_cmp_gt_i16_sdwa s[48:49], v7, v37 src0_sel:BYTE_0 src1_sel:DWORD
                                        ; implicit-def: $vgpr64
	s_and_saveexec_b64 s[50:51], s[48:49]
	s_xor_b64 s[48:49], exec, s[50:51]
	s_cbranch_execz .LBB47_939
; %bb.930:                              ;   in Loop: Header=BB47_17 Depth=1
	;; [unrolled: 6-line block ×4, first 2 shown]
	flat_load_dwordx2 v[0:1], v[0:1]
	s_waitcnt vmcnt(0) lgkmcnt(0)
	v_cvt_f32_f64_e32 v64, v[0:1]
                                        ; implicit-def: $vgpr0_vgpr1
.LBB47_933:                             ;   in Loop: Header=BB47_17 Depth=1
	s_andn2_saveexec_b64 s[52:53], s[52:53]
	s_cbranch_execz .LBB47_935
; %bb.934:                              ;   in Loop: Header=BB47_17 Depth=1
	flat_load_dword v64, v[0:1]
.LBB47_935:                             ;   in Loop: Header=BB47_17 Depth=1
	s_or_b64 exec, exec, s[52:53]
                                        ; implicit-def: $vgpr0_vgpr1
.LBB47_936:                             ;   in Loop: Header=BB47_17 Depth=1
	s_andn2_saveexec_b64 s[50:51], s[50:51]
	s_cbranch_execz .LBB47_938
; %bb.937:                              ;   in Loop: Header=BB47_17 Depth=1
	flat_load_dword v0, v[0:1]
	s_waitcnt vmcnt(0) lgkmcnt(0)
	v_cvt_f32_f16_e32 v64, v0
.LBB47_938:                             ;   in Loop: Header=BB47_17 Depth=1
	s_or_b64 exec, exec, s[50:51]
                                        ; implicit-def: $vgpr0_vgpr1
.LBB47_939:                             ;   in Loop: Header=BB47_17 Depth=1
	s_andn2_saveexec_b64 s[48:49], s[48:49]
	s_cbranch_execz .LBB47_949
; %bb.940:                              ;   in Loop: Header=BB47_17 Depth=1
	v_cmp_gt_i16_sdwa s[50:51], v7, v48 src0_sel:BYTE_0 src1_sel:DWORD
                                        ; implicit-def: $vgpr64
	s_and_saveexec_b64 s[52:53], s[50:51]
	s_xor_b64 s[50:51], exec, s[52:53]
	s_cbranch_execz .LBB47_946
; %bb.941:                              ;   in Loop: Header=BB47_17 Depth=1
	v_cmp_gt_i16_sdwa s[52:53], v7, v49 src0_sel:BYTE_0 src1_sel:DWORD
                                        ; implicit-def: $vgpr64
	s_and_saveexec_b64 s[54:55], s[52:53]
	s_xor_b64 s[52:53], exec, s[54:55]
	s_cbranch_execz .LBB47_943
; %bb.942:                              ;   in Loop: Header=BB47_17 Depth=1
	flat_load_dwordx2 v[0:1], v[0:1]
	s_waitcnt vmcnt(0) lgkmcnt(0)
	v_cvt_f32_f64_e32 v64, v[0:1]
                                        ; implicit-def: $vgpr0_vgpr1
.LBB47_943:                             ;   in Loop: Header=BB47_17 Depth=1
	s_andn2_saveexec_b64 s[52:53], s[52:53]
	s_cbranch_execz .LBB47_945
; %bb.944:                              ;   in Loop: Header=BB47_17 Depth=1
	s_waitcnt vmcnt(0) lgkmcnt(0)
	flat_load_dword v64, v[0:1]
.LBB47_945:                             ;   in Loop: Header=BB47_17 Depth=1
	s_or_b64 exec, exec, s[52:53]
                                        ; implicit-def: $vgpr0_vgpr1
.LBB47_946:                             ;   in Loop: Header=BB47_17 Depth=1
	s_andn2_saveexec_b64 s[50:51], s[50:51]
	s_cbranch_execz .LBB47_948
; %bb.947:                              ;   in Loop: Header=BB47_17 Depth=1
	flat_load_ushort v0, v[0:1]
	s_waitcnt vmcnt(0) lgkmcnt(0)
	v_cvt_f32_f16_e32 v64, v0
.LBB47_948:                             ;   in Loop: Header=BB47_17 Depth=1
	s_or_b64 exec, exec, s[50:51]
.LBB47_949:                             ;   in Loop: Header=BB47_17 Depth=1
	s_or_b64 exec, exec, s[48:49]
                                        ; implicit-def: $vgpr0_vgpr1
.LBB47_950:                             ;   in Loop: Header=BB47_17 Depth=1
	s_andn2_saveexec_b64 s[46:47], s[46:47]
	s_cbranch_execz .LBB47_968
; %bb.951:                              ;   in Loop: Header=BB47_17 Depth=1
	v_cmp_gt_i16_sdwa s[48:49], v7, v50 src0_sel:BYTE_0 src1_sel:DWORD
                                        ; implicit-def: $vgpr64
	s_and_saveexec_b64 s[50:51], s[48:49]
	s_xor_b64 s[48:49], exec, s[50:51]
	s_cbranch_execz .LBB47_961
; %bb.952:                              ;   in Loop: Header=BB47_17 Depth=1
	v_cmp_gt_i16_sdwa s[50:51], v7, v51 src0_sel:BYTE_0 src1_sel:DWORD
                                        ; implicit-def: $vgpr64
	s_and_saveexec_b64 s[52:53], s[50:51]
	s_xor_b64 s[50:51], exec, s[52:53]
	;; [unrolled: 6-line block ×3, first 2 shown]
	s_cbranch_execz .LBB47_955
; %bb.954:                              ;   in Loop: Header=BB47_17 Depth=1
	flat_load_dwordx2 v[0:1], v[0:1]
	s_waitcnt vmcnt(0) lgkmcnt(0)
	v_xor_b32_e32 v64, v0, v1
	v_ffbh_i32_e32 v55, v1
	v_ashrrev_i32_e32 v64, 31, v64
	v_add_u32_e32 v55, -1, v55
	v_add_u32_e32 v64, 32, v64
	v_min_u32_e32 v55, v55, v64
	s_waitcnt vmcnt(0) expcnt(0) lgkmcnt(0)
	v_swap_b32 v2, v55
	v_lshlrev_b64 v[0:1], v2, v[0:1]
	v_swap_b32 v55, v2
	v_min_u32_e32 v0, 1, v0
	v_or_b32_e32 v0, v1, v0
	v_cvt_f32_i32_e32 v0, v0
	v_sub_u32_e32 v1, 32, v55
	v_ldexp_f32 v64, v0, v1
                                        ; implicit-def: $vgpr0_vgpr1
.LBB47_955:                             ;   in Loop: Header=BB47_17 Depth=1
	s_andn2_saveexec_b64 s[52:53], s[52:53]
	s_cbranch_execz .LBB47_957
; %bb.956:                              ;   in Loop: Header=BB47_17 Depth=1
	flat_load_dword v0, v[0:1]
	s_waitcnt vmcnt(0) lgkmcnt(0)
	v_cvt_f32_i32_e32 v64, v0
.LBB47_957:                             ;   in Loop: Header=BB47_17 Depth=1
	s_or_b64 exec, exec, s[52:53]
                                        ; implicit-def: $vgpr0_vgpr1
.LBB47_958:                             ;   in Loop: Header=BB47_17 Depth=1
	s_andn2_saveexec_b64 s[50:51], s[50:51]
	s_cbranch_execz .LBB47_960
; %bb.959:                              ;   in Loop: Header=BB47_17 Depth=1
	flat_load_sshort v0, v[0:1]
	s_waitcnt vmcnt(0) lgkmcnt(0)
	v_cvt_f32_i32_e32 v64, v0
.LBB47_960:                             ;   in Loop: Header=BB47_17 Depth=1
	s_or_b64 exec, exec, s[50:51]
                                        ; implicit-def: $vgpr0_vgpr1
.LBB47_961:                             ;   in Loop: Header=BB47_17 Depth=1
	s_andn2_saveexec_b64 s[48:49], s[48:49]
	s_cbranch_execz .LBB47_967
; %bb.962:                              ;   in Loop: Header=BB47_17 Depth=1
	v_cmp_gt_i16_sdwa s[50:51], v7, v14 src0_sel:BYTE_0 src1_sel:DWORD
                                        ; implicit-def: $vgpr64
	s_and_saveexec_b64 s[52:53], s[50:51]
	s_xor_b64 s[50:51], exec, s[52:53]
	s_cbranch_execz .LBB47_964
; %bb.963:                              ;   in Loop: Header=BB47_17 Depth=1
	flat_load_sbyte v0, v[0:1]
	s_waitcnt vmcnt(0) lgkmcnt(0)
	v_cvt_f32_i32_e32 v64, v0
                                        ; implicit-def: $vgpr0_vgpr1
.LBB47_964:                             ;   in Loop: Header=BB47_17 Depth=1
	s_andn2_saveexec_b64 s[50:51], s[50:51]
	s_cbranch_execz .LBB47_966
; %bb.965:                              ;   in Loop: Header=BB47_17 Depth=1
	flat_load_ubyte v0, v[0:1]
	s_waitcnt vmcnt(0) lgkmcnt(0)
	v_cvt_f32_ubyte0_e32 v64, v0
.LBB47_966:                             ;   in Loop: Header=BB47_17 Depth=1
	s_or_b64 exec, exec, s[50:51]
.LBB47_967:                             ;   in Loop: Header=BB47_17 Depth=1
	s_or_b64 exec, exec, s[48:49]
.LBB47_968:                             ;   in Loop: Header=BB47_17 Depth=1
	s_or_b64 exec, exec, s[46:47]
	s_andn2_b64 s[38:39], s[38:39], exec
	s_andn2_b64 s[36:37], s[36:37], exec
	s_or_b64 vcc, vcc, exec
	s_or_b64 exec, exec, s[44:45]
	s_mov_b64 s[46:47], 0
	s_and_saveexec_b64 s[44:45], vcc
	s_cbranch_execz .LBB47_974
.LBB47_969:                             ;   in Loop: Header=BB47_17 Depth=1
	v_mul_lo_u32 v0, v54, v10
	v_readlane_b32 s46, v44, 0
	v_add_co_u32_e32 v0, vcc, v4, v0
	v_add_u32_e32 v55, s46, v15
	v_addc_co_u32_e32 v1, vcc, 0, v5, vcc
	v_cmp_gt_i16_sdwa s[46:47], v8, v16 src0_sel:BYTE_0 src1_sel:DWORD
	s_mov_b64 s[50:51], 0
	s_waitcnt vmcnt(0) lgkmcnt(0)
	buffer_store_dword v64, v55, s[0:3], 0 offen offset:36
                                        ; implicit-def: $vcc
                                        ; implicit-def: $sgpr48_sgpr49
                                        ; implicit-def: $vgpr54
	s_and_saveexec_b64 s[52:53], s[46:47]
	s_xor_b64 s[46:47], exec, s[52:53]
	s_cbranch_execnz .LBB47_992
; %bb.970:                              ;   in Loop: Header=BB47_17 Depth=1
	s_andn2_saveexec_b64 s[46:47], s[46:47]
	s_cbranch_execnz .LBB47_1051
.LBB47_971:                             ;   in Loop: Header=BB47_17 Depth=1
	s_or_b64 exec, exec, s[46:47]
	s_mov_b64 s[46:47], 0
	s_and_saveexec_b64 s[52:53], s[50:51]
	s_cbranch_execz .LBB47_973
.LBB47_972:                             ;   in Loop: Header=BB47_17 Depth=1
	s_mov_b64 s[46:47], exec
	v_add_u32_e32 v53, 0x200, v53
	s_andn2_b64 s[48:49], s[48:49], exec
	s_andn2_b64 vcc, vcc, exec
	s_waitcnt vmcnt(0) lgkmcnt(0)
	buffer_store_dword v54, v55, s[0:3], 0 offen offset:32
.LBB47_973:                             ;   in Loop: Header=BB47_17 Depth=1
	s_or_b64 exec, exec, s[52:53]
	s_andn2_b64 s[38:39], s[38:39], exec
	s_and_b64 s[48:49], s[48:49], exec
	s_andn2_b64 s[36:37], s[36:37], exec
	s_and_b64 vcc, vcc, exec
	s_or_b64 s[38:39], s[38:39], s[48:49]
	s_or_b64 s[36:37], s[36:37], vcc
	s_and_b64 s[46:47], s[46:47], exec
.LBB47_974:                             ;   in Loop: Header=BB47_17 Depth=1
	s_or_b64 exec, exec, s[44:45]
	s_and_b64 s[38:39], s[38:39], exec
	s_and_b64 s[36:37], s[36:37], exec
	s_orn2_b64 s[44:45], s[46:47], exec
.LBB47_975:                             ;   in Loop: Header=BB47_17 Depth=1
	s_or_b64 exec, exec, s[40:41]
	s_and_saveexec_b64 s[40:41], s[44:45]
	s_cbranch_execz .LBB47_12
; %bb.976:                              ;   in Loop: Header=BB47_17 Depth=1
	v_cmp_lt_i32_e32 vcc, v53, v6
	s_mov_b64 s[48:49], -1
	s_mov_b64 s[50:51], -1
                                        ; implicit-def: $sgpr42_sgpr43
                                        ; implicit-def: $sgpr44_sgpr45
	s_and_saveexec_b64 s[46:47], vcc
	s_cbranch_execz .LBB47_1198
; %bb.977:                              ;   in Loop: Header=BB47_17 Depth=1
	v_readlane_b32 vcc_lo, v44, 1
	s_waitcnt vmcnt(0) lgkmcnt(0)
	v_add_u32_e32 v54, vcc_lo, v53
	v_mul_lo_u32 v0, v54, v9
	v_add_co_u32_e32 v0, vcc, v2, v0
	v_addc_co_u32_e32 v1, vcc, 0, v3, vcc
	v_cmp_gt_i16_sdwa s[50:51], v7, v16 src0_sel:BYTE_0 src1_sel:DWORD
	s_mov_b64 vcc, 0
                                        ; implicit-def: $sgpr42_sgpr43
                                        ; implicit-def: $sgpr44_sgpr45
                                        ; implicit-def: $vgpr64
	s_and_saveexec_b64 s[52:53], s[50:51]
	s_xor_b64 s[50:51], exec, s[52:53]
	s_cbranch_execnz .LBB47_1092
; %bb.978:                              ;   in Loop: Header=BB47_17 Depth=1
	s_andn2_saveexec_b64 s[50:51], s[50:51]
	s_cbranch_execnz .LBB47_1151
.LBB47_979:                             ;   in Loop: Header=BB47_17 Depth=1
	s_or_b64 exec, exec, s[50:51]
	s_mov_b64 s[52:53], 0
	s_and_saveexec_b64 s[50:51], vcc
	s_cbranch_execnz .LBB47_1192
	s_branch .LBB47_1197
.LBB47_980:                             ;   in Loop: Header=BB47_17 Depth=1
	s_movk_i32 vcc_lo, 0x80
	v_cmp_eq_u16_e32 vcc, vcc_lo, v0
	s_mov_b64 s[36:37], -1
                                        ; implicit-def: $sgpr42
	s_and_saveexec_b64 s[40:41], vcc
; %bb.981:                              ;   in Loop: Header=BB47_17 Depth=1
	s_mov_b32 s42, 0x7f800001
	s_xor_b64 s[36:37], exec, -1
; %bb.982:                              ;   in Loop: Header=BB47_17 Depth=1
	s_or_b64 exec, exec, s[40:41]
	s_and_b64 s[36:37], s[36:37], exec
	s_or_saveexec_b64 s[38:39], s[38:39]
	v_mov_b32_e32 v64, s42
	s_xor_b64 exec, exec, s[38:39]
	s_cbranch_execz .LBB47_59
.LBB47_983:                             ;   in Loop: Header=BB47_17 Depth=1
	v_cmp_ne_u16_e32 vcc, 0, v0
	s_andn2_b64 s[36:37], s[36:37], exec
	s_and_b64 vcc, vcc, exec
	v_mov_b32_e32 v64, 0
	s_or_b64 s[36:37], s[36:37], vcc
	s_or_b64 exec, exec, s[38:39]
	s_and_saveexec_b64 s[38:39], s[36:37]
	s_cbranch_execnz .LBB47_60
	s_branch .LBB47_61
.LBB47_984:                             ;   in Loop: Header=BB47_17 Depth=1
	s_movk_i32 vcc_lo, 0x80
	v_cmp_eq_u16_e32 vcc, vcc_lo, v0
	s_mov_b64 s[40:41], -1
                                        ; implicit-def: $sgpr46
	s_and_saveexec_b64 s[44:45], vcc
; %bb.985:                              ;   in Loop: Header=BB47_17 Depth=1
	s_mov_b32 s46, 0x7f800001
	s_xor_b64 s[40:41], exec, -1
; %bb.986:                              ;   in Loop: Header=BB47_17 Depth=1
	s_or_b64 exec, exec, s[44:45]
	s_and_b64 s[40:41], s[40:41], exec
	s_or_saveexec_b64 s[42:43], s[42:43]
	v_mov_b32_e32 v54, s46
	s_xor_b64 exec, exec, s[42:43]
	s_cbranch_execz .LBB47_159
.LBB47_987:                             ;   in Loop: Header=BB47_17 Depth=1
	v_cmp_ne_u16_e32 vcc, 0, v0
	s_andn2_b64 s[40:41], s[40:41], exec
	s_and_b64 vcc, vcc, exec
	v_mov_b32_e32 v54, 0
	s_or_b64 s[40:41], s[40:41], vcc
	s_or_b64 exec, exec, s[42:43]
	s_and_saveexec_b64 s[42:43], s[40:41]
	s_cbranch_execnz .LBB47_160
	s_branch .LBB47_161
.LBB47_988:                             ;   in Loop: Header=BB47_17 Depth=1
	s_movk_i32 vcc_lo, 0x80
	v_cmp_eq_u16_e32 vcc, vcc_lo, v0
	s_mov_b64 s[36:37], -1
                                        ; implicit-def: $sgpr42
	s_and_saveexec_b64 s[40:41], vcc
; %bb.989:                              ;   in Loop: Header=BB47_17 Depth=1
	s_mov_b32 s42, 0x7f800001
	s_xor_b64 s[36:37], exec, -1
; %bb.990:                              ;   in Loop: Header=BB47_17 Depth=1
	s_or_b64 exec, exec, s[40:41]
	s_and_b64 s[36:37], s[36:37], exec
	s_or_saveexec_b64 s[38:39], s[38:39]
	v_mov_b32_e32 v64, s42
	s_xor_b64 exec, exec, s[38:39]
	s_cbranch_execz .LBB47_259
.LBB47_991:                             ;   in Loop: Header=BB47_17 Depth=1
	v_cmp_ne_u16_e32 vcc, 0, v0
	s_andn2_b64 s[36:37], s[36:37], exec
	s_and_b64 vcc, vcc, exec
	v_mov_b32_e32 v64, 0
	s_or_b64 s[36:37], s[36:37], vcc
	s_or_b64 exec, exec, s[38:39]
	s_and_saveexec_b64 s[38:39], s[36:37]
	s_cbranch_execnz .LBB47_260
	s_branch .LBB47_261
.LBB47_992:                             ;   in Loop: Header=BB47_17 Depth=1
	v_cmp_gt_i16_sdwa vcc, v8, v17 src0_sel:BYTE_0 src1_sel:DWORD
                                        ; implicit-def: $sgpr52_sgpr53
                                        ; implicit-def: $sgpr54_sgpr55
                                        ; implicit-def: $vgpr54
	s_and_saveexec_b64 s[48:49], vcc
	s_xor_b64 s[48:49], exec, s[48:49]
	s_cbranch_execz .LBB47_1024
; %bb.993:                              ;   in Loop: Header=BB47_17 Depth=1
	v_cmp_gt_i16_sdwa vcc, v8, v18 src0_sel:BYTE_0 src1_sel:DWORD
                                        ; implicit-def: $sgpr52_sgpr53
                                        ; implicit-def: $sgpr56_sgpr57
                                        ; implicit-def: $vgpr54
	s_and_saveexec_b64 s[54:55], vcc
	s_xor_b64 s[54:55], exec, s[54:55]
	s_cbranch_execz .LBB47_1009
; %bb.994:                              ;   in Loop: Header=BB47_17 Depth=1
	v_cmp_gt_i16_sdwa s[50:51], v8, v19 src0_sel:BYTE_0 src1_sel:DWORD
	s_mov_b64 s[58:59], 0
                                        ; implicit-def: $vcc
                                        ; implicit-def: $sgpr56_sgpr57
                                        ; implicit-def: $vgpr54
	s_and_saveexec_b64 s[52:53], s[50:51]
	s_xor_b64 s[50:51], exec, s[52:53]
	s_cbranch_execz .LBB47_1004
; %bb.995:                              ;   in Loop: Header=BB47_17 Depth=1
	v_cmp_gt_i16_sdwa vcc, v8, v20 src0_sel:BYTE_0 src1_sel:DWORD
                                        ; implicit-def: $sgpr56_sgpr57
                                        ; implicit-def: $sgpr52_sgpr53
                                        ; implicit-def: $vgpr54
	s_and_saveexec_b64 s[60:61], vcc
	s_xor_b64 vcc, exec, s[60:61]
	s_cbranch_execz .LBB47_999
; %bb.996:                              ;   in Loop: Header=BB47_17 Depth=1
	v_cmp_eq_u16_sdwa s[60:61], v8, v21 src0_sel:BYTE_0 src1_sel:DWORD
	s_mov_b64 s[52:53], 0
                                        ; implicit-def: $vgpr54
	s_and_saveexec_b64 s[56:57], s[60:61]
	s_cbranch_execz .LBB47_998
; %bb.997:                              ;   in Loop: Header=BB47_17 Depth=1
	flat_load_dword v0, v[0:1]
	s_mov_b64 s[58:59], exec
	s_waitcnt vmcnt(0) lgkmcnt(0)
	v_lshlrev_b32_e32 v54, 16, v0
.LBB47_998:                             ;   in Loop: Header=BB47_17 Depth=1
	s_or_b64 exec, exec, s[56:57]
	s_mov_b64 s[56:57], -1
	s_and_b64 s[58:59], s[58:59], exec
                                        ; implicit-def: $vgpr0_vgpr1
.LBB47_999:                             ;   in Loop: Header=BB47_17 Depth=1
	s_andn2_saveexec_b64 s[60:61], vcc
	s_cbranch_execz .LBB47_1003
; %bb.1000:                             ;   in Loop: Header=BB47_17 Depth=1
	v_cmp_eq_u16_sdwa s[64:65], v8, v22 src0_sel:BYTE_0 src1_sel:DWORD
	s_mov_b64 vcc, s[58:59]
                                        ; implicit-def: $vgpr54
	s_and_saveexec_b64 s[62:63], s[64:65]
	s_cbranch_execz .LBB47_1002
; %bb.1001:                             ;   in Loop: Header=BB47_17 Depth=1
	flat_load_ubyte v0, v[0:1]
	s_movk_i32 vcc_lo, 0xff
	s_waitcnt vmcnt(0) lgkmcnt(0)
	v_lshlrev_b32_e32 v1, 23, v0
	v_cmp_ne_u32_e32 vcc, vcc_lo, v0
	v_cndmask_b32_e32 v1, v23, v1, vcc
	v_cmp_ne_u32_e32 vcc, 0, v0
	v_cndmask_b32_e32 v54, v24, v1, vcc
	s_or_b64 vcc, s[58:59], exec
.LBB47_1002:                            ;   in Loop: Header=BB47_17 Depth=1
	s_or_b64 exec, exec, s[62:63]
	s_andn2_b64 s[58:59], s[58:59], exec
	s_and_b64 vcc, vcc, exec
	s_or_b64 s[56:57], s[56:57], exec
	s_andn2_b64 s[52:53], s[52:53], exec
	s_or_b64 s[58:59], s[58:59], vcc
.LBB47_1003:                            ;   in Loop: Header=BB47_17 Depth=1
	s_or_b64 exec, exec, s[60:61]
	s_and_b64 s[56:57], s[56:57], exec
	s_and_b64 vcc, s[52:53], exec
	s_and_b64 s[58:59], s[58:59], exec
                                        ; implicit-def: $vgpr0_vgpr1
.LBB47_1004:                            ;   in Loop: Header=BB47_17 Depth=1
	s_andn2_saveexec_b64 s[50:51], s[50:51]
	s_cbranch_execz .LBB47_1008
; %bb.1005:                             ;   in Loop: Header=BB47_17 Depth=1
	v_cmp_eq_u16_sdwa s[62:63], v8, v25 src0_sel:BYTE_0 src1_sel:DWORD
	s_mov_b64 s[60:61], s[58:59]
                                        ; implicit-def: $vgpr54
	s_and_saveexec_b64 s[52:53], s[62:63]
	s_cbranch_execz .LBB47_1007
; %bb.1006:                             ;   in Loop: Header=BB47_17 Depth=1
	flat_load_dwordx2 v[0:1], v[0:1]
	s_or_b64 s[60:61], s[58:59], exec
	s_waitcnt vmcnt(0) lgkmcnt(0)
	v_ffbh_u32_e32 v54, v1
	v_min_u32_e32 v54, 32, v54
	v_lshlrev_b64 v[0:1], v54, v[0:1]
	v_min_u32_e32 v0, 1, v0
	v_or_b32_e32 v0, v1, v0
	v_cvt_f32_u32_e32 v0, v0
	v_sub_u32_e32 v1, 32, v54
	v_ldexp_f32 v54, v0, v1
.LBB47_1007:                            ;   in Loop: Header=BB47_17 Depth=1
	s_or_b64 exec, exec, s[52:53]
	s_andn2_b64 s[52:53], s[58:59], exec
	s_and_b64 s[58:59], s[60:61], exec
	s_or_b64 s[56:57], s[56:57], exec
	s_andn2_b64 vcc, vcc, exec
	s_or_b64 s[58:59], s[52:53], s[58:59]
.LBB47_1008:                            ;   in Loop: Header=BB47_17 Depth=1
	s_or_b64 exec, exec, s[50:51]
	s_and_b64 s[56:57], s[56:57], exec
	s_and_b64 s[52:53], vcc, exec
	s_and_b64 s[50:51], s[58:59], exec
                                        ; implicit-def: $vgpr0_vgpr1
.LBB47_1009:                            ;   in Loop: Header=BB47_17 Depth=1
	s_andn2_saveexec_b64 s[54:55], s[54:55]
	s_cbranch_execz .LBB47_1023
; %bb.1010:                             ;   in Loop: Header=BB47_17 Depth=1
	v_cmp_gt_i16_sdwa vcc, v8, v26 src0_sel:BYTE_0 src1_sel:DWORD
                                        ; implicit-def: $vgpr54
	s_and_saveexec_b64 s[58:59], vcc
	s_xor_b64 vcc, exec, s[58:59]
	s_cbranch_execz .LBB47_1016
; %bb.1011:                             ;   in Loop: Header=BB47_17 Depth=1
	v_cmp_gt_i16_sdwa s[58:59], v8, v27 src0_sel:BYTE_0 src1_sel:DWORD
                                        ; implicit-def: $vgpr54
	s_and_saveexec_b64 s[60:61], s[58:59]
	s_xor_b64 s[58:59], exec, s[60:61]
	s_cbranch_execz .LBB47_1013
; %bb.1012:                             ;   in Loop: Header=BB47_17 Depth=1
	flat_load_dword v0, v[0:1]
	s_waitcnt vmcnt(0) lgkmcnt(0)
	v_cvt_f32_u32_e32 v54, v0
                                        ; implicit-def: $vgpr0_vgpr1
.LBB47_1013:                            ;   in Loop: Header=BB47_17 Depth=1
	s_andn2_saveexec_b64 s[58:59], s[58:59]
	s_cbranch_execz .LBB47_1015
; %bb.1014:                             ;   in Loop: Header=BB47_17 Depth=1
	flat_load_ushort v0, v[0:1]
	s_waitcnt vmcnt(0) lgkmcnt(0)
	v_cvt_f32_u32_e32 v54, v0
.LBB47_1015:                            ;   in Loop: Header=BB47_17 Depth=1
	s_or_b64 exec, exec, s[58:59]
                                        ; implicit-def: $vgpr0_vgpr1
.LBB47_1016:                            ;   in Loop: Header=BB47_17 Depth=1
	s_andn2_saveexec_b64 s[58:59], vcc
	s_cbranch_execz .LBB47_1022
; %bb.1017:                             ;   in Loop: Header=BB47_17 Depth=1
	flat_load_ubyte v0, v[0:1]
	s_movk_i32 vcc_lo, 0x7f
	s_mov_b64 s[60:61], 0
                                        ; implicit-def: $sgpr66
	s_waitcnt vmcnt(0) lgkmcnt(0)
	v_cmp_lt_i16_e32 vcc, vcc_lo, v0
	s_and_saveexec_b64 s[62:63], vcc
	s_xor_b64 s[62:63], exec, s[62:63]
	s_cbranch_execnz .LBB47_1892
; %bb.1018:                             ;   in Loop: Header=BB47_17 Depth=1
	s_or_saveexec_b64 s[62:63], s[62:63]
	v_mov_b32_e32 v54, s66
	s_xor_b64 exec, exec, s[62:63]
	s_cbranch_execnz .LBB47_1895
.LBB47_1019:                            ;   in Loop: Header=BB47_17 Depth=1
	s_or_b64 exec, exec, s[62:63]
	s_and_saveexec_b64 s[62:63], s[60:61]
	s_cbranch_execz .LBB47_1021
.LBB47_1020:                            ;   in Loop: Header=BB47_17 Depth=1
	v_lshlrev_b32_e32 v1, 24, v0
	v_and_b32_e32 v0, 0xffff, v0
	v_and_b32_e32 v54, 7, v0
	v_ffbh_u32_e32 v65, v54
	v_min_u32_e32 v65, 32, v65
	v_subrev_u32_e32 v66, 28, v65
	v_bfe_u32 v64, v0, 3, 4
	v_lshlrev_b32_e32 v0, v66, v0
	v_sub_u32_e32 v65, 29, v65
	v_and_b32_e32 v0, 7, v0
	v_cmp_eq_u32_e32 vcc, 0, v64
	v_cndmask_b32_e32 v64, v64, v65, vcc
	v_cndmask_b32_e32 v0, v54, v0, vcc
	v_lshlrev_b32_e32 v0, 20, v0
	v_and_b32_e32 v1, 0x80000000, v1
	v_lshl_add_u32 v54, v64, 23, v28
	v_or3_b32 v54, v1, v54, v0
.LBB47_1021:                            ;   in Loop: Header=BB47_17 Depth=1
	s_or_b64 exec, exec, s[62:63]
.LBB47_1022:                            ;   in Loop: Header=BB47_17 Depth=1
	s_or_b64 exec, exec, s[58:59]
	s_andn2_b64 s[56:57], s[56:57], exec
	s_andn2_b64 s[52:53], s[52:53], exec
	s_or_b64 s[50:51], s[50:51], exec
.LBB47_1023:                            ;   in Loop: Header=BB47_17 Depth=1
	s_or_b64 exec, exec, s[54:55]
	s_and_b64 s[54:55], s[56:57], exec
	s_and_b64 s[52:53], s[52:53], exec
	;; [unrolled: 1-line block ×3, first 2 shown]
                                        ; implicit-def: $vgpr0_vgpr1
.LBB47_1024:                            ;   in Loop: Header=BB47_17 Depth=1
	s_andn2_saveexec_b64 s[48:49], s[48:49]
	s_cbranch_execz .LBB47_1050
; %bb.1025:                             ;   in Loop: Header=BB47_17 Depth=1
	v_cmp_gt_i16_sdwa vcc, v8, v29 src0_sel:BYTE_0 src1_sel:DWORD
	s_mov_b64 s[58:59], s[50:51]
                                        ; implicit-def: $vgpr54
	s_and_saveexec_b64 s[56:57], vcc
	s_xor_b64 s[56:57], exec, s[56:57]
	s_cbranch_execz .LBB47_1039
; %bb.1026:                             ;   in Loop: Header=BB47_17 Depth=1
	v_cmp_gt_i16_sdwa vcc, v8, v30 src0_sel:BYTE_0 src1_sel:DWORD
                                        ; implicit-def: $vgpr54
	s_and_saveexec_b64 s[58:59], vcc
	s_xor_b64 s[58:59], exec, s[58:59]
	s_cbranch_execz .LBB47_1036
; %bb.1027:                             ;   in Loop: Header=BB47_17 Depth=1
	v_cmp_gt_i16_sdwa vcc, v8, v31 src0_sel:BYTE_0 src1_sel:DWORD
                                        ; implicit-def: $vgpr54
	s_and_saveexec_b64 s[60:61], vcc
	s_xor_b64 s[60:61], exec, s[60:61]
	s_cbranch_execz .LBB47_1033
; %bb.1028:                             ;   in Loop: Header=BB47_17 Depth=1
	flat_load_ubyte v0, v[0:1]
	s_movk_i32 vcc_lo, 0x7f
	s_mov_b64 s[62:63], 0
                                        ; implicit-def: $sgpr68
	s_waitcnt vmcnt(0) lgkmcnt(0)
	v_cmp_lt_i16_e32 vcc, vcc_lo, v0
	s_and_saveexec_b64 s[64:65], vcc
	s_xor_b64 s[64:65], exec, s[64:65]
	s_cbranch_execnz .LBB47_2111
; %bb.1029:                             ;   in Loop: Header=BB47_17 Depth=1
	s_or_saveexec_b64 s[64:65], s[64:65]
	v_mov_b32_e32 v54, s68
	s_xor_b64 exec, exec, s[64:65]
	s_cbranch_execnz .LBB47_2114
.LBB47_1030:                            ;   in Loop: Header=BB47_17 Depth=1
	s_or_b64 exec, exec, s[64:65]
	s_and_saveexec_b64 s[64:65], s[62:63]
	s_cbranch_execz .LBB47_1032
.LBB47_1031:                            ;   in Loop: Header=BB47_17 Depth=1
	v_lshlrev_b32_e32 v1, 24, v0
	v_and_b32_e32 v0, 0xffff, v0
	v_and_b32_e32 v54, 3, v0
	v_ffbh_u32_e32 v65, v54
	v_min_u32_e32 v65, 32, v65
	v_subrev_u32_e32 v66, 29, v65
	v_bfe_u32 v64, v0, 2, 5
	v_lshlrev_b32_e32 v0, v66, v0
	v_sub_u32_e32 v65, 30, v65
	v_and_b32_e32 v0, 3, v0
	v_cmp_eq_u32_e32 vcc, 0, v64
	v_cndmask_b32_e32 v64, v64, v65, vcc
	v_cndmask_b32_e32 v0, v54, v0, vcc
	v_lshlrev_b32_e32 v0, 21, v0
	v_and_b32_e32 v1, 0x80000000, v1
	v_lshl_add_u32 v54, v64, 23, v32
	v_or3_b32 v54, v1, v54, v0
.LBB47_1032:                            ;   in Loop: Header=BB47_17 Depth=1
	s_or_b64 exec, exec, s[64:65]
                                        ; implicit-def: $vgpr0_vgpr1
.LBB47_1033:                            ;   in Loop: Header=BB47_17 Depth=1
	s_andn2_saveexec_b64 s[60:61], s[60:61]
	s_cbranch_execz .LBB47_1035
; %bb.1034:                             ;   in Loop: Header=BB47_17 Depth=1
	flat_load_ubyte v0, v[0:1]
	s_mov_b32 vcc_lo, 0x7f800000
	s_waitcnt vmcnt(0) lgkmcnt(0)
	v_lshlrev_b32_e32 v0, 24, v0
	v_and_b32_e32 v1, 0x7f000000, v0
	v_ffbh_u32_e32 v54, v1
	v_min_u32_e32 v54, 32, v54
	v_sub_u32_e64 v54, v54, 4 clamp
	v_lshlrev_b32_e32 v65, v54, v1
	v_lshlrev_b32_e32 v54, 23, v54
	v_lshrrev_b32_e32 v65, 4, v65
	v_add_u32_e32 v64, 0x1000000, v1
	v_sub_u32_e32 v54, v65, v54
	v_ashrrev_i32_e32 v64, 8, v64
	v_add_u32_e32 v54, 0x3c000000, v54
	v_and_or_b32 v54, v64, vcc_lo, v54
	v_cmp_ne_u32_e32 vcc, 0, v1
	v_cndmask_b32_e32 v1, 0, v54, vcc
	s_brev_b32 vcc_lo, 1
	v_and_or_b32 v54, v0, vcc_lo, v1
.LBB47_1035:                            ;   in Loop: Header=BB47_17 Depth=1
	s_or_b64 exec, exec, s[60:61]
                                        ; implicit-def: $vgpr0_vgpr1
.LBB47_1036:                            ;   in Loop: Header=BB47_17 Depth=1
	s_andn2_saveexec_b64 s[58:59], s[58:59]
	s_cbranch_execz .LBB47_1038
; %bb.1037:                             ;   in Loop: Header=BB47_17 Depth=1
	flat_load_ubyte v0, v[0:1]
	s_movk_i32 vcc_lo, 0x7f00
	s_waitcnt vmcnt(0) lgkmcnt(0)
	v_lshlrev_b16_e32 v1, 8, v0
	v_lshlrev_b32_e32 v0, 25, v0
	v_lshrrev_b32_e32 v54, 4, v0
	v_and_or_b32 v64, v1, vcc_lo, 0.5
	v_or_b32_e32 v54, 0x70000000, v54
	s_brev_b32 vcc_lo, 16
	v_add_f32_e32 v64, -0.5, v64
	v_mul_f32_e32 v54, 0x7800000, v54
	v_cmp_gt_u32_e32 vcc, vcc_lo, v0
	v_cndmask_b32_e32 v0, v54, v64, vcc
	v_bfe_i32 v1, v1, 0, 16
	s_brev_b32 vcc_lo, 1
	v_and_or_b32 v54, v1, vcc_lo, v0
.LBB47_1038:                            ;   in Loop: Header=BB47_17 Depth=1
	s_or_b64 exec, exec, s[58:59]
	s_or_b64 s[58:59], s[50:51], exec
                                        ; implicit-def: $vgpr0_vgpr1
.LBB47_1039:                            ;   in Loop: Header=BB47_17 Depth=1
	s_or_saveexec_b64 s[56:57], s[56:57]
                                        ; implicit-def: $vcc
                                        ; implicit-def: $sgpr64_sgpr65
	s_xor_b64 exec, exec, s[56:57]
	s_cbranch_execz .LBB47_1049
; %bb.1040:                             ;   in Loop: Header=BB47_17 Depth=1
	v_cmp_gt_i16_sdwa vcc, v8, v33 src0_sel:BYTE_0 src1_sel:DWORD
	s_mov_b64 s[62:63], s[58:59]
                                        ; implicit-def: $sgpr64_sgpr65
                                        ; implicit-def: $sgpr60_sgpr61
                                        ; implicit-def: $vgpr54
	s_and_saveexec_b64 s[66:67], vcc
	s_xor_b64 vcc, exec, s[66:67]
	s_cbranch_execz .LBB47_1044
; %bb.1041:                             ;   in Loop: Header=BB47_17 Depth=1
	v_cmp_eq_u16_sdwa s[64:65], v8, v34 src0_sel:BYTE_0 src1_sel:DWORD
	s_mov_b64 s[62:63], s[58:59]
                                        ; implicit-def: $vgpr54
	s_and_saveexec_b64 s[60:61], s[64:65]
	s_cbranch_execz .LBB47_1043
; %bb.1042:                             ;   in Loop: Header=BB47_17 Depth=1
	flat_load_ushort v0, v[0:1]
	s_or_b64 s[62:63], s[58:59], exec
	s_waitcnt vmcnt(0) lgkmcnt(0)
	v_lshlrev_b32_e32 v54, 16, v0
.LBB47_1043:                            ;   in Loop: Header=BB47_17 Depth=1
	s_or_b64 exec, exec, s[60:61]
	s_andn2_b64 s[66:67], s[58:59], exec
	s_and_b64 s[62:63], s[62:63], exec
	s_mov_b64 s[60:61], 0
	s_mov_b64 s[64:65], -1
	s_or_b64 s[62:63], s[66:67], s[62:63]
                                        ; implicit-def: $vgpr0_vgpr1
.LBB47_1044:                            ;   in Loop: Header=BB47_17 Depth=1
	s_andn2_saveexec_b64 s[66:67], vcc
	s_cbranch_execz .LBB47_1048
; %bb.1045:                             ;   in Loop: Header=BB47_17 Depth=1
	v_cmp_eq_u16_sdwa s[70:71], v8, v35 src0_sel:BYTE_0 src1_sel:DWORD
	s_mov_b64 vcc, s[62:63]
                                        ; implicit-def: $vgpr54
	s_and_saveexec_b64 s[68:69], s[70:71]
	s_cbranch_execz .LBB47_1047
; %bb.1046:                             ;   in Loop: Header=BB47_17 Depth=1
	flat_load_ubyte v0, v[0:1]
	s_waitcnt vmcnt(0) lgkmcnt(0)
	v_cmp_ne_u16_e32 vcc, 0, v0
	v_cndmask_b32_e64 v54, 0, 1.0, vcc
	s_or_b64 vcc, s[62:63], exec
.LBB47_1047:                            ;   in Loop: Header=BB47_17 Depth=1
	s_or_b64 exec, exec, s[68:69]
	s_andn2_b64 s[62:63], s[62:63], exec
	s_and_b64 vcc, vcc, exec
	s_or_b64 s[64:65], s[64:65], exec
	s_andn2_b64 s[60:61], s[60:61], exec
	s_or_b64 s[62:63], s[62:63], vcc
.LBB47_1048:                            ;   in Loop: Header=BB47_17 Depth=1
	s_or_b64 exec, exec, s[66:67]
	s_and_b64 vcc, s[60:61], exec
	s_andn2_b64 s[58:59], s[58:59], exec
	s_and_b64 s[60:61], s[62:63], exec
	s_and_b64 s[64:65], s[64:65], exec
	s_or_b64 s[58:59], s[58:59], s[60:61]
.LBB47_1049:                            ;   in Loop: Header=BB47_17 Depth=1
	s_or_b64 exec, exec, s[56:57]
	s_andn2_b64 s[52:53], s[52:53], exec
	s_and_b64 vcc, vcc, exec
	s_andn2_b64 s[54:55], s[54:55], exec
	s_and_b64 s[56:57], s[64:65], exec
	s_or_b64 s[52:53], s[52:53], vcc
	s_andn2_b64 vcc, s[50:51], exec
	s_and_b64 s[50:51], s[58:59], exec
	s_or_b64 s[54:55], s[54:55], s[56:57]
	s_or_b64 s[50:51], vcc, s[50:51]
.LBB47_1050:                            ;   in Loop: Header=BB47_17 Depth=1
	s_or_b64 exec, exec, s[48:49]
	s_and_b64 s[48:49], s[54:55], exec
	s_and_b64 vcc, s[52:53], exec
	s_and_b64 s[50:51], s[50:51], exec
                                        ; implicit-def: $vgpr0_vgpr1
	s_andn2_saveexec_b64 s[46:47], s[46:47]
	s_cbranch_execz .LBB47_971
.LBB47_1051:                            ;   in Loop: Header=BB47_17 Depth=1
	v_cmp_gt_i16_sdwa s[52:53], v8, v36 src0_sel:BYTE_0 src1_sel:DWORD
                                        ; implicit-def: $vgpr54
	s_and_saveexec_b64 s[54:55], s[52:53]
	s_xor_b64 s[52:53], exec, s[54:55]
	s_cbranch_execz .LBB47_1073
; %bb.1052:                             ;   in Loop: Header=BB47_17 Depth=1
	v_cmp_gt_i16_sdwa s[54:55], v8, v37 src0_sel:BYTE_0 src1_sel:DWORD
                                        ; implicit-def: $vgpr54
	s_and_saveexec_b64 s[56:57], s[54:55]
	s_xor_b64 s[54:55], exec, s[56:57]
	s_cbranch_execz .LBB47_1062
; %bb.1053:                             ;   in Loop: Header=BB47_17 Depth=1
	;; [unrolled: 6-line block ×4, first 2 shown]
	flat_load_dwordx2 v[0:1], v[0:1]
	s_waitcnt vmcnt(0) lgkmcnt(0)
	v_cvt_f32_f64_e32 v54, v[0:1]
                                        ; implicit-def: $vgpr0_vgpr1
.LBB47_1056:                            ;   in Loop: Header=BB47_17 Depth=1
	s_andn2_saveexec_b64 s[58:59], s[58:59]
	s_cbranch_execz .LBB47_1058
; %bb.1057:                             ;   in Loop: Header=BB47_17 Depth=1
	flat_load_dword v54, v[0:1]
.LBB47_1058:                            ;   in Loop: Header=BB47_17 Depth=1
	s_or_b64 exec, exec, s[58:59]
                                        ; implicit-def: $vgpr0_vgpr1
.LBB47_1059:                            ;   in Loop: Header=BB47_17 Depth=1
	s_andn2_saveexec_b64 s[56:57], s[56:57]
	s_cbranch_execz .LBB47_1061
; %bb.1060:                             ;   in Loop: Header=BB47_17 Depth=1
	flat_load_dword v0, v[0:1]
	s_waitcnt vmcnt(0) lgkmcnt(0)
	v_cvt_f32_f16_e32 v54, v0
.LBB47_1061:                            ;   in Loop: Header=BB47_17 Depth=1
	s_or_b64 exec, exec, s[56:57]
                                        ; implicit-def: $vgpr0_vgpr1
.LBB47_1062:                            ;   in Loop: Header=BB47_17 Depth=1
	s_andn2_saveexec_b64 s[54:55], s[54:55]
	s_cbranch_execz .LBB47_1072
; %bb.1063:                             ;   in Loop: Header=BB47_17 Depth=1
	v_cmp_gt_i16_sdwa s[56:57], v8, v48 src0_sel:BYTE_0 src1_sel:DWORD
                                        ; implicit-def: $vgpr54
	s_and_saveexec_b64 s[58:59], s[56:57]
	s_xor_b64 s[56:57], exec, s[58:59]
	s_cbranch_execz .LBB47_1069
; %bb.1064:                             ;   in Loop: Header=BB47_17 Depth=1
	v_cmp_gt_i16_sdwa s[58:59], v8, v49 src0_sel:BYTE_0 src1_sel:DWORD
                                        ; implicit-def: $vgpr54
	s_and_saveexec_b64 s[60:61], s[58:59]
	s_xor_b64 s[58:59], exec, s[60:61]
	s_cbranch_execz .LBB47_1066
; %bb.1065:                             ;   in Loop: Header=BB47_17 Depth=1
	flat_load_dwordx2 v[0:1], v[0:1]
	s_waitcnt vmcnt(0) lgkmcnt(0)
	v_cvt_f32_f64_e32 v54, v[0:1]
                                        ; implicit-def: $vgpr0_vgpr1
.LBB47_1066:                            ;   in Loop: Header=BB47_17 Depth=1
	s_andn2_saveexec_b64 s[58:59], s[58:59]
	s_cbranch_execz .LBB47_1068
; %bb.1067:                             ;   in Loop: Header=BB47_17 Depth=1
	s_waitcnt vmcnt(0) lgkmcnt(0)
	flat_load_dword v54, v[0:1]
.LBB47_1068:                            ;   in Loop: Header=BB47_17 Depth=1
	s_or_b64 exec, exec, s[58:59]
                                        ; implicit-def: $vgpr0_vgpr1
.LBB47_1069:                            ;   in Loop: Header=BB47_17 Depth=1
	s_andn2_saveexec_b64 s[56:57], s[56:57]
	s_cbranch_execz .LBB47_1071
; %bb.1070:                             ;   in Loop: Header=BB47_17 Depth=1
	flat_load_ushort v0, v[0:1]
	s_waitcnt vmcnt(0) lgkmcnt(0)
	v_cvt_f32_f16_e32 v54, v0
.LBB47_1071:                            ;   in Loop: Header=BB47_17 Depth=1
	s_or_b64 exec, exec, s[56:57]
.LBB47_1072:                            ;   in Loop: Header=BB47_17 Depth=1
	s_or_b64 exec, exec, s[54:55]
                                        ; implicit-def: $vgpr0_vgpr1
.LBB47_1073:                            ;   in Loop: Header=BB47_17 Depth=1
	s_andn2_saveexec_b64 s[52:53], s[52:53]
	s_cbranch_execz .LBB47_1091
; %bb.1074:                             ;   in Loop: Header=BB47_17 Depth=1
	v_cmp_gt_i16_sdwa s[54:55], v8, v50 src0_sel:BYTE_0 src1_sel:DWORD
                                        ; implicit-def: $vgpr54
	s_and_saveexec_b64 s[56:57], s[54:55]
	s_xor_b64 s[54:55], exec, s[56:57]
	s_cbranch_execz .LBB47_1084
; %bb.1075:                             ;   in Loop: Header=BB47_17 Depth=1
	v_cmp_gt_i16_sdwa s[56:57], v8, v51 src0_sel:BYTE_0 src1_sel:DWORD
                                        ; implicit-def: $vgpr54
	s_and_saveexec_b64 s[58:59], s[56:57]
	s_xor_b64 s[56:57], exec, s[58:59]
	;; [unrolled: 6-line block ×3, first 2 shown]
	s_cbranch_execz .LBB47_1078
; %bb.1077:                             ;   in Loop: Header=BB47_17 Depth=1
	flat_load_dwordx2 v[0:1], v[0:1]
	s_waitcnt vmcnt(0) lgkmcnt(0)
	v_xor_b32_e32 v64, v0, v1
	v_ffbh_i32_e32 v54, v1
	v_ashrrev_i32_e32 v64, 31, v64
	v_add_u32_e32 v54, -1, v54
	v_add_u32_e32 v64, 32, v64
	v_min_u32_e32 v54, v54, v64
	v_lshlrev_b64 v[0:1], v54, v[0:1]
	v_min_u32_e32 v0, 1, v0
	v_or_b32_e32 v0, v1, v0
	v_cvt_f32_i32_e32 v0, v0
	v_sub_u32_e32 v1, 32, v54
	v_ldexp_f32 v54, v0, v1
                                        ; implicit-def: $vgpr0_vgpr1
.LBB47_1078:                            ;   in Loop: Header=BB47_17 Depth=1
	s_andn2_saveexec_b64 s[58:59], s[58:59]
	s_cbranch_execz .LBB47_1080
; %bb.1079:                             ;   in Loop: Header=BB47_17 Depth=1
	flat_load_dword v0, v[0:1]
	s_waitcnt vmcnt(0) lgkmcnt(0)
	v_cvt_f32_i32_e32 v54, v0
.LBB47_1080:                            ;   in Loop: Header=BB47_17 Depth=1
	s_or_b64 exec, exec, s[58:59]
                                        ; implicit-def: $vgpr0_vgpr1
.LBB47_1081:                            ;   in Loop: Header=BB47_17 Depth=1
	s_andn2_saveexec_b64 s[56:57], s[56:57]
	s_cbranch_execz .LBB47_1083
; %bb.1082:                             ;   in Loop: Header=BB47_17 Depth=1
	flat_load_sshort v0, v[0:1]
	s_waitcnt vmcnt(0) lgkmcnt(0)
	v_cvt_f32_i32_e32 v54, v0
.LBB47_1083:                            ;   in Loop: Header=BB47_17 Depth=1
	s_or_b64 exec, exec, s[56:57]
                                        ; implicit-def: $vgpr0_vgpr1
.LBB47_1084:                            ;   in Loop: Header=BB47_17 Depth=1
	s_andn2_saveexec_b64 s[54:55], s[54:55]
	s_cbranch_execz .LBB47_1090
; %bb.1085:                             ;   in Loop: Header=BB47_17 Depth=1
	v_cmp_gt_i16_sdwa s[56:57], v8, v14 src0_sel:BYTE_0 src1_sel:DWORD
                                        ; implicit-def: $vgpr54
	s_and_saveexec_b64 s[58:59], s[56:57]
	s_xor_b64 s[56:57], exec, s[58:59]
	s_cbranch_execz .LBB47_1087
; %bb.1086:                             ;   in Loop: Header=BB47_17 Depth=1
	flat_load_sbyte v0, v[0:1]
	s_waitcnt vmcnt(0) lgkmcnt(0)
	v_cvt_f32_i32_e32 v54, v0
                                        ; implicit-def: $vgpr0_vgpr1
.LBB47_1087:                            ;   in Loop: Header=BB47_17 Depth=1
	s_andn2_saveexec_b64 s[56:57], s[56:57]
	s_cbranch_execz .LBB47_1089
; %bb.1088:                             ;   in Loop: Header=BB47_17 Depth=1
	flat_load_ubyte v0, v[0:1]
	s_waitcnt vmcnt(0) lgkmcnt(0)
	v_cvt_f32_ubyte0_e32 v54, v0
.LBB47_1089:                            ;   in Loop: Header=BB47_17 Depth=1
	s_or_b64 exec, exec, s[56:57]
.LBB47_1090:                            ;   in Loop: Header=BB47_17 Depth=1
	s_or_b64 exec, exec, s[54:55]
.LBB47_1091:                            ;   in Loop: Header=BB47_17 Depth=1
	s_or_b64 exec, exec, s[52:53]
	s_andn2_b64 s[48:49], s[48:49], exec
	s_andn2_b64 vcc, vcc, exec
	s_or_b64 s[50:51], s[50:51], exec
	s_or_b64 exec, exec, s[46:47]
	s_mov_b64 s[46:47], 0
	s_and_saveexec_b64 s[52:53], s[50:51]
	s_cbranch_execnz .LBB47_972
	s_branch .LBB47_973
.LBB47_1092:                            ;   in Loop: Header=BB47_17 Depth=1
	v_cmp_gt_i16_sdwa vcc, v7, v17 src0_sel:BYTE_0 src1_sel:DWORD
	s_mov_b64 s[52:53], 0
                                        ; implicit-def: $sgpr54_sgpr55
                                        ; implicit-def: $sgpr44_sgpr45
                                        ; implicit-def: $vgpr64
	s_and_saveexec_b64 s[42:43], vcc
	s_xor_b64 s[42:43], exec, s[42:43]
	s_cbranch_execz .LBB47_1124
; %bb.1093:                             ;   in Loop: Header=BB47_17 Depth=1
	v_cmp_gt_i16_sdwa vcc, v7, v18 src0_sel:BYTE_0 src1_sel:DWORD
                                        ; implicit-def: $sgpr54_sgpr55
                                        ; implicit-def: $sgpr56_sgpr57
                                        ; implicit-def: $vgpr64
	s_and_saveexec_b64 s[44:45], vcc
	s_xor_b64 s[44:45], exec, s[44:45]
	s_cbranch_execz .LBB47_1109
; %bb.1094:                             ;   in Loop: Header=BB47_17 Depth=1
	v_cmp_gt_i16_sdwa s[52:53], v7, v19 src0_sel:BYTE_0 src1_sel:DWORD
	s_mov_b64 s[58:59], 0
                                        ; implicit-def: $vcc
                                        ; implicit-def: $sgpr54_sgpr55
                                        ; implicit-def: $vgpr64
	s_and_saveexec_b64 s[56:57], s[52:53]
	s_xor_b64 s[52:53], exec, s[56:57]
	s_cbranch_execz .LBB47_1104
; %bb.1095:                             ;   in Loop: Header=BB47_17 Depth=1
	v_cmp_gt_i16_sdwa vcc, v7, v20 src0_sel:BYTE_0 src1_sel:DWORD
	s_mov_b64 s[56:57], 0
                                        ; implicit-def: $sgpr54_sgpr55
                                        ; implicit-def: $sgpr58_sgpr59
                                        ; implicit-def: $vgpr64
	s_and_saveexec_b64 s[60:61], vcc
	s_xor_b64 vcc, exec, s[60:61]
	s_cbranch_execz .LBB47_1099
; %bb.1096:                             ;   in Loop: Header=BB47_17 Depth=1
	v_cmp_eq_u16_sdwa s[60:61], v7, v21 src0_sel:BYTE_0 src1_sel:DWORD
	s_mov_b64 s[54:55], 0
                                        ; implicit-def: $vgpr64
	s_and_saveexec_b64 s[58:59], s[60:61]
	s_cbranch_execz .LBB47_1098
; %bb.1097:                             ;   in Loop: Header=BB47_17 Depth=1
	flat_load_dword v0, v[0:1]
	s_mov_b64 s[56:57], exec
	s_waitcnt vmcnt(0) lgkmcnt(0)
	v_lshlrev_b32_e32 v64, 16, v0
.LBB47_1098:                            ;   in Loop: Header=BB47_17 Depth=1
	s_or_b64 exec, exec, s[58:59]
	s_mov_b64 s[58:59], -1
	s_and_b64 s[56:57], s[56:57], exec
                                        ; implicit-def: $vgpr0_vgpr1
.LBB47_1099:                            ;   in Loop: Header=BB47_17 Depth=1
	s_andn2_saveexec_b64 s[60:61], vcc
	s_cbranch_execz .LBB47_1103
; %bb.1100:                             ;   in Loop: Header=BB47_17 Depth=1
	v_cmp_eq_u16_sdwa s[64:65], v7, v22 src0_sel:BYTE_0 src1_sel:DWORD
	s_mov_b64 vcc, s[56:57]
                                        ; implicit-def: $vgpr64
	s_and_saveexec_b64 s[62:63], s[64:65]
	s_cbranch_execz .LBB47_1102
; %bb.1101:                             ;   in Loop: Header=BB47_17 Depth=1
	flat_load_ubyte v0, v[0:1]
	s_movk_i32 vcc_lo, 0xff
	s_waitcnt vmcnt(0) lgkmcnt(0)
	v_lshlrev_b32_e32 v1, 23, v0
	v_cmp_ne_u32_e32 vcc, vcc_lo, v0
	v_cndmask_b32_e32 v1, v23, v1, vcc
	v_cmp_ne_u32_e32 vcc, 0, v0
	v_cndmask_b32_e32 v64, v24, v1, vcc
	s_or_b64 vcc, s[56:57], exec
.LBB47_1102:                            ;   in Loop: Header=BB47_17 Depth=1
	s_or_b64 exec, exec, s[62:63]
	s_andn2_b64 s[56:57], s[56:57], exec
	s_and_b64 vcc, vcc, exec
	s_andn2_b64 s[54:55], s[54:55], exec
	s_or_b64 s[58:59], s[58:59], exec
	s_or_b64 s[56:57], s[56:57], vcc
.LBB47_1103:                            ;   in Loop: Header=BB47_17 Depth=1
	s_or_b64 exec, exec, s[60:61]
	s_and_b64 s[54:55], s[54:55], exec
	s_and_b64 vcc, s[58:59], exec
	s_and_b64 s[58:59], s[56:57], exec
                                        ; implicit-def: $vgpr0_vgpr1
.LBB47_1104:                            ;   in Loop: Header=BB47_17 Depth=1
	s_andn2_saveexec_b64 s[52:53], s[52:53]
	s_cbranch_execz .LBB47_1108
; %bb.1105:                             ;   in Loop: Header=BB47_17 Depth=1
	v_cmp_eq_u16_sdwa s[62:63], v7, v25 src0_sel:BYTE_0 src1_sel:DWORD
	s_mov_b64 s[60:61], s[58:59]
                                        ; implicit-def: $vgpr64
	s_and_saveexec_b64 s[56:57], s[62:63]
	s_cbranch_execz .LBB47_1107
; %bb.1106:                             ;   in Loop: Header=BB47_17 Depth=1
	flat_load_dwordx2 v[0:1], v[0:1]
	s_or_b64 s[60:61], s[58:59], exec
	s_waitcnt vmcnt(0) lgkmcnt(0)
	v_ffbh_u32_e32 v55, v1
	v_min_u32_e32 v55, 32, v55
	s_waitcnt vmcnt(0) expcnt(0) lgkmcnt(0)
	v_swap_b32 v2, v55
	v_lshlrev_b64 v[0:1], v2, v[0:1]
	v_swap_b32 v55, v2
	v_min_u32_e32 v0, 1, v0
	v_or_b32_e32 v0, v1, v0
	v_cvt_f32_u32_e32 v0, v0
	v_sub_u32_e32 v1, 32, v55
	v_ldexp_f32 v64, v0, v1
.LBB47_1107:                            ;   in Loop: Header=BB47_17 Depth=1
	s_or_b64 exec, exec, s[56:57]
	s_andn2_b64 s[56:57], s[58:59], exec
	s_and_b64 s[58:59], s[60:61], exec
	s_andn2_b64 s[54:55], s[54:55], exec
	s_or_b64 vcc, vcc, exec
	s_or_b64 s[58:59], s[56:57], s[58:59]
.LBB47_1108:                            ;   in Loop: Header=BB47_17 Depth=1
	s_or_b64 exec, exec, s[52:53]
	s_and_b64 s[56:57], s[54:55], exec
	s_and_b64 s[54:55], vcc, exec
	s_and_b64 s[52:53], s[58:59], exec
                                        ; implicit-def: $vgpr0_vgpr1
.LBB47_1109:                            ;   in Loop: Header=BB47_17 Depth=1
	s_andn2_saveexec_b64 s[44:45], s[44:45]
	s_cbranch_execz .LBB47_1123
; %bb.1110:                             ;   in Loop: Header=BB47_17 Depth=1
	v_cmp_gt_i16_sdwa vcc, v7, v26 src0_sel:BYTE_0 src1_sel:DWORD
                                        ; implicit-def: $vgpr64
	s_and_saveexec_b64 s[58:59], vcc
	s_xor_b64 vcc, exec, s[58:59]
	s_cbranch_execz .LBB47_1116
; %bb.1111:                             ;   in Loop: Header=BB47_17 Depth=1
	v_cmp_gt_i16_sdwa s[58:59], v7, v27 src0_sel:BYTE_0 src1_sel:DWORD
                                        ; implicit-def: $vgpr64
	s_and_saveexec_b64 s[60:61], s[58:59]
	s_xor_b64 s[58:59], exec, s[60:61]
	s_cbranch_execz .LBB47_1113
; %bb.1112:                             ;   in Loop: Header=BB47_17 Depth=1
	flat_load_dword v0, v[0:1]
	s_waitcnt vmcnt(0) lgkmcnt(0)
	v_cvt_f32_u32_e32 v64, v0
                                        ; implicit-def: $vgpr0_vgpr1
.LBB47_1113:                            ;   in Loop: Header=BB47_17 Depth=1
	s_andn2_saveexec_b64 s[58:59], s[58:59]
	s_cbranch_execz .LBB47_1115
; %bb.1114:                             ;   in Loop: Header=BB47_17 Depth=1
	flat_load_ushort v0, v[0:1]
	s_waitcnt vmcnt(0) lgkmcnt(0)
	v_cvt_f32_u32_e32 v64, v0
.LBB47_1115:                            ;   in Loop: Header=BB47_17 Depth=1
	s_or_b64 exec, exec, s[58:59]
                                        ; implicit-def: $vgpr0_vgpr1
.LBB47_1116:                            ;   in Loop: Header=BB47_17 Depth=1
	s_andn2_saveexec_b64 s[58:59], vcc
	s_cbranch_execz .LBB47_1122
; %bb.1117:                             ;   in Loop: Header=BB47_17 Depth=1
	flat_load_ubyte v0, v[0:1]
	s_movk_i32 vcc_lo, 0x7f
	s_mov_b64 s[60:61], 0
                                        ; implicit-def: $sgpr66
	s_waitcnt vmcnt(0) lgkmcnt(0)
	v_cmp_lt_i16_e32 vcc, vcc_lo, v0
	s_and_saveexec_b64 s[62:63], vcc
	s_xor_b64 s[62:63], exec, s[62:63]
	s_cbranch_execnz .LBB47_1896
; %bb.1118:                             ;   in Loop: Header=BB47_17 Depth=1
	s_or_saveexec_b64 s[62:63], s[62:63]
	v_mov_b32_e32 v64, s66
	s_xor_b64 exec, exec, s[62:63]
	s_cbranch_execnz .LBB47_1899
.LBB47_1119:                            ;   in Loop: Header=BB47_17 Depth=1
	s_or_b64 exec, exec, s[62:63]
	s_and_saveexec_b64 s[62:63], s[60:61]
	s_cbranch_execz .LBB47_1121
.LBB47_1120:                            ;   in Loop: Header=BB47_17 Depth=1
	v_lshlrev_b32_e32 v1, 24, v0
	v_and_b32_e32 v0, 0xffff, v0
	v_and_b32_e32 v55, 7, v0
	v_ffbh_u32_e32 v65, v55
	v_min_u32_e32 v65, 32, v65
	v_subrev_u32_e32 v66, 28, v65
	v_bfe_u32 v64, v0, 3, 4
	v_lshlrev_b32_e32 v0, v66, v0
	v_sub_u32_e32 v65, 29, v65
	v_and_b32_e32 v0, 7, v0
	v_cmp_eq_u32_e32 vcc, 0, v64
	v_cndmask_b32_e32 v64, v64, v65, vcc
	v_cndmask_b32_e32 v0, v55, v0, vcc
	v_lshlrev_b32_e32 v0, 20, v0
	v_and_b32_e32 v1, 0x80000000, v1
	v_lshl_add_u32 v55, v64, 23, v28
	v_or3_b32 v64, v1, v55, v0
.LBB47_1121:                            ;   in Loop: Header=BB47_17 Depth=1
	s_or_b64 exec, exec, s[62:63]
.LBB47_1122:                            ;   in Loop: Header=BB47_17 Depth=1
	s_or_b64 exec, exec, s[58:59]
	s_andn2_b64 s[56:57], s[56:57], exec
	s_andn2_b64 s[54:55], s[54:55], exec
	s_or_b64 s[52:53], s[52:53], exec
.LBB47_1123:                            ;   in Loop: Header=BB47_17 Depth=1
	s_or_b64 exec, exec, s[44:45]
	s_and_b64 s[44:45], s[56:57], exec
	s_and_b64 s[54:55], s[54:55], exec
	;; [unrolled: 1-line block ×3, first 2 shown]
                                        ; implicit-def: $vgpr0_vgpr1
.LBB47_1124:                            ;   in Loop: Header=BB47_17 Depth=1
	s_andn2_saveexec_b64 s[42:43], s[42:43]
	s_cbranch_execz .LBB47_1150
; %bb.1125:                             ;   in Loop: Header=BB47_17 Depth=1
	v_cmp_gt_i16_sdwa vcc, v7, v29 src0_sel:BYTE_0 src1_sel:DWORD
	s_mov_b64 s[58:59], s[52:53]
                                        ; implicit-def: $vgpr64
	s_and_saveexec_b64 s[56:57], vcc
	s_xor_b64 s[56:57], exec, s[56:57]
	s_cbranch_execz .LBB47_1139
; %bb.1126:                             ;   in Loop: Header=BB47_17 Depth=1
	v_cmp_gt_i16_sdwa vcc, v7, v30 src0_sel:BYTE_0 src1_sel:DWORD
                                        ; implicit-def: $vgpr64
	s_and_saveexec_b64 s[58:59], vcc
	s_xor_b64 s[58:59], exec, s[58:59]
	s_cbranch_execz .LBB47_1136
; %bb.1127:                             ;   in Loop: Header=BB47_17 Depth=1
	v_cmp_gt_i16_sdwa vcc, v7, v31 src0_sel:BYTE_0 src1_sel:DWORD
                                        ; implicit-def: $vgpr64
	s_and_saveexec_b64 s[60:61], vcc
	s_xor_b64 s[60:61], exec, s[60:61]
	s_cbranch_execz .LBB47_1133
; %bb.1128:                             ;   in Loop: Header=BB47_17 Depth=1
	flat_load_ubyte v0, v[0:1]
	s_movk_i32 vcc_lo, 0x7f
	s_mov_b64 s[62:63], 0
                                        ; implicit-def: $sgpr68
	s_waitcnt vmcnt(0) lgkmcnt(0)
	v_cmp_lt_i16_e32 vcc, vcc_lo, v0
	s_and_saveexec_b64 s[64:65], vcc
	s_xor_b64 s[64:65], exec, s[64:65]
	s_cbranch_execnz .LBB47_2115
; %bb.1129:                             ;   in Loop: Header=BB47_17 Depth=1
	s_or_saveexec_b64 s[64:65], s[64:65]
	v_mov_b32_e32 v64, s68
	s_xor_b64 exec, exec, s[64:65]
	s_cbranch_execnz .LBB47_2118
.LBB47_1130:                            ;   in Loop: Header=BB47_17 Depth=1
	s_or_b64 exec, exec, s[64:65]
	s_and_saveexec_b64 s[64:65], s[62:63]
	s_cbranch_execz .LBB47_1132
.LBB47_1131:                            ;   in Loop: Header=BB47_17 Depth=1
	v_lshlrev_b32_e32 v1, 24, v0
	v_and_b32_e32 v0, 0xffff, v0
	v_and_b32_e32 v55, 3, v0
	v_ffbh_u32_e32 v65, v55
	v_min_u32_e32 v65, 32, v65
	v_subrev_u32_e32 v66, 29, v65
	v_bfe_u32 v64, v0, 2, 5
	v_lshlrev_b32_e32 v0, v66, v0
	v_sub_u32_e32 v65, 30, v65
	v_and_b32_e32 v0, 3, v0
	v_cmp_eq_u32_e32 vcc, 0, v64
	v_cndmask_b32_e32 v64, v64, v65, vcc
	v_cndmask_b32_e32 v0, v55, v0, vcc
	v_lshlrev_b32_e32 v0, 21, v0
	v_and_b32_e32 v1, 0x80000000, v1
	v_lshl_add_u32 v55, v64, 23, v32
	v_or3_b32 v64, v1, v55, v0
.LBB47_1132:                            ;   in Loop: Header=BB47_17 Depth=1
	s_or_b64 exec, exec, s[64:65]
                                        ; implicit-def: $vgpr0_vgpr1
.LBB47_1133:                            ;   in Loop: Header=BB47_17 Depth=1
	s_andn2_saveexec_b64 s[60:61], s[60:61]
	s_cbranch_execz .LBB47_1135
; %bb.1134:                             ;   in Loop: Header=BB47_17 Depth=1
	flat_load_ubyte v0, v[0:1]
	s_mov_b32 vcc_lo, 0x7f800000
	s_waitcnt vmcnt(0) lgkmcnt(0)
	v_lshlrev_b32_e32 v0, 24, v0
	v_and_b32_e32 v1, 0x7f000000, v0
	v_ffbh_u32_e32 v55, v1
	v_min_u32_e32 v55, 32, v55
	v_sub_u32_e64 v55, v55, 4 clamp
	v_lshlrev_b32_e32 v65, v55, v1
	v_lshlrev_b32_e32 v55, 23, v55
	v_lshrrev_b32_e32 v65, 4, v65
	v_add_u32_e32 v64, 0x1000000, v1
	v_sub_u32_e32 v55, v65, v55
	v_ashrrev_i32_e32 v64, 8, v64
	v_add_u32_e32 v55, 0x3c000000, v55
	v_and_or_b32 v55, v64, vcc_lo, v55
	v_cmp_ne_u32_e32 vcc, 0, v1
	v_cndmask_b32_e32 v1, 0, v55, vcc
	s_brev_b32 vcc_lo, 1
	v_and_or_b32 v64, v0, vcc_lo, v1
.LBB47_1135:                            ;   in Loop: Header=BB47_17 Depth=1
	s_or_b64 exec, exec, s[60:61]
                                        ; implicit-def: $vgpr0_vgpr1
.LBB47_1136:                            ;   in Loop: Header=BB47_17 Depth=1
	s_andn2_saveexec_b64 s[58:59], s[58:59]
	s_cbranch_execz .LBB47_1138
; %bb.1137:                             ;   in Loop: Header=BB47_17 Depth=1
	flat_load_ubyte v0, v[0:1]
	s_movk_i32 vcc_lo, 0x7f00
	s_waitcnt vmcnt(0) lgkmcnt(0)
	v_lshlrev_b16_e32 v1, 8, v0
	v_lshlrev_b32_e32 v0, 25, v0
	v_lshrrev_b32_e32 v55, 4, v0
	v_and_or_b32 v64, v1, vcc_lo, 0.5
	v_or_b32_e32 v55, 0x70000000, v55
	s_brev_b32 vcc_lo, 16
	v_add_f32_e32 v64, -0.5, v64
	v_mul_f32_e32 v55, 0x7800000, v55
	v_cmp_gt_u32_e32 vcc, vcc_lo, v0
	v_cndmask_b32_e32 v0, v55, v64, vcc
	v_bfe_i32 v1, v1, 0, 16
	s_brev_b32 vcc_lo, 1
	v_and_or_b32 v64, v1, vcc_lo, v0
.LBB47_1138:                            ;   in Loop: Header=BB47_17 Depth=1
	s_or_b64 exec, exec, s[58:59]
	s_or_b64 s[58:59], s[52:53], exec
                                        ; implicit-def: $vgpr0_vgpr1
.LBB47_1139:                            ;   in Loop: Header=BB47_17 Depth=1
	s_or_saveexec_b64 s[56:57], s[56:57]
                                        ; implicit-def: $vcc
                                        ; implicit-def: $sgpr64_sgpr65
	s_xor_b64 exec, exec, s[56:57]
	s_cbranch_execz .LBB47_1149
; %bb.1140:                             ;   in Loop: Header=BB47_17 Depth=1
	v_cmp_gt_i16_sdwa vcc, v7, v33 src0_sel:BYTE_0 src1_sel:DWORD
	s_mov_b64 s[62:63], s[58:59]
                                        ; implicit-def: $sgpr64_sgpr65
                                        ; implicit-def: $sgpr60_sgpr61
                                        ; implicit-def: $vgpr64
	s_and_saveexec_b64 s[66:67], vcc
	s_xor_b64 vcc, exec, s[66:67]
	s_cbranch_execz .LBB47_1144
; %bb.1141:                             ;   in Loop: Header=BB47_17 Depth=1
	v_cmp_eq_u16_sdwa s[64:65], v7, v34 src0_sel:BYTE_0 src1_sel:DWORD
	s_mov_b64 s[62:63], s[58:59]
                                        ; implicit-def: $vgpr64
	s_and_saveexec_b64 s[60:61], s[64:65]
	s_cbranch_execz .LBB47_1143
; %bb.1142:                             ;   in Loop: Header=BB47_17 Depth=1
	flat_load_ushort v0, v[0:1]
	s_or_b64 s[62:63], s[58:59], exec
	s_waitcnt vmcnt(0) lgkmcnt(0)
	v_lshlrev_b32_e32 v64, 16, v0
.LBB47_1143:                            ;   in Loop: Header=BB47_17 Depth=1
	s_or_b64 exec, exec, s[60:61]
	s_andn2_b64 s[66:67], s[58:59], exec
	s_and_b64 s[62:63], s[62:63], exec
	s_mov_b64 s[60:61], -1
	s_mov_b64 s[64:65], 0
	s_or_b64 s[62:63], s[66:67], s[62:63]
                                        ; implicit-def: $vgpr0_vgpr1
.LBB47_1144:                            ;   in Loop: Header=BB47_17 Depth=1
	s_andn2_saveexec_b64 s[66:67], vcc
	s_cbranch_execz .LBB47_1148
; %bb.1145:                             ;   in Loop: Header=BB47_17 Depth=1
	v_cmp_eq_u16_sdwa s[70:71], v7, v35 src0_sel:BYTE_0 src1_sel:DWORD
	s_mov_b64 vcc, s[62:63]
                                        ; implicit-def: $vgpr64
	s_and_saveexec_b64 s[68:69], s[70:71]
	s_cbranch_execz .LBB47_1147
; %bb.1146:                             ;   in Loop: Header=BB47_17 Depth=1
	flat_load_ubyte v0, v[0:1]
	s_waitcnt vmcnt(0) lgkmcnt(0)
	v_cmp_ne_u16_e32 vcc, 0, v0
	v_cndmask_b32_e64 v64, 0, 1.0, vcc
	s_or_b64 vcc, s[62:63], exec
.LBB47_1147:                            ;   in Loop: Header=BB47_17 Depth=1
	s_or_b64 exec, exec, s[68:69]
	s_andn2_b64 s[62:63], s[62:63], exec
	s_and_b64 vcc, vcc, exec
	s_andn2_b64 s[64:65], s[64:65], exec
	s_or_b64 s[60:61], s[60:61], exec
	s_or_b64 s[62:63], s[62:63], vcc
.LBB47_1148:                            ;   in Loop: Header=BB47_17 Depth=1
	s_or_b64 exec, exec, s[66:67]
	s_and_b64 vcc, s[60:61], exec
	s_andn2_b64 s[58:59], s[58:59], exec
	s_and_b64 s[60:61], s[62:63], exec
	s_and_b64 s[64:65], s[64:65], exec
	s_or_b64 s[58:59], s[58:59], s[60:61]
.LBB47_1149:                            ;   in Loop: Header=BB47_17 Depth=1
	s_or_b64 exec, exec, s[56:57]
	s_andn2_b64 s[54:55], s[54:55], exec
	s_and_b64 vcc, vcc, exec
	s_andn2_b64 s[44:45], s[44:45], exec
	s_and_b64 s[56:57], s[64:65], exec
	s_or_b64 s[54:55], s[54:55], vcc
	s_andn2_b64 vcc, s[52:53], exec
	s_and_b64 s[52:53], s[58:59], exec
	s_or_b64 s[44:45], s[44:45], s[56:57]
	s_or_b64 s[52:53], vcc, s[52:53]
.LBB47_1150:                            ;   in Loop: Header=BB47_17 Depth=1
	s_or_b64 exec, exec, s[42:43]
	s_and_b64 s[44:45], s[44:45], exec
	s_and_b64 s[42:43], s[54:55], exec
	s_and_b64 vcc, s[52:53], exec
                                        ; implicit-def: $vgpr0_vgpr1
	s_andn2_saveexec_b64 s[50:51], s[50:51]
	s_cbranch_execz .LBB47_979
.LBB47_1151:                            ;   in Loop: Header=BB47_17 Depth=1
	v_cmp_gt_i16_sdwa s[52:53], v7, v36 src0_sel:BYTE_0 src1_sel:DWORD
                                        ; implicit-def: $vgpr64
	s_and_saveexec_b64 s[54:55], s[52:53]
	s_xor_b64 s[52:53], exec, s[54:55]
	s_cbranch_execz .LBB47_1173
; %bb.1152:                             ;   in Loop: Header=BB47_17 Depth=1
	v_cmp_gt_i16_sdwa s[54:55], v7, v37 src0_sel:BYTE_0 src1_sel:DWORD
                                        ; implicit-def: $vgpr64
	s_and_saveexec_b64 s[56:57], s[54:55]
	s_xor_b64 s[54:55], exec, s[56:57]
	s_cbranch_execz .LBB47_1162
; %bb.1153:                             ;   in Loop: Header=BB47_17 Depth=1
	;; [unrolled: 6-line block ×4, first 2 shown]
	flat_load_dwordx2 v[0:1], v[0:1]
	s_waitcnt vmcnt(0) lgkmcnt(0)
	v_cvt_f32_f64_e32 v64, v[0:1]
                                        ; implicit-def: $vgpr0_vgpr1
.LBB47_1156:                            ;   in Loop: Header=BB47_17 Depth=1
	s_andn2_saveexec_b64 s[58:59], s[58:59]
	s_cbranch_execz .LBB47_1158
; %bb.1157:                             ;   in Loop: Header=BB47_17 Depth=1
	flat_load_dword v64, v[0:1]
.LBB47_1158:                            ;   in Loop: Header=BB47_17 Depth=1
	s_or_b64 exec, exec, s[58:59]
                                        ; implicit-def: $vgpr0_vgpr1
.LBB47_1159:                            ;   in Loop: Header=BB47_17 Depth=1
	s_andn2_saveexec_b64 s[56:57], s[56:57]
	s_cbranch_execz .LBB47_1161
; %bb.1160:                             ;   in Loop: Header=BB47_17 Depth=1
	flat_load_dword v0, v[0:1]
	s_waitcnt vmcnt(0) lgkmcnt(0)
	v_cvt_f32_f16_e32 v64, v0
.LBB47_1161:                            ;   in Loop: Header=BB47_17 Depth=1
	s_or_b64 exec, exec, s[56:57]
                                        ; implicit-def: $vgpr0_vgpr1
.LBB47_1162:                            ;   in Loop: Header=BB47_17 Depth=1
	s_andn2_saveexec_b64 s[54:55], s[54:55]
	s_cbranch_execz .LBB47_1172
; %bb.1163:                             ;   in Loop: Header=BB47_17 Depth=1
	v_cmp_gt_i16_sdwa s[56:57], v7, v48 src0_sel:BYTE_0 src1_sel:DWORD
                                        ; implicit-def: $vgpr64
	s_and_saveexec_b64 s[58:59], s[56:57]
	s_xor_b64 s[56:57], exec, s[58:59]
	s_cbranch_execz .LBB47_1169
; %bb.1164:                             ;   in Loop: Header=BB47_17 Depth=1
	v_cmp_gt_i16_sdwa s[58:59], v7, v49 src0_sel:BYTE_0 src1_sel:DWORD
                                        ; implicit-def: $vgpr64
	s_and_saveexec_b64 s[60:61], s[58:59]
	s_xor_b64 s[58:59], exec, s[60:61]
	s_cbranch_execz .LBB47_1166
; %bb.1165:                             ;   in Loop: Header=BB47_17 Depth=1
	flat_load_dwordx2 v[0:1], v[0:1]
	s_waitcnt vmcnt(0) lgkmcnt(0)
	v_cvt_f32_f64_e32 v64, v[0:1]
                                        ; implicit-def: $vgpr0_vgpr1
.LBB47_1166:                            ;   in Loop: Header=BB47_17 Depth=1
	s_andn2_saveexec_b64 s[58:59], s[58:59]
	s_cbranch_execz .LBB47_1168
; %bb.1167:                             ;   in Loop: Header=BB47_17 Depth=1
	s_waitcnt vmcnt(0) lgkmcnt(0)
	flat_load_dword v64, v[0:1]
.LBB47_1168:                            ;   in Loop: Header=BB47_17 Depth=1
	s_or_b64 exec, exec, s[58:59]
                                        ; implicit-def: $vgpr0_vgpr1
.LBB47_1169:                            ;   in Loop: Header=BB47_17 Depth=1
	s_andn2_saveexec_b64 s[56:57], s[56:57]
	s_cbranch_execz .LBB47_1171
; %bb.1170:                             ;   in Loop: Header=BB47_17 Depth=1
	flat_load_ushort v0, v[0:1]
	s_waitcnt vmcnt(0) lgkmcnt(0)
	v_cvt_f32_f16_e32 v64, v0
.LBB47_1171:                            ;   in Loop: Header=BB47_17 Depth=1
	s_or_b64 exec, exec, s[56:57]
.LBB47_1172:                            ;   in Loop: Header=BB47_17 Depth=1
	s_or_b64 exec, exec, s[54:55]
                                        ; implicit-def: $vgpr0_vgpr1
.LBB47_1173:                            ;   in Loop: Header=BB47_17 Depth=1
	s_andn2_saveexec_b64 s[52:53], s[52:53]
	s_cbranch_execz .LBB47_1191
; %bb.1174:                             ;   in Loop: Header=BB47_17 Depth=1
	v_cmp_gt_i16_sdwa s[54:55], v7, v50 src0_sel:BYTE_0 src1_sel:DWORD
                                        ; implicit-def: $vgpr64
	s_and_saveexec_b64 s[56:57], s[54:55]
	s_xor_b64 s[54:55], exec, s[56:57]
	s_cbranch_execz .LBB47_1184
; %bb.1175:                             ;   in Loop: Header=BB47_17 Depth=1
	v_cmp_gt_i16_sdwa s[56:57], v7, v51 src0_sel:BYTE_0 src1_sel:DWORD
                                        ; implicit-def: $vgpr64
	s_and_saveexec_b64 s[58:59], s[56:57]
	s_xor_b64 s[56:57], exec, s[58:59]
	;; [unrolled: 6-line block ×3, first 2 shown]
	s_cbranch_execz .LBB47_1178
; %bb.1177:                             ;   in Loop: Header=BB47_17 Depth=1
	flat_load_dwordx2 v[0:1], v[0:1]
	s_waitcnt vmcnt(0) lgkmcnt(0)
	v_xor_b32_e32 v64, v0, v1
	v_ffbh_i32_e32 v55, v1
	v_ashrrev_i32_e32 v64, 31, v64
	v_add_u32_e32 v55, -1, v55
	v_add_u32_e32 v64, 32, v64
	v_min_u32_e32 v55, v55, v64
	s_waitcnt vmcnt(0) expcnt(0) lgkmcnt(0)
	v_swap_b32 v2, v55
	v_lshlrev_b64 v[0:1], v2, v[0:1]
	v_swap_b32 v55, v2
	v_min_u32_e32 v0, 1, v0
	v_or_b32_e32 v0, v1, v0
	v_cvt_f32_i32_e32 v0, v0
	v_sub_u32_e32 v1, 32, v55
	v_ldexp_f32 v64, v0, v1
                                        ; implicit-def: $vgpr0_vgpr1
.LBB47_1178:                            ;   in Loop: Header=BB47_17 Depth=1
	s_andn2_saveexec_b64 s[58:59], s[58:59]
	s_cbranch_execz .LBB47_1180
; %bb.1179:                             ;   in Loop: Header=BB47_17 Depth=1
	flat_load_dword v0, v[0:1]
	s_waitcnt vmcnt(0) lgkmcnt(0)
	v_cvt_f32_i32_e32 v64, v0
.LBB47_1180:                            ;   in Loop: Header=BB47_17 Depth=1
	s_or_b64 exec, exec, s[58:59]
                                        ; implicit-def: $vgpr0_vgpr1
.LBB47_1181:                            ;   in Loop: Header=BB47_17 Depth=1
	s_andn2_saveexec_b64 s[56:57], s[56:57]
	s_cbranch_execz .LBB47_1183
; %bb.1182:                             ;   in Loop: Header=BB47_17 Depth=1
	flat_load_sshort v0, v[0:1]
	s_waitcnt vmcnt(0) lgkmcnt(0)
	v_cvt_f32_i32_e32 v64, v0
.LBB47_1183:                            ;   in Loop: Header=BB47_17 Depth=1
	s_or_b64 exec, exec, s[56:57]
                                        ; implicit-def: $vgpr0_vgpr1
.LBB47_1184:                            ;   in Loop: Header=BB47_17 Depth=1
	s_andn2_saveexec_b64 s[54:55], s[54:55]
	s_cbranch_execz .LBB47_1190
; %bb.1185:                             ;   in Loop: Header=BB47_17 Depth=1
	v_cmp_gt_i16_sdwa s[56:57], v7, v14 src0_sel:BYTE_0 src1_sel:DWORD
                                        ; implicit-def: $vgpr64
	s_and_saveexec_b64 s[58:59], s[56:57]
	s_xor_b64 s[56:57], exec, s[58:59]
	s_cbranch_execz .LBB47_1187
; %bb.1186:                             ;   in Loop: Header=BB47_17 Depth=1
	flat_load_sbyte v0, v[0:1]
	s_waitcnt vmcnt(0) lgkmcnt(0)
	v_cvt_f32_i32_e32 v64, v0
                                        ; implicit-def: $vgpr0_vgpr1
.LBB47_1187:                            ;   in Loop: Header=BB47_17 Depth=1
	s_andn2_saveexec_b64 s[56:57], s[56:57]
	s_cbranch_execz .LBB47_1189
; %bb.1188:                             ;   in Loop: Header=BB47_17 Depth=1
	flat_load_ubyte v0, v[0:1]
	s_waitcnt vmcnt(0) lgkmcnt(0)
	v_cvt_f32_ubyte0_e32 v64, v0
.LBB47_1189:                            ;   in Loop: Header=BB47_17 Depth=1
	s_or_b64 exec, exec, s[56:57]
.LBB47_1190:                            ;   in Loop: Header=BB47_17 Depth=1
	s_or_b64 exec, exec, s[54:55]
.LBB47_1191:                            ;   in Loop: Header=BB47_17 Depth=1
	s_or_b64 exec, exec, s[52:53]
	s_andn2_b64 s[44:45], s[44:45], exec
	s_andn2_b64 s[42:43], s[42:43], exec
	s_or_b64 vcc, vcc, exec
	s_or_b64 exec, exec, s[50:51]
	s_mov_b64 s[52:53], 0
	s_and_saveexec_b64 s[50:51], vcc
	s_cbranch_execz .LBB47_1197
.LBB47_1192:                            ;   in Loop: Header=BB47_17 Depth=1
	v_mul_lo_u32 v0, v54, v10
	v_readlane_b32 s52, v44, 0
	v_add_co_u32_e32 v0, vcc, v4, v0
	v_add_u32_e32 v55, s52, v15
	v_addc_co_u32_e32 v1, vcc, 0, v5, vcc
	v_cmp_gt_i16_sdwa s[52:53], v8, v16 src0_sel:BYTE_0 src1_sel:DWORD
	s_mov_b64 s[56:57], 0
	s_waitcnt vmcnt(0) lgkmcnt(0)
	buffer_store_dword v64, v55, s[0:3], 0 offen offset:44
                                        ; implicit-def: $vcc
                                        ; implicit-def: $sgpr54_sgpr55
                                        ; implicit-def: $vgpr54
	s_and_saveexec_b64 s[58:59], s[52:53]
	s_xor_b64 s[52:53], exec, s[58:59]
	s_cbranch_execnz .LBB47_1219
; %bb.1193:                             ;   in Loop: Header=BB47_17 Depth=1
	s_andn2_saveexec_b64 s[52:53], s[52:53]
	s_cbranch_execnz .LBB47_1278
.LBB47_1194:                            ;   in Loop: Header=BB47_17 Depth=1
	s_or_b64 exec, exec, s[52:53]
	s_mov_b64 s[52:53], 0
	s_and_saveexec_b64 s[58:59], s[56:57]
	s_cbranch_execz .LBB47_1196
.LBB47_1195:                            ;   in Loop: Header=BB47_17 Depth=1
	s_mov_b64 s[52:53], exec
	v_add_u32_e32 v53, 0x200, v53
	s_andn2_b64 s[54:55], s[54:55], exec
	s_andn2_b64 vcc, vcc, exec
	s_waitcnt vmcnt(0) lgkmcnt(0)
	buffer_store_dword v54, v55, s[0:3], 0 offen offset:40
.LBB47_1196:                            ;   in Loop: Header=BB47_17 Depth=1
	s_or_b64 exec, exec, s[58:59]
	s_andn2_b64 s[44:45], s[44:45], exec
	s_and_b64 s[54:55], s[54:55], exec
	s_andn2_b64 s[42:43], s[42:43], exec
	s_and_b64 vcc, vcc, exec
	s_or_b64 s[44:45], s[44:45], s[54:55]
	s_or_b64 s[42:43], s[42:43], vcc
	s_and_b64 s[52:53], s[52:53], exec
.LBB47_1197:                            ;   in Loop: Header=BB47_17 Depth=1
	s_or_b64 exec, exec, s[50:51]
	s_and_b64 s[44:45], s[44:45], exec
	s_and_b64 s[42:43], s[42:43], exec
	s_orn2_b64 s[50:51], s[52:53], exec
.LBB47_1198:                            ;   in Loop: Header=BB47_17 Depth=1
	s_or_b64 exec, exec, s[46:47]
	s_and_saveexec_b64 s[46:47], s[50:51]
	s_cbranch_execz .LBB47_11
; %bb.1199:                             ;   in Loop: Header=BB47_17 Depth=1
	v_cmp_lt_i32_e32 vcc, v53, v6
	s_mov_b64 s[54:55], -1
	s_mov_b64 s[56:57], -1
                                        ; implicit-def: $sgpr48_sgpr49
                                        ; implicit-def: $sgpr50_sgpr51
	s_and_saveexec_b64 s[52:53], vcc
	s_cbranch_execz .LBB47_1425
; %bb.1200:                             ;   in Loop: Header=BB47_17 Depth=1
	v_readlane_b32 vcc_lo, v44, 1
	s_waitcnt vmcnt(0) lgkmcnt(0)
	v_add_u32_e32 v54, vcc_lo, v53
	v_mul_lo_u32 v0, v54, v9
	v_add_co_u32_e32 v0, vcc, v2, v0
	v_addc_co_u32_e32 v1, vcc, 0, v3, vcc
	v_cmp_gt_i16_sdwa s[56:57], v7, v16 src0_sel:BYTE_0 src1_sel:DWORD
	s_mov_b64 vcc, 0
                                        ; implicit-def: $sgpr48_sgpr49
                                        ; implicit-def: $sgpr50_sgpr51
                                        ; implicit-def: $vgpr64
	s_and_saveexec_b64 s[58:59], s[56:57]
	s_xor_b64 s[56:57], exec, s[58:59]
	s_cbranch_execnz .LBB47_1319
; %bb.1201:                             ;   in Loop: Header=BB47_17 Depth=1
	s_andn2_saveexec_b64 s[56:57], s[56:57]
	s_cbranch_execnz .LBB47_1378
.LBB47_1202:                            ;   in Loop: Header=BB47_17 Depth=1
	s_or_b64 exec, exec, s[56:57]
	s_mov_b64 s[58:59], 0
	s_and_saveexec_b64 s[56:57], vcc
	s_cbranch_execnz .LBB47_1419
	s_branch .LBB47_1424
.LBB47_1203:                            ;   in Loop: Header=BB47_17 Depth=1
	s_movk_i32 vcc_lo, 0x80
	v_cmp_eq_u16_e32 vcc, vcc_lo, v0
	s_mov_b64 s[42:43], -1
                                        ; implicit-def: $sgpr48
	s_and_saveexec_b64 s[46:47], vcc
; %bb.1204:                             ;   in Loop: Header=BB47_17 Depth=1
	s_mov_b32 s48, 0x7f800001
	s_xor_b64 s[42:43], exec, -1
; %bb.1205:                             ;   in Loop: Header=BB47_17 Depth=1
	s_or_b64 exec, exec, s[46:47]
	s_and_b64 s[42:43], s[42:43], exec
	s_or_saveexec_b64 s[44:45], s[44:45]
	v_mov_b32_e32 v54, s48
	s_xor_b64 exec, exec, s[44:45]
	s_cbranch_execz .LBB47_170
.LBB47_1206:                            ;   in Loop: Header=BB47_17 Depth=1
	v_cmp_ne_u16_e32 vcc, 0, v0
	s_andn2_b64 s[42:43], s[42:43], exec
	s_and_b64 vcc, vcc, exec
	v_mov_b32_e32 v54, 0
	s_or_b64 s[42:43], s[42:43], vcc
	s_or_b64 exec, exec, s[44:45]
	s_and_saveexec_b64 s[44:45], s[42:43]
	s_cbranch_execnz .LBB47_171
	s_branch .LBB47_172
.LBB47_1207:                            ;   in Loop: Header=BB47_17 Depth=1
	s_movk_i32 vcc_lo, 0x80
	v_cmp_eq_u16_e32 vcc, vcc_lo, v0
	s_mov_b64 s[38:39], -1
                                        ; implicit-def: $sgpr44
	s_and_saveexec_b64 s[42:43], vcc
; %bb.1208:                             ;   in Loop: Header=BB47_17 Depth=1
	s_mov_b32 s44, 0x7f800001
	s_xor_b64 s[38:39], exec, -1
; %bb.1209:                             ;   in Loop: Header=BB47_17 Depth=1
	s_or_b64 exec, exec, s[42:43]
	s_and_b64 s[38:39], s[38:39], exec
	s_or_saveexec_b64 s[40:41], s[40:41]
	v_mov_b32_e32 v64, s44
	s_xor_b64 exec, exec, s[40:41]
	s_cbranch_execz .LBB47_270
.LBB47_1210:                            ;   in Loop: Header=BB47_17 Depth=1
	v_cmp_ne_u16_e32 vcc, 0, v0
	s_andn2_b64 s[38:39], s[38:39], exec
	s_and_b64 vcc, vcc, exec
	v_mov_b32_e32 v64, 0
	s_or_b64 s[38:39], s[38:39], vcc
	s_or_b64 exec, exec, s[40:41]
	s_and_saveexec_b64 s[40:41], s[38:39]
	s_cbranch_execnz .LBB47_271
	s_branch .LBB47_272
.LBB47_1211:                            ;   in Loop: Header=BB47_17 Depth=1
	s_movk_i32 vcc_lo, 0x80
	v_cmp_eq_u16_e32 vcc, vcc_lo, v0
	s_mov_b64 s[42:43], -1
                                        ; implicit-def: $sgpr48
	s_and_saveexec_b64 s[46:47], vcc
; %bb.1212:                             ;   in Loop: Header=BB47_17 Depth=1
	s_mov_b32 s48, 0x7f800001
	s_xor_b64 s[42:43], exec, -1
; %bb.1213:                             ;   in Loop: Header=BB47_17 Depth=1
	s_or_b64 exec, exec, s[46:47]
	s_and_b64 s[42:43], s[42:43], exec
	s_or_saveexec_b64 s[44:45], s[44:45]
	v_mov_b32_e32 v54, s48
	s_xor_b64 exec, exec, s[44:45]
	s_cbranch_execz .LBB47_370
.LBB47_1214:                            ;   in Loop: Header=BB47_17 Depth=1
	v_cmp_ne_u16_e32 vcc, 0, v0
	s_andn2_b64 s[42:43], s[42:43], exec
	s_and_b64 vcc, vcc, exec
	v_mov_b32_e32 v54, 0
	s_or_b64 s[42:43], s[42:43], vcc
	s_or_b64 exec, exec, s[44:45]
	s_and_saveexec_b64 s[44:45], s[42:43]
	s_cbranch_execnz .LBB47_371
	s_branch .LBB47_372
.LBB47_1215:                            ;   in Loop: Header=BB47_17 Depth=1
	s_movk_i32 vcc_lo, 0x80
	v_cmp_eq_u16_e32 vcc, vcc_lo, v0
	s_mov_b64 s[42:43], -1
                                        ; implicit-def: $sgpr48
	s_and_saveexec_b64 s[46:47], vcc
; %bb.1216:                             ;   in Loop: Header=BB47_17 Depth=1
	s_mov_b32 s48, 0x7f800001
	s_xor_b64 s[42:43], exec, -1
; %bb.1217:                             ;   in Loop: Header=BB47_17 Depth=1
	s_or_b64 exec, exec, s[46:47]
	s_and_b64 s[42:43], s[42:43], exec
	s_or_saveexec_b64 s[44:45], s[44:45]
	v_mov_b32_e32 v64, s48
	s_xor_b64 exec, exec, s[44:45]
	s_cbranch_execz .LBB47_470
.LBB47_1218:                            ;   in Loop: Header=BB47_17 Depth=1
	v_cmp_ne_u16_e32 vcc, 0, v0
	s_andn2_b64 s[42:43], s[42:43], exec
	s_and_b64 vcc, vcc, exec
	v_mov_b32_e32 v64, 0
	s_or_b64 s[42:43], s[42:43], vcc
	s_or_b64 exec, exec, s[44:45]
	s_and_saveexec_b64 s[44:45], s[42:43]
	s_cbranch_execnz .LBB47_471
	s_branch .LBB47_472
.LBB47_1219:                            ;   in Loop: Header=BB47_17 Depth=1
	v_cmp_gt_i16_sdwa vcc, v8, v17 src0_sel:BYTE_0 src1_sel:DWORD
                                        ; implicit-def: $sgpr58_sgpr59
                                        ; implicit-def: $sgpr60_sgpr61
                                        ; implicit-def: $vgpr54
	s_and_saveexec_b64 s[54:55], vcc
	s_xor_b64 s[54:55], exec, s[54:55]
	s_cbranch_execz .LBB47_1251
; %bb.1220:                             ;   in Loop: Header=BB47_17 Depth=1
	v_cmp_gt_i16_sdwa vcc, v8, v18 src0_sel:BYTE_0 src1_sel:DWORD
                                        ; implicit-def: $sgpr58_sgpr59
                                        ; implicit-def: $sgpr62_sgpr63
                                        ; implicit-def: $vgpr54
	s_and_saveexec_b64 s[60:61], vcc
	s_xor_b64 s[60:61], exec, s[60:61]
	s_cbranch_execz .LBB47_1236
; %bb.1221:                             ;   in Loop: Header=BB47_17 Depth=1
	v_cmp_gt_i16_sdwa s[56:57], v8, v19 src0_sel:BYTE_0 src1_sel:DWORD
	s_mov_b64 s[64:65], 0
                                        ; implicit-def: $vcc
                                        ; implicit-def: $sgpr62_sgpr63
                                        ; implicit-def: $vgpr54
	s_and_saveexec_b64 s[58:59], s[56:57]
	s_xor_b64 s[56:57], exec, s[58:59]
	s_cbranch_execz .LBB47_1231
; %bb.1222:                             ;   in Loop: Header=BB47_17 Depth=1
	v_cmp_gt_i16_sdwa vcc, v8, v20 src0_sel:BYTE_0 src1_sel:DWORD
                                        ; implicit-def: $sgpr62_sgpr63
                                        ; implicit-def: $sgpr58_sgpr59
                                        ; implicit-def: $vgpr54
	s_and_saveexec_b64 s[66:67], vcc
	s_xor_b64 vcc, exec, s[66:67]
	s_cbranch_execz .LBB47_1226
; %bb.1223:                             ;   in Loop: Header=BB47_17 Depth=1
	v_cmp_eq_u16_sdwa s[66:67], v8, v21 src0_sel:BYTE_0 src1_sel:DWORD
	s_mov_b64 s[58:59], 0
                                        ; implicit-def: $vgpr54
	s_and_saveexec_b64 s[62:63], s[66:67]
	s_cbranch_execz .LBB47_1225
; %bb.1224:                             ;   in Loop: Header=BB47_17 Depth=1
	flat_load_dword v0, v[0:1]
	s_mov_b64 s[64:65], exec
	s_waitcnt vmcnt(0) lgkmcnt(0)
	v_lshlrev_b32_e32 v54, 16, v0
.LBB47_1225:                            ;   in Loop: Header=BB47_17 Depth=1
	s_or_b64 exec, exec, s[62:63]
	s_mov_b64 s[62:63], -1
	s_and_b64 s[64:65], s[64:65], exec
                                        ; implicit-def: $vgpr0_vgpr1
.LBB47_1226:                            ;   in Loop: Header=BB47_17 Depth=1
	s_andn2_saveexec_b64 s[66:67], vcc
	s_cbranch_execz .LBB47_1230
; %bb.1227:                             ;   in Loop: Header=BB47_17 Depth=1
	v_cmp_eq_u16_sdwa s[70:71], v8, v22 src0_sel:BYTE_0 src1_sel:DWORD
	s_mov_b64 vcc, s[64:65]
                                        ; implicit-def: $vgpr54
	s_and_saveexec_b64 s[68:69], s[70:71]
	s_cbranch_execz .LBB47_1229
; %bb.1228:                             ;   in Loop: Header=BB47_17 Depth=1
	flat_load_ubyte v0, v[0:1]
	s_movk_i32 vcc_lo, 0xff
	s_waitcnt vmcnt(0) lgkmcnt(0)
	v_lshlrev_b32_e32 v1, 23, v0
	v_cmp_ne_u32_e32 vcc, vcc_lo, v0
	v_cndmask_b32_e32 v1, v23, v1, vcc
	v_cmp_ne_u32_e32 vcc, 0, v0
	v_cndmask_b32_e32 v54, v24, v1, vcc
	s_or_b64 vcc, s[64:65], exec
.LBB47_1229:                            ;   in Loop: Header=BB47_17 Depth=1
	s_or_b64 exec, exec, s[68:69]
	s_andn2_b64 s[64:65], s[64:65], exec
	s_and_b64 vcc, vcc, exec
	s_or_b64 s[62:63], s[62:63], exec
	s_andn2_b64 s[58:59], s[58:59], exec
	s_or_b64 s[64:65], s[64:65], vcc
.LBB47_1230:                            ;   in Loop: Header=BB47_17 Depth=1
	s_or_b64 exec, exec, s[66:67]
	s_and_b64 s[62:63], s[62:63], exec
	s_and_b64 vcc, s[58:59], exec
	s_and_b64 s[64:65], s[64:65], exec
                                        ; implicit-def: $vgpr0_vgpr1
.LBB47_1231:                            ;   in Loop: Header=BB47_17 Depth=1
	s_andn2_saveexec_b64 s[56:57], s[56:57]
	s_cbranch_execz .LBB47_1235
; %bb.1232:                             ;   in Loop: Header=BB47_17 Depth=1
	v_cmp_eq_u16_sdwa s[68:69], v8, v25 src0_sel:BYTE_0 src1_sel:DWORD
	s_mov_b64 s[66:67], s[64:65]
                                        ; implicit-def: $vgpr54
	s_and_saveexec_b64 s[58:59], s[68:69]
	s_cbranch_execz .LBB47_1234
; %bb.1233:                             ;   in Loop: Header=BB47_17 Depth=1
	flat_load_dwordx2 v[0:1], v[0:1]
	s_or_b64 s[66:67], s[64:65], exec
	s_waitcnt vmcnt(0) lgkmcnt(0)
	v_ffbh_u32_e32 v54, v1
	v_min_u32_e32 v54, 32, v54
	v_lshlrev_b64 v[0:1], v54, v[0:1]
	v_min_u32_e32 v0, 1, v0
	v_or_b32_e32 v0, v1, v0
	v_cvt_f32_u32_e32 v0, v0
	v_sub_u32_e32 v1, 32, v54
	v_ldexp_f32 v54, v0, v1
.LBB47_1234:                            ;   in Loop: Header=BB47_17 Depth=1
	s_or_b64 exec, exec, s[58:59]
	s_andn2_b64 s[58:59], s[64:65], exec
	s_and_b64 s[64:65], s[66:67], exec
	s_or_b64 s[62:63], s[62:63], exec
	s_andn2_b64 vcc, vcc, exec
	s_or_b64 s[64:65], s[58:59], s[64:65]
.LBB47_1235:                            ;   in Loop: Header=BB47_17 Depth=1
	s_or_b64 exec, exec, s[56:57]
	s_and_b64 s[62:63], s[62:63], exec
	s_and_b64 s[58:59], vcc, exec
	s_and_b64 s[56:57], s[64:65], exec
                                        ; implicit-def: $vgpr0_vgpr1
.LBB47_1236:                            ;   in Loop: Header=BB47_17 Depth=1
	s_andn2_saveexec_b64 s[60:61], s[60:61]
	s_cbranch_execz .LBB47_1250
; %bb.1237:                             ;   in Loop: Header=BB47_17 Depth=1
	v_cmp_gt_i16_sdwa vcc, v8, v26 src0_sel:BYTE_0 src1_sel:DWORD
                                        ; implicit-def: $vgpr54
	s_and_saveexec_b64 s[64:65], vcc
	s_xor_b64 vcc, exec, s[64:65]
	s_cbranch_execz .LBB47_1243
; %bb.1238:                             ;   in Loop: Header=BB47_17 Depth=1
	v_cmp_gt_i16_sdwa s[64:65], v8, v27 src0_sel:BYTE_0 src1_sel:DWORD
                                        ; implicit-def: $vgpr54
	s_and_saveexec_b64 s[66:67], s[64:65]
	s_xor_b64 s[64:65], exec, s[66:67]
	s_cbranch_execz .LBB47_1240
; %bb.1239:                             ;   in Loop: Header=BB47_17 Depth=1
	flat_load_dword v0, v[0:1]
	s_waitcnt vmcnt(0) lgkmcnt(0)
	v_cvt_f32_u32_e32 v54, v0
                                        ; implicit-def: $vgpr0_vgpr1
.LBB47_1240:                            ;   in Loop: Header=BB47_17 Depth=1
	s_andn2_saveexec_b64 s[64:65], s[64:65]
	s_cbranch_execz .LBB47_1242
; %bb.1241:                             ;   in Loop: Header=BB47_17 Depth=1
	flat_load_ushort v0, v[0:1]
	s_waitcnt vmcnt(0) lgkmcnt(0)
	v_cvt_f32_u32_e32 v54, v0
.LBB47_1242:                            ;   in Loop: Header=BB47_17 Depth=1
	s_or_b64 exec, exec, s[64:65]
                                        ; implicit-def: $vgpr0_vgpr1
.LBB47_1243:                            ;   in Loop: Header=BB47_17 Depth=1
	s_andn2_saveexec_b64 s[64:65], vcc
	s_cbranch_execz .LBB47_1249
; %bb.1244:                             ;   in Loop: Header=BB47_17 Depth=1
	flat_load_ubyte v0, v[0:1]
	s_movk_i32 vcc_lo, 0x7f
	s_mov_b64 s[66:67], 0
                                        ; implicit-def: $sgpr72
	s_waitcnt vmcnt(0) lgkmcnt(0)
	v_cmp_lt_i16_e32 vcc, vcc_lo, v0
	s_and_saveexec_b64 s[68:69], vcc
	s_xor_b64 s[68:69], exec, s[68:69]
	s_cbranch_execnz .LBB47_2119
; %bb.1245:                             ;   in Loop: Header=BB47_17 Depth=1
	s_or_saveexec_b64 s[68:69], s[68:69]
	v_mov_b32_e32 v54, s72
	s_xor_b64 exec, exec, s[68:69]
	s_cbranch_execnz .LBB47_2122
.LBB47_1246:                            ;   in Loop: Header=BB47_17 Depth=1
	s_or_b64 exec, exec, s[68:69]
	s_and_saveexec_b64 s[68:69], s[66:67]
	s_cbranch_execz .LBB47_1248
.LBB47_1247:                            ;   in Loop: Header=BB47_17 Depth=1
	v_lshlrev_b32_e32 v1, 24, v0
	v_and_b32_e32 v0, 0xffff, v0
	v_and_b32_e32 v54, 7, v0
	v_ffbh_u32_e32 v65, v54
	v_min_u32_e32 v65, 32, v65
	v_subrev_u32_e32 v66, 28, v65
	v_bfe_u32 v64, v0, 3, 4
	v_lshlrev_b32_e32 v0, v66, v0
	v_sub_u32_e32 v65, 29, v65
	v_and_b32_e32 v0, 7, v0
	v_cmp_eq_u32_e32 vcc, 0, v64
	v_cndmask_b32_e32 v64, v64, v65, vcc
	v_cndmask_b32_e32 v0, v54, v0, vcc
	v_lshlrev_b32_e32 v0, 20, v0
	v_and_b32_e32 v1, 0x80000000, v1
	v_lshl_add_u32 v54, v64, 23, v28
	v_or3_b32 v54, v1, v54, v0
.LBB47_1248:                            ;   in Loop: Header=BB47_17 Depth=1
	s_or_b64 exec, exec, s[68:69]
.LBB47_1249:                            ;   in Loop: Header=BB47_17 Depth=1
	s_or_b64 exec, exec, s[64:65]
	s_andn2_b64 s[62:63], s[62:63], exec
	s_andn2_b64 s[58:59], s[58:59], exec
	s_or_b64 s[56:57], s[56:57], exec
.LBB47_1250:                            ;   in Loop: Header=BB47_17 Depth=1
	s_or_b64 exec, exec, s[60:61]
	s_and_b64 s[60:61], s[62:63], exec
	s_and_b64 s[58:59], s[58:59], exec
	s_and_b64 s[56:57], s[56:57], exec
                                        ; implicit-def: $vgpr0_vgpr1
.LBB47_1251:                            ;   in Loop: Header=BB47_17 Depth=1
	s_andn2_saveexec_b64 s[54:55], s[54:55]
	s_cbranch_execz .LBB47_1277
; %bb.1252:                             ;   in Loop: Header=BB47_17 Depth=1
	v_cmp_gt_i16_sdwa vcc, v8, v29 src0_sel:BYTE_0 src1_sel:DWORD
	s_mov_b64 s[64:65], s[56:57]
                                        ; implicit-def: $vgpr54
	s_and_saveexec_b64 s[62:63], vcc
	s_xor_b64 s[62:63], exec, s[62:63]
	s_cbranch_execz .LBB47_1266
; %bb.1253:                             ;   in Loop: Header=BB47_17 Depth=1
	v_cmp_gt_i16_sdwa vcc, v8, v30 src0_sel:BYTE_0 src1_sel:DWORD
                                        ; implicit-def: $vgpr54
	s_and_saveexec_b64 s[64:65], vcc
	s_xor_b64 s[64:65], exec, s[64:65]
	s_cbranch_execz .LBB47_1263
; %bb.1254:                             ;   in Loop: Header=BB47_17 Depth=1
	v_cmp_gt_i16_sdwa vcc, v8, v31 src0_sel:BYTE_0 src1_sel:DWORD
                                        ; implicit-def: $vgpr54
	s_and_saveexec_b64 s[66:67], vcc
	s_xor_b64 s[66:67], exec, s[66:67]
	s_cbranch_execz .LBB47_1260
; %bb.1255:                             ;   in Loop: Header=BB47_17 Depth=1
	flat_load_ubyte v0, v[0:1]
	s_movk_i32 vcc_lo, 0x7f
	s_mov_b64 s[68:69], 0
                                        ; implicit-def: $sgpr74
	s_waitcnt vmcnt(0) lgkmcnt(0)
	v_cmp_lt_i16_e32 vcc, vcc_lo, v0
	s_and_saveexec_b64 s[70:71], vcc
	s_xor_b64 s[70:71], exec, s[70:71]
	s_cbranch_execnz .LBB47_2338
; %bb.1256:                             ;   in Loop: Header=BB47_17 Depth=1
	s_or_saveexec_b64 s[70:71], s[70:71]
	v_mov_b32_e32 v54, s74
	s_xor_b64 exec, exec, s[70:71]
	s_cbranch_execnz .LBB47_2341
.LBB47_1257:                            ;   in Loop: Header=BB47_17 Depth=1
	s_or_b64 exec, exec, s[70:71]
	s_and_saveexec_b64 s[70:71], s[68:69]
	s_cbranch_execz .LBB47_1259
.LBB47_1258:                            ;   in Loop: Header=BB47_17 Depth=1
	v_lshlrev_b32_e32 v1, 24, v0
	v_and_b32_e32 v0, 0xffff, v0
	v_and_b32_e32 v54, 3, v0
	v_ffbh_u32_e32 v65, v54
	v_min_u32_e32 v65, 32, v65
	v_subrev_u32_e32 v66, 29, v65
	v_bfe_u32 v64, v0, 2, 5
	v_lshlrev_b32_e32 v0, v66, v0
	v_sub_u32_e32 v65, 30, v65
	v_and_b32_e32 v0, 3, v0
	v_cmp_eq_u32_e32 vcc, 0, v64
	v_cndmask_b32_e32 v64, v64, v65, vcc
	v_cndmask_b32_e32 v0, v54, v0, vcc
	v_lshlrev_b32_e32 v0, 21, v0
	v_and_b32_e32 v1, 0x80000000, v1
	v_lshl_add_u32 v54, v64, 23, v32
	v_or3_b32 v54, v1, v54, v0
.LBB47_1259:                            ;   in Loop: Header=BB47_17 Depth=1
	s_or_b64 exec, exec, s[70:71]
                                        ; implicit-def: $vgpr0_vgpr1
.LBB47_1260:                            ;   in Loop: Header=BB47_17 Depth=1
	s_andn2_saveexec_b64 s[66:67], s[66:67]
	s_cbranch_execz .LBB47_1262
; %bb.1261:                             ;   in Loop: Header=BB47_17 Depth=1
	flat_load_ubyte v0, v[0:1]
	s_mov_b32 vcc_lo, 0x7f800000
	s_waitcnt vmcnt(0) lgkmcnt(0)
	v_lshlrev_b32_e32 v0, 24, v0
	v_and_b32_e32 v1, 0x7f000000, v0
	v_ffbh_u32_e32 v54, v1
	v_min_u32_e32 v54, 32, v54
	v_sub_u32_e64 v54, v54, 4 clamp
	v_lshlrev_b32_e32 v65, v54, v1
	v_lshlrev_b32_e32 v54, 23, v54
	v_lshrrev_b32_e32 v65, 4, v65
	v_add_u32_e32 v64, 0x1000000, v1
	v_sub_u32_e32 v54, v65, v54
	v_ashrrev_i32_e32 v64, 8, v64
	v_add_u32_e32 v54, 0x3c000000, v54
	v_and_or_b32 v54, v64, vcc_lo, v54
	v_cmp_ne_u32_e32 vcc, 0, v1
	v_cndmask_b32_e32 v1, 0, v54, vcc
	s_brev_b32 vcc_lo, 1
	v_and_or_b32 v54, v0, vcc_lo, v1
.LBB47_1262:                            ;   in Loop: Header=BB47_17 Depth=1
	s_or_b64 exec, exec, s[66:67]
                                        ; implicit-def: $vgpr0_vgpr1
.LBB47_1263:                            ;   in Loop: Header=BB47_17 Depth=1
	s_andn2_saveexec_b64 s[64:65], s[64:65]
	s_cbranch_execz .LBB47_1265
; %bb.1264:                             ;   in Loop: Header=BB47_17 Depth=1
	flat_load_ubyte v0, v[0:1]
	s_movk_i32 vcc_lo, 0x7f00
	s_waitcnt vmcnt(0) lgkmcnt(0)
	v_lshlrev_b16_e32 v1, 8, v0
	v_lshlrev_b32_e32 v0, 25, v0
	v_lshrrev_b32_e32 v54, 4, v0
	v_and_or_b32 v64, v1, vcc_lo, 0.5
	v_or_b32_e32 v54, 0x70000000, v54
	s_brev_b32 vcc_lo, 16
	v_add_f32_e32 v64, -0.5, v64
	v_mul_f32_e32 v54, 0x7800000, v54
	v_cmp_gt_u32_e32 vcc, vcc_lo, v0
	v_cndmask_b32_e32 v0, v54, v64, vcc
	v_bfe_i32 v1, v1, 0, 16
	s_brev_b32 vcc_lo, 1
	v_and_or_b32 v54, v1, vcc_lo, v0
.LBB47_1265:                            ;   in Loop: Header=BB47_17 Depth=1
	s_or_b64 exec, exec, s[64:65]
	s_or_b64 s[64:65], s[56:57], exec
                                        ; implicit-def: $vgpr0_vgpr1
.LBB47_1266:                            ;   in Loop: Header=BB47_17 Depth=1
	s_or_saveexec_b64 s[62:63], s[62:63]
                                        ; implicit-def: $vcc
                                        ; implicit-def: $sgpr70_sgpr71
	s_xor_b64 exec, exec, s[62:63]
	s_cbranch_execz .LBB47_1276
; %bb.1267:                             ;   in Loop: Header=BB47_17 Depth=1
	v_cmp_gt_i16_sdwa vcc, v8, v33 src0_sel:BYTE_0 src1_sel:DWORD
	s_mov_b64 s[68:69], s[64:65]
                                        ; implicit-def: $sgpr70_sgpr71
                                        ; implicit-def: $sgpr66_sgpr67
                                        ; implicit-def: $vgpr54
	s_and_saveexec_b64 s[72:73], vcc
	s_xor_b64 vcc, exec, s[72:73]
	s_cbranch_execz .LBB47_1271
; %bb.1268:                             ;   in Loop: Header=BB47_17 Depth=1
	v_cmp_eq_u16_sdwa s[70:71], v8, v34 src0_sel:BYTE_0 src1_sel:DWORD
	s_mov_b64 s[68:69], s[64:65]
                                        ; implicit-def: $vgpr54
	s_and_saveexec_b64 s[66:67], s[70:71]
	s_cbranch_execz .LBB47_1270
; %bb.1269:                             ;   in Loop: Header=BB47_17 Depth=1
	flat_load_ushort v0, v[0:1]
	s_or_b64 s[68:69], s[64:65], exec
	s_waitcnt vmcnt(0) lgkmcnt(0)
	v_lshlrev_b32_e32 v54, 16, v0
.LBB47_1270:                            ;   in Loop: Header=BB47_17 Depth=1
	s_or_b64 exec, exec, s[66:67]
	s_andn2_b64 s[72:73], s[64:65], exec
	s_and_b64 s[68:69], s[68:69], exec
	s_mov_b64 s[66:67], 0
	s_mov_b64 s[70:71], -1
	s_or_b64 s[68:69], s[72:73], s[68:69]
                                        ; implicit-def: $vgpr0_vgpr1
.LBB47_1271:                            ;   in Loop: Header=BB47_17 Depth=1
	s_andn2_saveexec_b64 s[72:73], vcc
	s_cbranch_execz .LBB47_1275
; %bb.1272:                             ;   in Loop: Header=BB47_17 Depth=1
	v_cmp_eq_u16_sdwa s[76:77], v8, v35 src0_sel:BYTE_0 src1_sel:DWORD
	s_mov_b64 vcc, s[68:69]
                                        ; implicit-def: $vgpr54
	s_and_saveexec_b64 s[74:75], s[76:77]
	s_cbranch_execz .LBB47_1274
; %bb.1273:                             ;   in Loop: Header=BB47_17 Depth=1
	flat_load_ubyte v0, v[0:1]
	s_waitcnt vmcnt(0) lgkmcnt(0)
	v_cmp_ne_u16_e32 vcc, 0, v0
	v_cndmask_b32_e64 v54, 0, 1.0, vcc
	s_or_b64 vcc, s[68:69], exec
.LBB47_1274:                            ;   in Loop: Header=BB47_17 Depth=1
	s_or_b64 exec, exec, s[74:75]
	s_andn2_b64 s[68:69], s[68:69], exec
	s_and_b64 vcc, vcc, exec
	s_or_b64 s[70:71], s[70:71], exec
	s_andn2_b64 s[66:67], s[66:67], exec
	s_or_b64 s[68:69], s[68:69], vcc
.LBB47_1275:                            ;   in Loop: Header=BB47_17 Depth=1
	s_or_b64 exec, exec, s[72:73]
	s_and_b64 vcc, s[66:67], exec
	s_andn2_b64 s[64:65], s[64:65], exec
	s_and_b64 s[66:67], s[68:69], exec
	s_and_b64 s[70:71], s[70:71], exec
	s_or_b64 s[64:65], s[64:65], s[66:67]
.LBB47_1276:                            ;   in Loop: Header=BB47_17 Depth=1
	s_or_b64 exec, exec, s[62:63]
	s_andn2_b64 s[58:59], s[58:59], exec
	s_and_b64 vcc, vcc, exec
	s_andn2_b64 s[60:61], s[60:61], exec
	s_and_b64 s[62:63], s[70:71], exec
	s_or_b64 s[58:59], s[58:59], vcc
	s_andn2_b64 vcc, s[56:57], exec
	s_and_b64 s[56:57], s[64:65], exec
	s_or_b64 s[60:61], s[60:61], s[62:63]
	s_or_b64 s[56:57], vcc, s[56:57]
.LBB47_1277:                            ;   in Loop: Header=BB47_17 Depth=1
	s_or_b64 exec, exec, s[54:55]
	s_and_b64 s[54:55], s[60:61], exec
	s_and_b64 vcc, s[58:59], exec
	s_and_b64 s[56:57], s[56:57], exec
                                        ; implicit-def: $vgpr0_vgpr1
	s_andn2_saveexec_b64 s[52:53], s[52:53]
	s_cbranch_execz .LBB47_1194
.LBB47_1278:                            ;   in Loop: Header=BB47_17 Depth=1
	v_cmp_gt_i16_sdwa s[58:59], v8, v36 src0_sel:BYTE_0 src1_sel:DWORD
                                        ; implicit-def: $vgpr54
	s_and_saveexec_b64 s[60:61], s[58:59]
	s_xor_b64 s[58:59], exec, s[60:61]
	s_cbranch_execz .LBB47_1300
; %bb.1279:                             ;   in Loop: Header=BB47_17 Depth=1
	v_cmp_gt_i16_sdwa s[60:61], v8, v37 src0_sel:BYTE_0 src1_sel:DWORD
                                        ; implicit-def: $vgpr54
	s_and_saveexec_b64 s[62:63], s[60:61]
	s_xor_b64 s[60:61], exec, s[62:63]
	s_cbranch_execz .LBB47_1289
; %bb.1280:                             ;   in Loop: Header=BB47_17 Depth=1
	;; [unrolled: 6-line block ×4, first 2 shown]
	flat_load_dwordx2 v[0:1], v[0:1]
	s_waitcnt vmcnt(0) lgkmcnt(0)
	v_cvt_f32_f64_e32 v54, v[0:1]
                                        ; implicit-def: $vgpr0_vgpr1
.LBB47_1283:                            ;   in Loop: Header=BB47_17 Depth=1
	s_andn2_saveexec_b64 s[64:65], s[64:65]
	s_cbranch_execz .LBB47_1285
; %bb.1284:                             ;   in Loop: Header=BB47_17 Depth=1
	flat_load_dword v54, v[0:1]
.LBB47_1285:                            ;   in Loop: Header=BB47_17 Depth=1
	s_or_b64 exec, exec, s[64:65]
                                        ; implicit-def: $vgpr0_vgpr1
.LBB47_1286:                            ;   in Loop: Header=BB47_17 Depth=1
	s_andn2_saveexec_b64 s[62:63], s[62:63]
	s_cbranch_execz .LBB47_1288
; %bb.1287:                             ;   in Loop: Header=BB47_17 Depth=1
	flat_load_dword v0, v[0:1]
	s_waitcnt vmcnt(0) lgkmcnt(0)
	v_cvt_f32_f16_e32 v54, v0
.LBB47_1288:                            ;   in Loop: Header=BB47_17 Depth=1
	s_or_b64 exec, exec, s[62:63]
                                        ; implicit-def: $vgpr0_vgpr1
.LBB47_1289:                            ;   in Loop: Header=BB47_17 Depth=1
	s_andn2_saveexec_b64 s[60:61], s[60:61]
	s_cbranch_execz .LBB47_1299
; %bb.1290:                             ;   in Loop: Header=BB47_17 Depth=1
	v_cmp_gt_i16_sdwa s[62:63], v8, v48 src0_sel:BYTE_0 src1_sel:DWORD
                                        ; implicit-def: $vgpr54
	s_and_saveexec_b64 s[64:65], s[62:63]
	s_xor_b64 s[62:63], exec, s[64:65]
	s_cbranch_execz .LBB47_1296
; %bb.1291:                             ;   in Loop: Header=BB47_17 Depth=1
	v_cmp_gt_i16_sdwa s[64:65], v8, v49 src0_sel:BYTE_0 src1_sel:DWORD
                                        ; implicit-def: $vgpr54
	s_and_saveexec_b64 s[66:67], s[64:65]
	s_xor_b64 s[64:65], exec, s[66:67]
	s_cbranch_execz .LBB47_1293
; %bb.1292:                             ;   in Loop: Header=BB47_17 Depth=1
	flat_load_dwordx2 v[0:1], v[0:1]
	s_waitcnt vmcnt(0) lgkmcnt(0)
	v_cvt_f32_f64_e32 v54, v[0:1]
                                        ; implicit-def: $vgpr0_vgpr1
.LBB47_1293:                            ;   in Loop: Header=BB47_17 Depth=1
	s_andn2_saveexec_b64 s[64:65], s[64:65]
	s_cbranch_execz .LBB47_1295
; %bb.1294:                             ;   in Loop: Header=BB47_17 Depth=1
	s_waitcnt vmcnt(0) lgkmcnt(0)
	flat_load_dword v54, v[0:1]
.LBB47_1295:                            ;   in Loop: Header=BB47_17 Depth=1
	s_or_b64 exec, exec, s[64:65]
                                        ; implicit-def: $vgpr0_vgpr1
.LBB47_1296:                            ;   in Loop: Header=BB47_17 Depth=1
	s_andn2_saveexec_b64 s[62:63], s[62:63]
	s_cbranch_execz .LBB47_1298
; %bb.1297:                             ;   in Loop: Header=BB47_17 Depth=1
	flat_load_ushort v0, v[0:1]
	s_waitcnt vmcnt(0) lgkmcnt(0)
	v_cvt_f32_f16_e32 v54, v0
.LBB47_1298:                            ;   in Loop: Header=BB47_17 Depth=1
	s_or_b64 exec, exec, s[62:63]
.LBB47_1299:                            ;   in Loop: Header=BB47_17 Depth=1
	s_or_b64 exec, exec, s[60:61]
                                        ; implicit-def: $vgpr0_vgpr1
.LBB47_1300:                            ;   in Loop: Header=BB47_17 Depth=1
	s_andn2_saveexec_b64 s[58:59], s[58:59]
	s_cbranch_execz .LBB47_1318
; %bb.1301:                             ;   in Loop: Header=BB47_17 Depth=1
	v_cmp_gt_i16_sdwa s[60:61], v8, v50 src0_sel:BYTE_0 src1_sel:DWORD
                                        ; implicit-def: $vgpr54
	s_and_saveexec_b64 s[62:63], s[60:61]
	s_xor_b64 s[60:61], exec, s[62:63]
	s_cbranch_execz .LBB47_1311
; %bb.1302:                             ;   in Loop: Header=BB47_17 Depth=1
	v_cmp_gt_i16_sdwa s[62:63], v8, v51 src0_sel:BYTE_0 src1_sel:DWORD
                                        ; implicit-def: $vgpr54
	s_and_saveexec_b64 s[64:65], s[62:63]
	s_xor_b64 s[62:63], exec, s[64:65]
	;; [unrolled: 6-line block ×3, first 2 shown]
	s_cbranch_execz .LBB47_1305
; %bb.1304:                             ;   in Loop: Header=BB47_17 Depth=1
	flat_load_dwordx2 v[0:1], v[0:1]
	s_waitcnt vmcnt(0) lgkmcnt(0)
	v_xor_b32_e32 v64, v0, v1
	v_ffbh_i32_e32 v54, v1
	v_ashrrev_i32_e32 v64, 31, v64
	v_add_u32_e32 v54, -1, v54
	v_add_u32_e32 v64, 32, v64
	v_min_u32_e32 v54, v54, v64
	v_lshlrev_b64 v[0:1], v54, v[0:1]
	v_min_u32_e32 v0, 1, v0
	v_or_b32_e32 v0, v1, v0
	v_cvt_f32_i32_e32 v0, v0
	v_sub_u32_e32 v1, 32, v54
	v_ldexp_f32 v54, v0, v1
                                        ; implicit-def: $vgpr0_vgpr1
.LBB47_1305:                            ;   in Loop: Header=BB47_17 Depth=1
	s_andn2_saveexec_b64 s[64:65], s[64:65]
	s_cbranch_execz .LBB47_1307
; %bb.1306:                             ;   in Loop: Header=BB47_17 Depth=1
	flat_load_dword v0, v[0:1]
	s_waitcnt vmcnt(0) lgkmcnt(0)
	v_cvt_f32_i32_e32 v54, v0
.LBB47_1307:                            ;   in Loop: Header=BB47_17 Depth=1
	s_or_b64 exec, exec, s[64:65]
                                        ; implicit-def: $vgpr0_vgpr1
.LBB47_1308:                            ;   in Loop: Header=BB47_17 Depth=1
	s_andn2_saveexec_b64 s[62:63], s[62:63]
	s_cbranch_execz .LBB47_1310
; %bb.1309:                             ;   in Loop: Header=BB47_17 Depth=1
	flat_load_sshort v0, v[0:1]
	s_waitcnt vmcnt(0) lgkmcnt(0)
	v_cvt_f32_i32_e32 v54, v0
.LBB47_1310:                            ;   in Loop: Header=BB47_17 Depth=1
	s_or_b64 exec, exec, s[62:63]
                                        ; implicit-def: $vgpr0_vgpr1
.LBB47_1311:                            ;   in Loop: Header=BB47_17 Depth=1
	s_andn2_saveexec_b64 s[60:61], s[60:61]
	s_cbranch_execz .LBB47_1317
; %bb.1312:                             ;   in Loop: Header=BB47_17 Depth=1
	v_cmp_gt_i16_sdwa s[62:63], v8, v14 src0_sel:BYTE_0 src1_sel:DWORD
                                        ; implicit-def: $vgpr54
	s_and_saveexec_b64 s[64:65], s[62:63]
	s_xor_b64 s[62:63], exec, s[64:65]
	s_cbranch_execz .LBB47_1314
; %bb.1313:                             ;   in Loop: Header=BB47_17 Depth=1
	flat_load_sbyte v0, v[0:1]
	s_waitcnt vmcnt(0) lgkmcnt(0)
	v_cvt_f32_i32_e32 v54, v0
                                        ; implicit-def: $vgpr0_vgpr1
.LBB47_1314:                            ;   in Loop: Header=BB47_17 Depth=1
	s_andn2_saveexec_b64 s[62:63], s[62:63]
	s_cbranch_execz .LBB47_1316
; %bb.1315:                             ;   in Loop: Header=BB47_17 Depth=1
	flat_load_ubyte v0, v[0:1]
	s_waitcnt vmcnt(0) lgkmcnt(0)
	v_cvt_f32_ubyte0_e32 v54, v0
.LBB47_1316:                            ;   in Loop: Header=BB47_17 Depth=1
	s_or_b64 exec, exec, s[62:63]
.LBB47_1317:                            ;   in Loop: Header=BB47_17 Depth=1
	s_or_b64 exec, exec, s[60:61]
.LBB47_1318:                            ;   in Loop: Header=BB47_17 Depth=1
	s_or_b64 exec, exec, s[58:59]
	s_andn2_b64 s[54:55], s[54:55], exec
	s_andn2_b64 vcc, vcc, exec
	s_or_b64 s[56:57], s[56:57], exec
	s_or_b64 exec, exec, s[52:53]
	s_mov_b64 s[52:53], 0
	s_and_saveexec_b64 s[58:59], s[56:57]
	s_cbranch_execnz .LBB47_1195
	s_branch .LBB47_1196
.LBB47_1319:                            ;   in Loop: Header=BB47_17 Depth=1
	v_cmp_gt_i16_sdwa vcc, v7, v17 src0_sel:BYTE_0 src1_sel:DWORD
	s_mov_b64 s[58:59], 0
                                        ; implicit-def: $sgpr60_sgpr61
                                        ; implicit-def: $sgpr50_sgpr51
                                        ; implicit-def: $vgpr64
	s_and_saveexec_b64 s[48:49], vcc
	s_xor_b64 s[48:49], exec, s[48:49]
	s_cbranch_execz .LBB47_1351
; %bb.1320:                             ;   in Loop: Header=BB47_17 Depth=1
	v_cmp_gt_i16_sdwa vcc, v7, v18 src0_sel:BYTE_0 src1_sel:DWORD
                                        ; implicit-def: $sgpr60_sgpr61
                                        ; implicit-def: $sgpr62_sgpr63
                                        ; implicit-def: $vgpr64
	s_and_saveexec_b64 s[50:51], vcc
	s_xor_b64 s[50:51], exec, s[50:51]
	s_cbranch_execz .LBB47_1336
; %bb.1321:                             ;   in Loop: Header=BB47_17 Depth=1
	v_cmp_gt_i16_sdwa s[58:59], v7, v19 src0_sel:BYTE_0 src1_sel:DWORD
	s_mov_b64 s[64:65], 0
                                        ; implicit-def: $vcc
                                        ; implicit-def: $sgpr60_sgpr61
                                        ; implicit-def: $vgpr64
	s_and_saveexec_b64 s[62:63], s[58:59]
	s_xor_b64 s[58:59], exec, s[62:63]
	s_cbranch_execz .LBB47_1331
; %bb.1322:                             ;   in Loop: Header=BB47_17 Depth=1
	v_cmp_gt_i16_sdwa vcc, v7, v20 src0_sel:BYTE_0 src1_sel:DWORD
	s_mov_b64 s[62:63], 0
                                        ; implicit-def: $sgpr60_sgpr61
                                        ; implicit-def: $sgpr64_sgpr65
                                        ; implicit-def: $vgpr64
	s_and_saveexec_b64 s[66:67], vcc
	s_xor_b64 vcc, exec, s[66:67]
	s_cbranch_execz .LBB47_1326
; %bb.1323:                             ;   in Loop: Header=BB47_17 Depth=1
	v_cmp_eq_u16_sdwa s[66:67], v7, v21 src0_sel:BYTE_0 src1_sel:DWORD
	s_mov_b64 s[60:61], 0
                                        ; implicit-def: $vgpr64
	s_and_saveexec_b64 s[64:65], s[66:67]
	s_cbranch_execz .LBB47_1325
; %bb.1324:                             ;   in Loop: Header=BB47_17 Depth=1
	flat_load_dword v0, v[0:1]
	s_mov_b64 s[62:63], exec
	s_waitcnt vmcnt(0) lgkmcnt(0)
	v_lshlrev_b32_e32 v64, 16, v0
.LBB47_1325:                            ;   in Loop: Header=BB47_17 Depth=1
	s_or_b64 exec, exec, s[64:65]
	s_mov_b64 s[64:65], -1
	s_and_b64 s[62:63], s[62:63], exec
                                        ; implicit-def: $vgpr0_vgpr1
.LBB47_1326:                            ;   in Loop: Header=BB47_17 Depth=1
	s_andn2_saveexec_b64 s[66:67], vcc
	s_cbranch_execz .LBB47_1330
; %bb.1327:                             ;   in Loop: Header=BB47_17 Depth=1
	v_cmp_eq_u16_sdwa s[70:71], v7, v22 src0_sel:BYTE_0 src1_sel:DWORD
	s_mov_b64 vcc, s[62:63]
                                        ; implicit-def: $vgpr64
	s_and_saveexec_b64 s[68:69], s[70:71]
	s_cbranch_execz .LBB47_1329
; %bb.1328:                             ;   in Loop: Header=BB47_17 Depth=1
	flat_load_ubyte v0, v[0:1]
	s_movk_i32 vcc_lo, 0xff
	s_waitcnt vmcnt(0) lgkmcnt(0)
	v_lshlrev_b32_e32 v1, 23, v0
	v_cmp_ne_u32_e32 vcc, vcc_lo, v0
	v_cndmask_b32_e32 v1, v23, v1, vcc
	v_cmp_ne_u32_e32 vcc, 0, v0
	v_cndmask_b32_e32 v64, v24, v1, vcc
	s_or_b64 vcc, s[62:63], exec
.LBB47_1329:                            ;   in Loop: Header=BB47_17 Depth=1
	s_or_b64 exec, exec, s[68:69]
	s_andn2_b64 s[62:63], s[62:63], exec
	s_and_b64 vcc, vcc, exec
	s_andn2_b64 s[60:61], s[60:61], exec
	s_or_b64 s[64:65], s[64:65], exec
	s_or_b64 s[62:63], s[62:63], vcc
.LBB47_1330:                            ;   in Loop: Header=BB47_17 Depth=1
	s_or_b64 exec, exec, s[66:67]
	s_and_b64 s[60:61], s[60:61], exec
	s_and_b64 vcc, s[64:65], exec
	s_and_b64 s[64:65], s[62:63], exec
                                        ; implicit-def: $vgpr0_vgpr1
.LBB47_1331:                            ;   in Loop: Header=BB47_17 Depth=1
	s_andn2_saveexec_b64 s[58:59], s[58:59]
	s_cbranch_execz .LBB47_1335
; %bb.1332:                             ;   in Loop: Header=BB47_17 Depth=1
	v_cmp_eq_u16_sdwa s[68:69], v7, v25 src0_sel:BYTE_0 src1_sel:DWORD
	s_mov_b64 s[66:67], s[64:65]
                                        ; implicit-def: $vgpr64
	s_and_saveexec_b64 s[62:63], s[68:69]
	s_cbranch_execz .LBB47_1334
; %bb.1333:                             ;   in Loop: Header=BB47_17 Depth=1
	flat_load_dwordx2 v[0:1], v[0:1]
	s_or_b64 s[66:67], s[64:65], exec
	s_waitcnt vmcnt(0) lgkmcnt(0)
	v_ffbh_u32_e32 v55, v1
	v_min_u32_e32 v55, 32, v55
	s_waitcnt vmcnt(0) expcnt(0) lgkmcnt(0)
	v_swap_b32 v2, v55
	v_lshlrev_b64 v[0:1], v2, v[0:1]
	v_swap_b32 v55, v2
	v_min_u32_e32 v0, 1, v0
	v_or_b32_e32 v0, v1, v0
	v_cvt_f32_u32_e32 v0, v0
	v_sub_u32_e32 v1, 32, v55
	v_ldexp_f32 v64, v0, v1
.LBB47_1334:                            ;   in Loop: Header=BB47_17 Depth=1
	s_or_b64 exec, exec, s[62:63]
	s_andn2_b64 s[62:63], s[64:65], exec
	s_and_b64 s[64:65], s[66:67], exec
	s_andn2_b64 s[60:61], s[60:61], exec
	s_or_b64 vcc, vcc, exec
	s_or_b64 s[64:65], s[62:63], s[64:65]
.LBB47_1335:                            ;   in Loop: Header=BB47_17 Depth=1
	s_or_b64 exec, exec, s[58:59]
	s_and_b64 s[62:63], s[60:61], exec
	s_and_b64 s[60:61], vcc, exec
	s_and_b64 s[58:59], s[64:65], exec
                                        ; implicit-def: $vgpr0_vgpr1
.LBB47_1336:                            ;   in Loop: Header=BB47_17 Depth=1
	s_andn2_saveexec_b64 s[50:51], s[50:51]
	s_cbranch_execz .LBB47_1350
; %bb.1337:                             ;   in Loop: Header=BB47_17 Depth=1
	v_cmp_gt_i16_sdwa vcc, v7, v26 src0_sel:BYTE_0 src1_sel:DWORD
                                        ; implicit-def: $vgpr64
	s_and_saveexec_b64 s[64:65], vcc
	s_xor_b64 vcc, exec, s[64:65]
	s_cbranch_execz .LBB47_1343
; %bb.1338:                             ;   in Loop: Header=BB47_17 Depth=1
	v_cmp_gt_i16_sdwa s[64:65], v7, v27 src0_sel:BYTE_0 src1_sel:DWORD
                                        ; implicit-def: $vgpr64
	s_and_saveexec_b64 s[66:67], s[64:65]
	s_xor_b64 s[64:65], exec, s[66:67]
	s_cbranch_execz .LBB47_1340
; %bb.1339:                             ;   in Loop: Header=BB47_17 Depth=1
	flat_load_dword v0, v[0:1]
	s_waitcnt vmcnt(0) lgkmcnt(0)
	v_cvt_f32_u32_e32 v64, v0
                                        ; implicit-def: $vgpr0_vgpr1
.LBB47_1340:                            ;   in Loop: Header=BB47_17 Depth=1
	s_andn2_saveexec_b64 s[64:65], s[64:65]
	s_cbranch_execz .LBB47_1342
; %bb.1341:                             ;   in Loop: Header=BB47_17 Depth=1
	flat_load_ushort v0, v[0:1]
	s_waitcnt vmcnt(0) lgkmcnt(0)
	v_cvt_f32_u32_e32 v64, v0
.LBB47_1342:                            ;   in Loop: Header=BB47_17 Depth=1
	s_or_b64 exec, exec, s[64:65]
                                        ; implicit-def: $vgpr0_vgpr1
.LBB47_1343:                            ;   in Loop: Header=BB47_17 Depth=1
	s_andn2_saveexec_b64 s[64:65], vcc
	s_cbranch_execz .LBB47_1349
; %bb.1344:                             ;   in Loop: Header=BB47_17 Depth=1
	flat_load_ubyte v0, v[0:1]
	s_movk_i32 vcc_lo, 0x7f
	s_mov_b64 s[66:67], 0
                                        ; implicit-def: $sgpr72
	s_waitcnt vmcnt(0) lgkmcnt(0)
	v_cmp_lt_i16_e32 vcc, vcc_lo, v0
	s_and_saveexec_b64 s[68:69], vcc
	s_xor_b64 s[68:69], exec, s[68:69]
	s_cbranch_execnz .LBB47_2123
; %bb.1345:                             ;   in Loop: Header=BB47_17 Depth=1
	s_or_saveexec_b64 s[68:69], s[68:69]
	v_mov_b32_e32 v64, s72
	s_xor_b64 exec, exec, s[68:69]
	s_cbranch_execnz .LBB47_2126
.LBB47_1346:                            ;   in Loop: Header=BB47_17 Depth=1
	s_or_b64 exec, exec, s[68:69]
	s_and_saveexec_b64 s[68:69], s[66:67]
	s_cbranch_execz .LBB47_1348
.LBB47_1347:                            ;   in Loop: Header=BB47_17 Depth=1
	v_lshlrev_b32_e32 v1, 24, v0
	v_and_b32_e32 v0, 0xffff, v0
	v_and_b32_e32 v55, 7, v0
	v_ffbh_u32_e32 v65, v55
	v_min_u32_e32 v65, 32, v65
	v_subrev_u32_e32 v66, 28, v65
	v_bfe_u32 v64, v0, 3, 4
	v_lshlrev_b32_e32 v0, v66, v0
	v_sub_u32_e32 v65, 29, v65
	v_and_b32_e32 v0, 7, v0
	v_cmp_eq_u32_e32 vcc, 0, v64
	v_cndmask_b32_e32 v64, v64, v65, vcc
	v_cndmask_b32_e32 v0, v55, v0, vcc
	v_lshlrev_b32_e32 v0, 20, v0
	v_and_b32_e32 v1, 0x80000000, v1
	v_lshl_add_u32 v55, v64, 23, v28
	v_or3_b32 v64, v1, v55, v0
.LBB47_1348:                            ;   in Loop: Header=BB47_17 Depth=1
	s_or_b64 exec, exec, s[68:69]
.LBB47_1349:                            ;   in Loop: Header=BB47_17 Depth=1
	s_or_b64 exec, exec, s[64:65]
	s_andn2_b64 s[62:63], s[62:63], exec
	s_andn2_b64 s[60:61], s[60:61], exec
	s_or_b64 s[58:59], s[58:59], exec
.LBB47_1350:                            ;   in Loop: Header=BB47_17 Depth=1
	s_or_b64 exec, exec, s[50:51]
	s_and_b64 s[50:51], s[62:63], exec
	s_and_b64 s[60:61], s[60:61], exec
	;; [unrolled: 1-line block ×3, first 2 shown]
                                        ; implicit-def: $vgpr0_vgpr1
.LBB47_1351:                            ;   in Loop: Header=BB47_17 Depth=1
	s_andn2_saveexec_b64 s[48:49], s[48:49]
	s_cbranch_execz .LBB47_1377
; %bb.1352:                             ;   in Loop: Header=BB47_17 Depth=1
	v_cmp_gt_i16_sdwa vcc, v7, v29 src0_sel:BYTE_0 src1_sel:DWORD
	s_mov_b64 s[64:65], s[58:59]
                                        ; implicit-def: $vgpr64
	s_and_saveexec_b64 s[62:63], vcc
	s_xor_b64 s[62:63], exec, s[62:63]
	s_cbranch_execz .LBB47_1366
; %bb.1353:                             ;   in Loop: Header=BB47_17 Depth=1
	v_cmp_gt_i16_sdwa vcc, v7, v30 src0_sel:BYTE_0 src1_sel:DWORD
                                        ; implicit-def: $vgpr64
	s_and_saveexec_b64 s[64:65], vcc
	s_xor_b64 s[64:65], exec, s[64:65]
	s_cbranch_execz .LBB47_1363
; %bb.1354:                             ;   in Loop: Header=BB47_17 Depth=1
	v_cmp_gt_i16_sdwa vcc, v7, v31 src0_sel:BYTE_0 src1_sel:DWORD
                                        ; implicit-def: $vgpr64
	s_and_saveexec_b64 s[66:67], vcc
	s_xor_b64 s[66:67], exec, s[66:67]
	s_cbranch_execz .LBB47_1360
; %bb.1355:                             ;   in Loop: Header=BB47_17 Depth=1
	flat_load_ubyte v0, v[0:1]
	s_movk_i32 vcc_lo, 0x7f
	s_mov_b64 s[68:69], 0
                                        ; implicit-def: $sgpr74
	s_waitcnt vmcnt(0) lgkmcnt(0)
	v_cmp_lt_i16_e32 vcc, vcc_lo, v0
	s_and_saveexec_b64 s[70:71], vcc
	s_xor_b64 s[70:71], exec, s[70:71]
	s_cbranch_execnz .LBB47_2342
; %bb.1356:                             ;   in Loop: Header=BB47_17 Depth=1
	s_or_saveexec_b64 s[70:71], s[70:71]
	v_mov_b32_e32 v64, s74
	s_xor_b64 exec, exec, s[70:71]
	s_cbranch_execnz .LBB47_2345
.LBB47_1357:                            ;   in Loop: Header=BB47_17 Depth=1
	s_or_b64 exec, exec, s[70:71]
	s_and_saveexec_b64 s[70:71], s[68:69]
	s_cbranch_execz .LBB47_1359
.LBB47_1358:                            ;   in Loop: Header=BB47_17 Depth=1
	v_lshlrev_b32_e32 v1, 24, v0
	v_and_b32_e32 v0, 0xffff, v0
	v_and_b32_e32 v55, 3, v0
	v_ffbh_u32_e32 v65, v55
	v_min_u32_e32 v65, 32, v65
	v_subrev_u32_e32 v66, 29, v65
	v_bfe_u32 v64, v0, 2, 5
	v_lshlrev_b32_e32 v0, v66, v0
	v_sub_u32_e32 v65, 30, v65
	v_and_b32_e32 v0, 3, v0
	v_cmp_eq_u32_e32 vcc, 0, v64
	v_cndmask_b32_e32 v64, v64, v65, vcc
	v_cndmask_b32_e32 v0, v55, v0, vcc
	v_lshlrev_b32_e32 v0, 21, v0
	v_and_b32_e32 v1, 0x80000000, v1
	v_lshl_add_u32 v55, v64, 23, v32
	v_or3_b32 v64, v1, v55, v0
.LBB47_1359:                            ;   in Loop: Header=BB47_17 Depth=1
	s_or_b64 exec, exec, s[70:71]
                                        ; implicit-def: $vgpr0_vgpr1
.LBB47_1360:                            ;   in Loop: Header=BB47_17 Depth=1
	s_andn2_saveexec_b64 s[66:67], s[66:67]
	s_cbranch_execz .LBB47_1362
; %bb.1361:                             ;   in Loop: Header=BB47_17 Depth=1
	flat_load_ubyte v0, v[0:1]
	s_mov_b32 vcc_lo, 0x7f800000
	s_waitcnt vmcnt(0) lgkmcnt(0)
	v_lshlrev_b32_e32 v0, 24, v0
	v_and_b32_e32 v1, 0x7f000000, v0
	v_ffbh_u32_e32 v55, v1
	v_min_u32_e32 v55, 32, v55
	v_sub_u32_e64 v55, v55, 4 clamp
	v_lshlrev_b32_e32 v65, v55, v1
	v_lshlrev_b32_e32 v55, 23, v55
	v_lshrrev_b32_e32 v65, 4, v65
	v_add_u32_e32 v64, 0x1000000, v1
	v_sub_u32_e32 v55, v65, v55
	v_ashrrev_i32_e32 v64, 8, v64
	v_add_u32_e32 v55, 0x3c000000, v55
	v_and_or_b32 v55, v64, vcc_lo, v55
	v_cmp_ne_u32_e32 vcc, 0, v1
	v_cndmask_b32_e32 v1, 0, v55, vcc
	s_brev_b32 vcc_lo, 1
	v_and_or_b32 v64, v0, vcc_lo, v1
.LBB47_1362:                            ;   in Loop: Header=BB47_17 Depth=1
	s_or_b64 exec, exec, s[66:67]
                                        ; implicit-def: $vgpr0_vgpr1
.LBB47_1363:                            ;   in Loop: Header=BB47_17 Depth=1
	s_andn2_saveexec_b64 s[64:65], s[64:65]
	s_cbranch_execz .LBB47_1365
; %bb.1364:                             ;   in Loop: Header=BB47_17 Depth=1
	flat_load_ubyte v0, v[0:1]
	s_movk_i32 vcc_lo, 0x7f00
	s_waitcnt vmcnt(0) lgkmcnt(0)
	v_lshlrev_b16_e32 v1, 8, v0
	v_lshlrev_b32_e32 v0, 25, v0
	v_lshrrev_b32_e32 v55, 4, v0
	v_and_or_b32 v64, v1, vcc_lo, 0.5
	v_or_b32_e32 v55, 0x70000000, v55
	s_brev_b32 vcc_lo, 16
	v_add_f32_e32 v64, -0.5, v64
	v_mul_f32_e32 v55, 0x7800000, v55
	v_cmp_gt_u32_e32 vcc, vcc_lo, v0
	v_cndmask_b32_e32 v0, v55, v64, vcc
	v_bfe_i32 v1, v1, 0, 16
	s_brev_b32 vcc_lo, 1
	v_and_or_b32 v64, v1, vcc_lo, v0
.LBB47_1365:                            ;   in Loop: Header=BB47_17 Depth=1
	s_or_b64 exec, exec, s[64:65]
	s_or_b64 s[64:65], s[58:59], exec
                                        ; implicit-def: $vgpr0_vgpr1
.LBB47_1366:                            ;   in Loop: Header=BB47_17 Depth=1
	s_or_saveexec_b64 s[62:63], s[62:63]
                                        ; implicit-def: $vcc
                                        ; implicit-def: $sgpr70_sgpr71
	s_xor_b64 exec, exec, s[62:63]
	s_cbranch_execz .LBB47_1376
; %bb.1367:                             ;   in Loop: Header=BB47_17 Depth=1
	v_cmp_gt_i16_sdwa vcc, v7, v33 src0_sel:BYTE_0 src1_sel:DWORD
	s_mov_b64 s[68:69], s[64:65]
                                        ; implicit-def: $sgpr70_sgpr71
                                        ; implicit-def: $sgpr66_sgpr67
                                        ; implicit-def: $vgpr64
	s_and_saveexec_b64 s[72:73], vcc
	s_xor_b64 vcc, exec, s[72:73]
	s_cbranch_execz .LBB47_1371
; %bb.1368:                             ;   in Loop: Header=BB47_17 Depth=1
	v_cmp_eq_u16_sdwa s[70:71], v7, v34 src0_sel:BYTE_0 src1_sel:DWORD
	s_mov_b64 s[68:69], s[64:65]
                                        ; implicit-def: $vgpr64
	s_and_saveexec_b64 s[66:67], s[70:71]
	s_cbranch_execz .LBB47_1370
; %bb.1369:                             ;   in Loop: Header=BB47_17 Depth=1
	flat_load_ushort v0, v[0:1]
	s_or_b64 s[68:69], s[64:65], exec
	s_waitcnt vmcnt(0) lgkmcnt(0)
	v_lshlrev_b32_e32 v64, 16, v0
.LBB47_1370:                            ;   in Loop: Header=BB47_17 Depth=1
	s_or_b64 exec, exec, s[66:67]
	s_andn2_b64 s[72:73], s[64:65], exec
	s_and_b64 s[68:69], s[68:69], exec
	s_mov_b64 s[66:67], -1
	s_mov_b64 s[70:71], 0
	s_or_b64 s[68:69], s[72:73], s[68:69]
                                        ; implicit-def: $vgpr0_vgpr1
.LBB47_1371:                            ;   in Loop: Header=BB47_17 Depth=1
	s_andn2_saveexec_b64 s[72:73], vcc
	s_cbranch_execz .LBB47_1375
; %bb.1372:                             ;   in Loop: Header=BB47_17 Depth=1
	v_cmp_eq_u16_sdwa s[76:77], v7, v35 src0_sel:BYTE_0 src1_sel:DWORD
	s_mov_b64 vcc, s[68:69]
                                        ; implicit-def: $vgpr64
	s_and_saveexec_b64 s[74:75], s[76:77]
	s_cbranch_execz .LBB47_1374
; %bb.1373:                             ;   in Loop: Header=BB47_17 Depth=1
	flat_load_ubyte v0, v[0:1]
	s_waitcnt vmcnt(0) lgkmcnt(0)
	v_cmp_ne_u16_e32 vcc, 0, v0
	v_cndmask_b32_e64 v64, 0, 1.0, vcc
	s_or_b64 vcc, s[68:69], exec
.LBB47_1374:                            ;   in Loop: Header=BB47_17 Depth=1
	s_or_b64 exec, exec, s[74:75]
	s_andn2_b64 s[68:69], s[68:69], exec
	s_and_b64 vcc, vcc, exec
	s_andn2_b64 s[70:71], s[70:71], exec
	s_or_b64 s[66:67], s[66:67], exec
	s_or_b64 s[68:69], s[68:69], vcc
.LBB47_1375:                            ;   in Loop: Header=BB47_17 Depth=1
	s_or_b64 exec, exec, s[72:73]
	s_and_b64 vcc, s[66:67], exec
	s_andn2_b64 s[64:65], s[64:65], exec
	s_and_b64 s[66:67], s[68:69], exec
	s_and_b64 s[70:71], s[70:71], exec
	s_or_b64 s[64:65], s[64:65], s[66:67]
.LBB47_1376:                            ;   in Loop: Header=BB47_17 Depth=1
	s_or_b64 exec, exec, s[62:63]
	s_andn2_b64 s[60:61], s[60:61], exec
	s_and_b64 vcc, vcc, exec
	s_andn2_b64 s[50:51], s[50:51], exec
	s_and_b64 s[62:63], s[70:71], exec
	s_or_b64 s[60:61], s[60:61], vcc
	s_andn2_b64 vcc, s[58:59], exec
	s_and_b64 s[58:59], s[64:65], exec
	s_or_b64 s[50:51], s[50:51], s[62:63]
	s_or_b64 s[58:59], vcc, s[58:59]
.LBB47_1377:                            ;   in Loop: Header=BB47_17 Depth=1
	s_or_b64 exec, exec, s[48:49]
	s_and_b64 s[50:51], s[50:51], exec
	s_and_b64 s[48:49], s[60:61], exec
	s_and_b64 vcc, s[58:59], exec
                                        ; implicit-def: $vgpr0_vgpr1
	s_andn2_saveexec_b64 s[56:57], s[56:57]
	s_cbranch_execz .LBB47_1202
.LBB47_1378:                            ;   in Loop: Header=BB47_17 Depth=1
	v_cmp_gt_i16_sdwa s[58:59], v7, v36 src0_sel:BYTE_0 src1_sel:DWORD
                                        ; implicit-def: $vgpr64
	s_and_saveexec_b64 s[60:61], s[58:59]
	s_xor_b64 s[58:59], exec, s[60:61]
	s_cbranch_execz .LBB47_1400
; %bb.1379:                             ;   in Loop: Header=BB47_17 Depth=1
	v_cmp_gt_i16_sdwa s[60:61], v7, v37 src0_sel:BYTE_0 src1_sel:DWORD
                                        ; implicit-def: $vgpr64
	s_and_saveexec_b64 s[62:63], s[60:61]
	s_xor_b64 s[60:61], exec, s[62:63]
	s_cbranch_execz .LBB47_1389
; %bb.1380:                             ;   in Loop: Header=BB47_17 Depth=1
	;; [unrolled: 6-line block ×4, first 2 shown]
	flat_load_dwordx2 v[0:1], v[0:1]
	s_waitcnt vmcnt(0) lgkmcnt(0)
	v_cvt_f32_f64_e32 v64, v[0:1]
                                        ; implicit-def: $vgpr0_vgpr1
.LBB47_1383:                            ;   in Loop: Header=BB47_17 Depth=1
	s_andn2_saveexec_b64 s[64:65], s[64:65]
	s_cbranch_execz .LBB47_1385
; %bb.1384:                             ;   in Loop: Header=BB47_17 Depth=1
	flat_load_dword v64, v[0:1]
.LBB47_1385:                            ;   in Loop: Header=BB47_17 Depth=1
	s_or_b64 exec, exec, s[64:65]
                                        ; implicit-def: $vgpr0_vgpr1
.LBB47_1386:                            ;   in Loop: Header=BB47_17 Depth=1
	s_andn2_saveexec_b64 s[62:63], s[62:63]
	s_cbranch_execz .LBB47_1388
; %bb.1387:                             ;   in Loop: Header=BB47_17 Depth=1
	flat_load_dword v0, v[0:1]
	s_waitcnt vmcnt(0) lgkmcnt(0)
	v_cvt_f32_f16_e32 v64, v0
.LBB47_1388:                            ;   in Loop: Header=BB47_17 Depth=1
	s_or_b64 exec, exec, s[62:63]
                                        ; implicit-def: $vgpr0_vgpr1
.LBB47_1389:                            ;   in Loop: Header=BB47_17 Depth=1
	s_andn2_saveexec_b64 s[60:61], s[60:61]
	s_cbranch_execz .LBB47_1399
; %bb.1390:                             ;   in Loop: Header=BB47_17 Depth=1
	v_cmp_gt_i16_sdwa s[62:63], v7, v48 src0_sel:BYTE_0 src1_sel:DWORD
                                        ; implicit-def: $vgpr64
	s_and_saveexec_b64 s[64:65], s[62:63]
	s_xor_b64 s[62:63], exec, s[64:65]
	s_cbranch_execz .LBB47_1396
; %bb.1391:                             ;   in Loop: Header=BB47_17 Depth=1
	v_cmp_gt_i16_sdwa s[64:65], v7, v49 src0_sel:BYTE_0 src1_sel:DWORD
                                        ; implicit-def: $vgpr64
	s_and_saveexec_b64 s[66:67], s[64:65]
	s_xor_b64 s[64:65], exec, s[66:67]
	s_cbranch_execz .LBB47_1393
; %bb.1392:                             ;   in Loop: Header=BB47_17 Depth=1
	flat_load_dwordx2 v[0:1], v[0:1]
	s_waitcnt vmcnt(0) lgkmcnt(0)
	v_cvt_f32_f64_e32 v64, v[0:1]
                                        ; implicit-def: $vgpr0_vgpr1
.LBB47_1393:                            ;   in Loop: Header=BB47_17 Depth=1
	s_andn2_saveexec_b64 s[64:65], s[64:65]
	s_cbranch_execz .LBB47_1395
; %bb.1394:                             ;   in Loop: Header=BB47_17 Depth=1
	s_waitcnt vmcnt(0) lgkmcnt(0)
	flat_load_dword v64, v[0:1]
.LBB47_1395:                            ;   in Loop: Header=BB47_17 Depth=1
	s_or_b64 exec, exec, s[64:65]
                                        ; implicit-def: $vgpr0_vgpr1
.LBB47_1396:                            ;   in Loop: Header=BB47_17 Depth=1
	s_andn2_saveexec_b64 s[62:63], s[62:63]
	s_cbranch_execz .LBB47_1398
; %bb.1397:                             ;   in Loop: Header=BB47_17 Depth=1
	flat_load_ushort v0, v[0:1]
	s_waitcnt vmcnt(0) lgkmcnt(0)
	v_cvt_f32_f16_e32 v64, v0
.LBB47_1398:                            ;   in Loop: Header=BB47_17 Depth=1
	s_or_b64 exec, exec, s[62:63]
.LBB47_1399:                            ;   in Loop: Header=BB47_17 Depth=1
	s_or_b64 exec, exec, s[60:61]
                                        ; implicit-def: $vgpr0_vgpr1
.LBB47_1400:                            ;   in Loop: Header=BB47_17 Depth=1
	s_andn2_saveexec_b64 s[58:59], s[58:59]
	s_cbranch_execz .LBB47_1418
; %bb.1401:                             ;   in Loop: Header=BB47_17 Depth=1
	v_cmp_gt_i16_sdwa s[60:61], v7, v50 src0_sel:BYTE_0 src1_sel:DWORD
                                        ; implicit-def: $vgpr64
	s_and_saveexec_b64 s[62:63], s[60:61]
	s_xor_b64 s[60:61], exec, s[62:63]
	s_cbranch_execz .LBB47_1411
; %bb.1402:                             ;   in Loop: Header=BB47_17 Depth=1
	v_cmp_gt_i16_sdwa s[62:63], v7, v51 src0_sel:BYTE_0 src1_sel:DWORD
                                        ; implicit-def: $vgpr64
	s_and_saveexec_b64 s[64:65], s[62:63]
	s_xor_b64 s[62:63], exec, s[64:65]
	;; [unrolled: 6-line block ×3, first 2 shown]
	s_cbranch_execz .LBB47_1405
; %bb.1404:                             ;   in Loop: Header=BB47_17 Depth=1
	flat_load_dwordx2 v[0:1], v[0:1]
	s_waitcnt vmcnt(0) lgkmcnt(0)
	v_xor_b32_e32 v64, v0, v1
	v_ffbh_i32_e32 v55, v1
	v_ashrrev_i32_e32 v64, 31, v64
	v_add_u32_e32 v55, -1, v55
	v_add_u32_e32 v64, 32, v64
	v_min_u32_e32 v55, v55, v64
	s_waitcnt vmcnt(0) expcnt(0) lgkmcnt(0)
	v_swap_b32 v2, v55
	v_lshlrev_b64 v[0:1], v2, v[0:1]
	v_swap_b32 v55, v2
	v_min_u32_e32 v0, 1, v0
	v_or_b32_e32 v0, v1, v0
	v_cvt_f32_i32_e32 v0, v0
	v_sub_u32_e32 v1, 32, v55
	v_ldexp_f32 v64, v0, v1
                                        ; implicit-def: $vgpr0_vgpr1
.LBB47_1405:                            ;   in Loop: Header=BB47_17 Depth=1
	s_andn2_saveexec_b64 s[64:65], s[64:65]
	s_cbranch_execz .LBB47_1407
; %bb.1406:                             ;   in Loop: Header=BB47_17 Depth=1
	flat_load_dword v0, v[0:1]
	s_waitcnt vmcnt(0) lgkmcnt(0)
	v_cvt_f32_i32_e32 v64, v0
.LBB47_1407:                            ;   in Loop: Header=BB47_17 Depth=1
	s_or_b64 exec, exec, s[64:65]
                                        ; implicit-def: $vgpr0_vgpr1
.LBB47_1408:                            ;   in Loop: Header=BB47_17 Depth=1
	s_andn2_saveexec_b64 s[62:63], s[62:63]
	s_cbranch_execz .LBB47_1410
; %bb.1409:                             ;   in Loop: Header=BB47_17 Depth=1
	flat_load_sshort v0, v[0:1]
	s_waitcnt vmcnt(0) lgkmcnt(0)
	v_cvt_f32_i32_e32 v64, v0
.LBB47_1410:                            ;   in Loop: Header=BB47_17 Depth=1
	s_or_b64 exec, exec, s[62:63]
                                        ; implicit-def: $vgpr0_vgpr1
.LBB47_1411:                            ;   in Loop: Header=BB47_17 Depth=1
	s_andn2_saveexec_b64 s[60:61], s[60:61]
	s_cbranch_execz .LBB47_1417
; %bb.1412:                             ;   in Loop: Header=BB47_17 Depth=1
	v_cmp_gt_i16_sdwa s[62:63], v7, v14 src0_sel:BYTE_0 src1_sel:DWORD
                                        ; implicit-def: $vgpr64
	s_and_saveexec_b64 s[64:65], s[62:63]
	s_xor_b64 s[62:63], exec, s[64:65]
	s_cbranch_execz .LBB47_1414
; %bb.1413:                             ;   in Loop: Header=BB47_17 Depth=1
	flat_load_sbyte v0, v[0:1]
	s_waitcnt vmcnt(0) lgkmcnt(0)
	v_cvt_f32_i32_e32 v64, v0
                                        ; implicit-def: $vgpr0_vgpr1
.LBB47_1414:                            ;   in Loop: Header=BB47_17 Depth=1
	s_andn2_saveexec_b64 s[62:63], s[62:63]
	s_cbranch_execz .LBB47_1416
; %bb.1415:                             ;   in Loop: Header=BB47_17 Depth=1
	flat_load_ubyte v0, v[0:1]
	s_waitcnt vmcnt(0) lgkmcnt(0)
	v_cvt_f32_ubyte0_e32 v64, v0
.LBB47_1416:                            ;   in Loop: Header=BB47_17 Depth=1
	s_or_b64 exec, exec, s[62:63]
.LBB47_1417:                            ;   in Loop: Header=BB47_17 Depth=1
	s_or_b64 exec, exec, s[60:61]
.LBB47_1418:                            ;   in Loop: Header=BB47_17 Depth=1
	s_or_b64 exec, exec, s[58:59]
	s_andn2_b64 s[50:51], s[50:51], exec
	s_andn2_b64 s[48:49], s[48:49], exec
	s_or_b64 vcc, vcc, exec
	s_or_b64 exec, exec, s[56:57]
	s_mov_b64 s[58:59], 0
	s_and_saveexec_b64 s[56:57], vcc
	s_cbranch_execz .LBB47_1424
.LBB47_1419:                            ;   in Loop: Header=BB47_17 Depth=1
	v_mul_lo_u32 v0, v54, v10
	v_readlane_b32 s58, v44, 0
	v_add_co_u32_e32 v0, vcc, v4, v0
	v_add_u32_e32 v55, s58, v15
	v_addc_co_u32_e32 v1, vcc, 0, v5, vcc
	v_cmp_gt_i16_sdwa s[58:59], v8, v16 src0_sel:BYTE_0 src1_sel:DWORD
	s_mov_b64 s[62:63], 0
	s_waitcnt vmcnt(0) lgkmcnt(0)
	buffer_store_dword v64, v55, s[0:3], 0 offen offset:52
                                        ; implicit-def: $vcc
                                        ; implicit-def: $sgpr60_sgpr61
                                        ; implicit-def: $vgpr54
	s_and_saveexec_b64 s[64:65], s[58:59]
	s_xor_b64 s[58:59], exec, s[64:65]
	s_cbranch_execnz .LBB47_1446
; %bb.1420:                             ;   in Loop: Header=BB47_17 Depth=1
	s_andn2_saveexec_b64 s[58:59], s[58:59]
	s_cbranch_execnz .LBB47_1505
.LBB47_1421:                            ;   in Loop: Header=BB47_17 Depth=1
	s_or_b64 exec, exec, s[58:59]
	s_mov_b64 s[58:59], 0
	s_and_saveexec_b64 s[64:65], s[62:63]
	s_cbranch_execz .LBB47_1423
.LBB47_1422:                            ;   in Loop: Header=BB47_17 Depth=1
	s_mov_b64 s[58:59], exec
	v_add_u32_e32 v53, 0x200, v53
	s_andn2_b64 s[60:61], s[60:61], exec
	s_andn2_b64 vcc, vcc, exec
	s_waitcnt vmcnt(0) lgkmcnt(0)
	buffer_store_dword v54, v55, s[0:3], 0 offen offset:48
.LBB47_1423:                            ;   in Loop: Header=BB47_17 Depth=1
	s_or_b64 exec, exec, s[64:65]
	s_andn2_b64 s[50:51], s[50:51], exec
	s_and_b64 s[60:61], s[60:61], exec
	s_andn2_b64 s[48:49], s[48:49], exec
	s_and_b64 vcc, vcc, exec
	s_or_b64 s[50:51], s[50:51], s[60:61]
	s_or_b64 s[48:49], s[48:49], vcc
	s_and_b64 s[58:59], s[58:59], exec
.LBB47_1424:                            ;   in Loop: Header=BB47_17 Depth=1
	s_or_b64 exec, exec, s[56:57]
	s_and_b64 s[50:51], s[50:51], exec
	s_and_b64 s[48:49], s[48:49], exec
	s_orn2_b64 s[56:57], s[58:59], exec
.LBB47_1425:                            ;   in Loop: Header=BB47_17 Depth=1
	s_or_b64 exec, exec, s[52:53]
	s_and_saveexec_b64 s[52:53], s[56:57]
	s_cbranch_execz .LBB47_10
; %bb.1426:                             ;   in Loop: Header=BB47_17 Depth=1
	v_cmp_lt_i32_e32 vcc, v53, v6
	s_mov_b64 s[60:61], -1
	s_mov_b64 s[62:63], -1
                                        ; implicit-def: $sgpr54_sgpr55
                                        ; implicit-def: $sgpr56_sgpr57
	s_and_saveexec_b64 s[58:59], vcc
	s_cbranch_execz .LBB47_1652
; %bb.1427:                             ;   in Loop: Header=BB47_17 Depth=1
	v_readlane_b32 vcc_lo, v44, 1
	s_waitcnt vmcnt(0) lgkmcnt(0)
	v_add_u32_e32 v54, vcc_lo, v53
	v_mul_lo_u32 v0, v54, v9
	v_add_co_u32_e32 v0, vcc, v2, v0
	v_addc_co_u32_e32 v1, vcc, 0, v3, vcc
	v_cmp_gt_i16_sdwa s[62:63], v7, v16 src0_sel:BYTE_0 src1_sel:DWORD
	s_mov_b64 vcc, 0
                                        ; implicit-def: $sgpr54_sgpr55
                                        ; implicit-def: $sgpr56_sgpr57
                                        ; implicit-def: $vgpr64
	s_and_saveexec_b64 s[64:65], s[62:63]
	s_xor_b64 s[62:63], exec, s[64:65]
	s_cbranch_execnz .LBB47_1546
; %bb.1428:                             ;   in Loop: Header=BB47_17 Depth=1
	s_andn2_saveexec_b64 s[62:63], s[62:63]
	s_cbranch_execnz .LBB47_1605
.LBB47_1429:                            ;   in Loop: Header=BB47_17 Depth=1
	s_or_b64 exec, exec, s[62:63]
	s_mov_b64 s[64:65], 0
	s_and_saveexec_b64 s[62:63], vcc
	s_cbranch_execnz .LBB47_1646
	s_branch .LBB47_1651
.LBB47_1430:                            ;   in Loop: Header=BB47_17 Depth=1
	s_movk_i32 vcc_lo, 0x80
	v_cmp_eq_u16_e32 vcc, vcc_lo, v0
	s_mov_b64 s[44:45], -1
                                        ; implicit-def: $sgpr50
	s_and_saveexec_b64 s[48:49], vcc
; %bb.1431:                             ;   in Loop: Header=BB47_17 Depth=1
	s_mov_b32 s50, 0x7f800001
	s_xor_b64 s[44:45], exec, -1
; %bb.1432:                             ;   in Loop: Header=BB47_17 Depth=1
	s_or_b64 exec, exec, s[48:49]
	s_and_b64 s[44:45], s[44:45], exec
	s_or_saveexec_b64 s[46:47], s[46:47]
	v_mov_b32_e32 v54, s50
	s_xor_b64 exec, exec, s[46:47]
	s_cbranch_execz .LBB47_381
.LBB47_1433:                            ;   in Loop: Header=BB47_17 Depth=1
	v_cmp_ne_u16_e32 vcc, 0, v0
	s_andn2_b64 s[44:45], s[44:45], exec
	s_and_b64 vcc, vcc, exec
	v_mov_b32_e32 v54, 0
	s_or_b64 s[44:45], s[44:45], vcc
	s_or_b64 exec, exec, s[46:47]
	s_and_saveexec_b64 s[46:47], s[44:45]
	s_cbranch_execnz .LBB47_382
	s_branch .LBB47_383
.LBB47_1434:                            ;   in Loop: Header=BB47_17 Depth=1
	s_movk_i32 vcc_lo, 0x80
	v_cmp_eq_u16_e32 vcc, vcc_lo, v0
	s_mov_b64 s[44:45], -1
                                        ; implicit-def: $sgpr50
	s_and_saveexec_b64 s[48:49], vcc
; %bb.1435:                             ;   in Loop: Header=BB47_17 Depth=1
	s_mov_b32 s50, 0x7f800001
	s_xor_b64 s[44:45], exec, -1
; %bb.1436:                             ;   in Loop: Header=BB47_17 Depth=1
	s_or_b64 exec, exec, s[48:49]
	s_and_b64 s[44:45], s[44:45], exec
	s_or_saveexec_b64 s[46:47], s[46:47]
	v_mov_b32_e32 v64, s50
	s_xor_b64 exec, exec, s[46:47]
	s_cbranch_execz .LBB47_481
.LBB47_1437:                            ;   in Loop: Header=BB47_17 Depth=1
	v_cmp_ne_u16_e32 vcc, 0, v0
	s_andn2_b64 s[44:45], s[44:45], exec
	s_and_b64 vcc, vcc, exec
	v_mov_b32_e32 v64, 0
	s_or_b64 s[44:45], s[44:45], vcc
	s_or_b64 exec, exec, s[46:47]
	s_and_saveexec_b64 s[46:47], s[44:45]
	s_cbranch_execnz .LBB47_482
	s_branch .LBB47_483
.LBB47_1438:                            ;   in Loop: Header=BB47_17 Depth=1
	s_movk_i32 vcc_lo, 0x80
	v_cmp_eq_u16_e32 vcc, vcc_lo, v0
	s_mov_b64 s[48:49], -1
                                        ; implicit-def: $sgpr54
	s_and_saveexec_b64 s[52:53], vcc
; %bb.1439:                             ;   in Loop: Header=BB47_17 Depth=1
	s_mov_b32 s54, 0x7f800001
	s_xor_b64 s[48:49], exec, -1
; %bb.1440:                             ;   in Loop: Header=BB47_17 Depth=1
	s_or_b64 exec, exec, s[52:53]
	s_and_b64 s[48:49], s[48:49], exec
	s_or_saveexec_b64 s[50:51], s[50:51]
	v_mov_b32_e32 v54, s54
	s_xor_b64 exec, exec, s[50:51]
	s_cbranch_execz .LBB47_581
.LBB47_1441:                            ;   in Loop: Header=BB47_17 Depth=1
	v_cmp_ne_u16_e32 vcc, 0, v0
	s_andn2_b64 s[48:49], s[48:49], exec
	s_and_b64 vcc, vcc, exec
	v_mov_b32_e32 v54, 0
	s_or_b64 s[48:49], s[48:49], vcc
	s_or_b64 exec, exec, s[50:51]
	s_and_saveexec_b64 s[50:51], s[48:49]
	s_cbranch_execnz .LBB47_582
	s_branch .LBB47_583
.LBB47_1442:                            ;   in Loop: Header=BB47_17 Depth=1
	s_movk_i32 vcc_lo, 0x80
	v_cmp_eq_u16_e32 vcc, vcc_lo, v0
	s_mov_b64 s[48:49], -1
                                        ; implicit-def: $sgpr54
	s_and_saveexec_b64 s[52:53], vcc
; %bb.1443:                             ;   in Loop: Header=BB47_17 Depth=1
	s_mov_b32 s54, 0x7f800001
	s_xor_b64 s[48:49], exec, -1
; %bb.1444:                             ;   in Loop: Header=BB47_17 Depth=1
	s_or_b64 exec, exec, s[52:53]
	s_and_b64 s[48:49], s[48:49], exec
	s_or_saveexec_b64 s[50:51], s[50:51]
	v_mov_b32_e32 v64, s54
	s_xor_b64 exec, exec, s[50:51]
	s_cbranch_execz .LBB47_681
.LBB47_1445:                            ;   in Loop: Header=BB47_17 Depth=1
	v_cmp_ne_u16_e32 vcc, 0, v0
	s_andn2_b64 s[48:49], s[48:49], exec
	s_and_b64 vcc, vcc, exec
	v_mov_b32_e32 v64, 0
	s_or_b64 s[48:49], s[48:49], vcc
	s_or_b64 exec, exec, s[50:51]
	s_and_saveexec_b64 s[50:51], s[48:49]
	s_cbranch_execnz .LBB47_682
	s_branch .LBB47_683
.LBB47_1446:                            ;   in Loop: Header=BB47_17 Depth=1
	v_cmp_gt_i16_sdwa vcc, v8, v17 src0_sel:BYTE_0 src1_sel:DWORD
                                        ; implicit-def: $sgpr64_sgpr65
                                        ; implicit-def: $sgpr66_sgpr67
                                        ; implicit-def: $vgpr54
	s_and_saveexec_b64 s[60:61], vcc
	s_xor_b64 s[60:61], exec, s[60:61]
	s_cbranch_execz .LBB47_1478
; %bb.1447:                             ;   in Loop: Header=BB47_17 Depth=1
	v_cmp_gt_i16_sdwa vcc, v8, v18 src0_sel:BYTE_0 src1_sel:DWORD
                                        ; implicit-def: $sgpr64_sgpr65
                                        ; implicit-def: $sgpr68_sgpr69
                                        ; implicit-def: $vgpr54
	s_and_saveexec_b64 s[66:67], vcc
	s_xor_b64 s[66:67], exec, s[66:67]
	s_cbranch_execz .LBB47_1463
; %bb.1448:                             ;   in Loop: Header=BB47_17 Depth=1
	v_cmp_gt_i16_sdwa s[62:63], v8, v19 src0_sel:BYTE_0 src1_sel:DWORD
	s_mov_b64 s[70:71], 0
                                        ; implicit-def: $vcc
                                        ; implicit-def: $sgpr68_sgpr69
                                        ; implicit-def: $vgpr54
	s_and_saveexec_b64 s[64:65], s[62:63]
	s_xor_b64 s[62:63], exec, s[64:65]
	s_cbranch_execz .LBB47_1458
; %bb.1449:                             ;   in Loop: Header=BB47_17 Depth=1
	v_cmp_gt_i16_sdwa vcc, v8, v20 src0_sel:BYTE_0 src1_sel:DWORD
                                        ; implicit-def: $sgpr68_sgpr69
                                        ; implicit-def: $sgpr64_sgpr65
                                        ; implicit-def: $vgpr54
	s_and_saveexec_b64 s[72:73], vcc
	s_xor_b64 vcc, exec, s[72:73]
	s_cbranch_execz .LBB47_1453
; %bb.1450:                             ;   in Loop: Header=BB47_17 Depth=1
	v_cmp_eq_u16_sdwa s[72:73], v8, v21 src0_sel:BYTE_0 src1_sel:DWORD
	s_mov_b64 s[64:65], 0
                                        ; implicit-def: $vgpr54
	s_and_saveexec_b64 s[68:69], s[72:73]
	s_cbranch_execz .LBB47_1452
; %bb.1451:                             ;   in Loop: Header=BB47_17 Depth=1
	flat_load_dword v0, v[0:1]
	s_mov_b64 s[70:71], exec
	s_waitcnt vmcnt(0) lgkmcnt(0)
	v_lshlrev_b32_e32 v54, 16, v0
.LBB47_1452:                            ;   in Loop: Header=BB47_17 Depth=1
	s_or_b64 exec, exec, s[68:69]
	s_mov_b64 s[68:69], -1
	s_and_b64 s[70:71], s[70:71], exec
                                        ; implicit-def: $vgpr0_vgpr1
.LBB47_1453:                            ;   in Loop: Header=BB47_17 Depth=1
	s_andn2_saveexec_b64 s[72:73], vcc
	s_cbranch_execz .LBB47_1457
; %bb.1454:                             ;   in Loop: Header=BB47_17 Depth=1
	v_cmp_eq_u16_sdwa s[76:77], v8, v22 src0_sel:BYTE_0 src1_sel:DWORD
	s_mov_b64 vcc, s[70:71]
                                        ; implicit-def: $vgpr54
	s_and_saveexec_b64 s[74:75], s[76:77]
	s_cbranch_execz .LBB47_1456
; %bb.1455:                             ;   in Loop: Header=BB47_17 Depth=1
	flat_load_ubyte v0, v[0:1]
	s_movk_i32 vcc_lo, 0xff
	s_waitcnt vmcnt(0) lgkmcnt(0)
	v_lshlrev_b32_e32 v1, 23, v0
	v_cmp_ne_u32_e32 vcc, vcc_lo, v0
	v_cndmask_b32_e32 v1, v23, v1, vcc
	v_cmp_ne_u32_e32 vcc, 0, v0
	v_cndmask_b32_e32 v54, v24, v1, vcc
	s_or_b64 vcc, s[70:71], exec
.LBB47_1456:                            ;   in Loop: Header=BB47_17 Depth=1
	s_or_b64 exec, exec, s[74:75]
	s_andn2_b64 s[70:71], s[70:71], exec
	s_and_b64 vcc, vcc, exec
	s_or_b64 s[68:69], s[68:69], exec
	s_andn2_b64 s[64:65], s[64:65], exec
	s_or_b64 s[70:71], s[70:71], vcc
.LBB47_1457:                            ;   in Loop: Header=BB47_17 Depth=1
	s_or_b64 exec, exec, s[72:73]
	s_and_b64 s[68:69], s[68:69], exec
	s_and_b64 vcc, s[64:65], exec
	s_and_b64 s[70:71], s[70:71], exec
                                        ; implicit-def: $vgpr0_vgpr1
.LBB47_1458:                            ;   in Loop: Header=BB47_17 Depth=1
	s_andn2_saveexec_b64 s[62:63], s[62:63]
	s_cbranch_execz .LBB47_1462
; %bb.1459:                             ;   in Loop: Header=BB47_17 Depth=1
	v_cmp_eq_u16_sdwa s[74:75], v8, v25 src0_sel:BYTE_0 src1_sel:DWORD
	s_mov_b64 s[72:73], s[70:71]
                                        ; implicit-def: $vgpr54
	s_and_saveexec_b64 s[64:65], s[74:75]
	s_cbranch_execz .LBB47_1461
; %bb.1460:                             ;   in Loop: Header=BB47_17 Depth=1
	flat_load_dwordx2 v[0:1], v[0:1]
	s_or_b64 s[72:73], s[70:71], exec
	s_waitcnt vmcnt(0) lgkmcnt(0)
	v_ffbh_u32_e32 v54, v1
	v_min_u32_e32 v54, 32, v54
	v_lshlrev_b64 v[0:1], v54, v[0:1]
	v_min_u32_e32 v0, 1, v0
	v_or_b32_e32 v0, v1, v0
	v_cvt_f32_u32_e32 v0, v0
	v_sub_u32_e32 v1, 32, v54
	v_ldexp_f32 v54, v0, v1
.LBB47_1461:                            ;   in Loop: Header=BB47_17 Depth=1
	s_or_b64 exec, exec, s[64:65]
	s_andn2_b64 s[64:65], s[70:71], exec
	s_and_b64 s[70:71], s[72:73], exec
	s_or_b64 s[68:69], s[68:69], exec
	s_andn2_b64 vcc, vcc, exec
	s_or_b64 s[70:71], s[64:65], s[70:71]
.LBB47_1462:                            ;   in Loop: Header=BB47_17 Depth=1
	s_or_b64 exec, exec, s[62:63]
	s_and_b64 s[68:69], s[68:69], exec
	s_and_b64 s[64:65], vcc, exec
	s_and_b64 s[62:63], s[70:71], exec
                                        ; implicit-def: $vgpr0_vgpr1
.LBB47_1463:                            ;   in Loop: Header=BB47_17 Depth=1
	s_andn2_saveexec_b64 s[66:67], s[66:67]
	s_cbranch_execz .LBB47_1477
; %bb.1464:                             ;   in Loop: Header=BB47_17 Depth=1
	v_cmp_gt_i16_sdwa vcc, v8, v26 src0_sel:BYTE_0 src1_sel:DWORD
                                        ; implicit-def: $vgpr54
	s_and_saveexec_b64 s[70:71], vcc
	s_xor_b64 vcc, exec, s[70:71]
	s_cbranch_execz .LBB47_1470
; %bb.1465:                             ;   in Loop: Header=BB47_17 Depth=1
	v_cmp_gt_i16_sdwa s[70:71], v8, v27 src0_sel:BYTE_0 src1_sel:DWORD
                                        ; implicit-def: $vgpr54
	s_and_saveexec_b64 s[72:73], s[70:71]
	s_xor_b64 s[70:71], exec, s[72:73]
	s_cbranch_execz .LBB47_1467
; %bb.1466:                             ;   in Loop: Header=BB47_17 Depth=1
	flat_load_dword v0, v[0:1]
	s_waitcnt vmcnt(0) lgkmcnt(0)
	v_cvt_f32_u32_e32 v54, v0
                                        ; implicit-def: $vgpr0_vgpr1
.LBB47_1467:                            ;   in Loop: Header=BB47_17 Depth=1
	s_andn2_saveexec_b64 s[70:71], s[70:71]
	s_cbranch_execz .LBB47_1469
; %bb.1468:                             ;   in Loop: Header=BB47_17 Depth=1
	flat_load_ushort v0, v[0:1]
	s_waitcnt vmcnt(0) lgkmcnt(0)
	v_cvt_f32_u32_e32 v54, v0
.LBB47_1469:                            ;   in Loop: Header=BB47_17 Depth=1
	s_or_b64 exec, exec, s[70:71]
                                        ; implicit-def: $vgpr0_vgpr1
.LBB47_1470:                            ;   in Loop: Header=BB47_17 Depth=1
	s_andn2_saveexec_b64 s[70:71], vcc
	s_cbranch_execz .LBB47_1476
; %bb.1471:                             ;   in Loop: Header=BB47_17 Depth=1
	flat_load_ubyte v0, v[0:1]
	s_movk_i32 vcc_lo, 0x7f
	s_mov_b64 s[72:73], 0
                                        ; implicit-def: $sgpr78
	s_waitcnt vmcnt(0) lgkmcnt(0)
	v_cmp_lt_i16_e32 vcc, vcc_lo, v0
	s_and_saveexec_b64 s[74:75], vcc
	s_xor_b64 s[74:75], exec, s[74:75]
	s_cbranch_execnz .LBB47_2346
; %bb.1472:                             ;   in Loop: Header=BB47_17 Depth=1
	s_or_saveexec_b64 s[74:75], s[74:75]
	v_mov_b32_e32 v54, s78
	s_xor_b64 exec, exec, s[74:75]
	s_cbranch_execnz .LBB47_2349
.LBB47_1473:                            ;   in Loop: Header=BB47_17 Depth=1
	s_or_b64 exec, exec, s[74:75]
	s_and_saveexec_b64 s[74:75], s[72:73]
	s_cbranch_execz .LBB47_1475
.LBB47_1474:                            ;   in Loop: Header=BB47_17 Depth=1
	v_lshlrev_b32_e32 v1, 24, v0
	v_and_b32_e32 v0, 0xffff, v0
	v_and_b32_e32 v54, 7, v0
	v_ffbh_u32_e32 v65, v54
	v_min_u32_e32 v65, 32, v65
	v_subrev_u32_e32 v66, 28, v65
	v_bfe_u32 v64, v0, 3, 4
	v_lshlrev_b32_e32 v0, v66, v0
	v_sub_u32_e32 v65, 29, v65
	v_and_b32_e32 v0, 7, v0
	v_cmp_eq_u32_e32 vcc, 0, v64
	v_cndmask_b32_e32 v64, v64, v65, vcc
	v_cndmask_b32_e32 v0, v54, v0, vcc
	v_lshlrev_b32_e32 v0, 20, v0
	v_and_b32_e32 v1, 0x80000000, v1
	v_lshl_add_u32 v54, v64, 23, v28
	v_or3_b32 v54, v1, v54, v0
.LBB47_1475:                            ;   in Loop: Header=BB47_17 Depth=1
	s_or_b64 exec, exec, s[74:75]
.LBB47_1476:                            ;   in Loop: Header=BB47_17 Depth=1
	s_or_b64 exec, exec, s[70:71]
	s_andn2_b64 s[68:69], s[68:69], exec
	s_andn2_b64 s[64:65], s[64:65], exec
	s_or_b64 s[62:63], s[62:63], exec
.LBB47_1477:                            ;   in Loop: Header=BB47_17 Depth=1
	s_or_b64 exec, exec, s[66:67]
	s_and_b64 s[66:67], s[68:69], exec
	s_and_b64 s[64:65], s[64:65], exec
	;; [unrolled: 1-line block ×3, first 2 shown]
                                        ; implicit-def: $vgpr0_vgpr1
.LBB47_1478:                            ;   in Loop: Header=BB47_17 Depth=1
	s_andn2_saveexec_b64 s[60:61], s[60:61]
	s_cbranch_execz .LBB47_1504
; %bb.1479:                             ;   in Loop: Header=BB47_17 Depth=1
	v_cmp_gt_i16_sdwa vcc, v8, v29 src0_sel:BYTE_0 src1_sel:DWORD
	s_mov_b64 s[70:71], s[62:63]
                                        ; implicit-def: $vgpr54
	s_and_saveexec_b64 s[68:69], vcc
	s_xor_b64 s[68:69], exec, s[68:69]
	s_cbranch_execz .LBB47_1493
; %bb.1480:                             ;   in Loop: Header=BB47_17 Depth=1
	v_cmp_gt_i16_sdwa vcc, v8, v30 src0_sel:BYTE_0 src1_sel:DWORD
                                        ; implicit-def: $vgpr54
	s_and_saveexec_b64 s[70:71], vcc
	s_xor_b64 s[70:71], exec, s[70:71]
	s_cbranch_execz .LBB47_1490
; %bb.1481:                             ;   in Loop: Header=BB47_17 Depth=1
	v_cmp_gt_i16_sdwa vcc, v8, v31 src0_sel:BYTE_0 src1_sel:DWORD
                                        ; implicit-def: $vgpr54
	s_and_saveexec_b64 s[72:73], vcc
	s_xor_b64 s[72:73], exec, s[72:73]
	s_cbranch_execz .LBB47_1487
; %bb.1482:                             ;   in Loop: Header=BB47_17 Depth=1
	flat_load_ubyte v0, v[0:1]
	s_movk_i32 vcc_lo, 0x7f
	s_mov_b64 s[74:75], 0
                                        ; implicit-def: $sgpr80
	s_waitcnt vmcnt(0) lgkmcnt(0)
	v_cmp_lt_i16_e32 vcc, vcc_lo, v0
	s_and_saveexec_b64 s[76:77], vcc
	s_xor_b64 s[76:77], exec, s[76:77]
	s_cbranch_execnz .LBB47_2565
; %bb.1483:                             ;   in Loop: Header=BB47_17 Depth=1
	s_or_saveexec_b64 s[76:77], s[76:77]
	v_mov_b32_e32 v54, s80
	s_xor_b64 exec, exec, s[76:77]
	s_cbranch_execnz .LBB47_2568
.LBB47_1484:                            ;   in Loop: Header=BB47_17 Depth=1
	s_or_b64 exec, exec, s[76:77]
	s_and_saveexec_b64 s[76:77], s[74:75]
	s_cbranch_execz .LBB47_1486
.LBB47_1485:                            ;   in Loop: Header=BB47_17 Depth=1
	v_lshlrev_b32_e32 v1, 24, v0
	v_and_b32_e32 v0, 0xffff, v0
	v_and_b32_e32 v54, 3, v0
	v_ffbh_u32_e32 v65, v54
	v_min_u32_e32 v65, 32, v65
	v_subrev_u32_e32 v66, 29, v65
	v_bfe_u32 v64, v0, 2, 5
	v_lshlrev_b32_e32 v0, v66, v0
	v_sub_u32_e32 v65, 30, v65
	v_and_b32_e32 v0, 3, v0
	v_cmp_eq_u32_e32 vcc, 0, v64
	v_cndmask_b32_e32 v64, v64, v65, vcc
	v_cndmask_b32_e32 v0, v54, v0, vcc
	v_lshlrev_b32_e32 v0, 21, v0
	v_and_b32_e32 v1, 0x80000000, v1
	v_lshl_add_u32 v54, v64, 23, v32
	v_or3_b32 v54, v1, v54, v0
.LBB47_1486:                            ;   in Loop: Header=BB47_17 Depth=1
	s_or_b64 exec, exec, s[76:77]
                                        ; implicit-def: $vgpr0_vgpr1
.LBB47_1487:                            ;   in Loop: Header=BB47_17 Depth=1
	s_andn2_saveexec_b64 s[72:73], s[72:73]
	s_cbranch_execz .LBB47_1489
; %bb.1488:                             ;   in Loop: Header=BB47_17 Depth=1
	flat_load_ubyte v0, v[0:1]
	s_mov_b32 vcc_lo, 0x7f800000
	s_waitcnt vmcnt(0) lgkmcnt(0)
	v_lshlrev_b32_e32 v0, 24, v0
	v_and_b32_e32 v1, 0x7f000000, v0
	v_ffbh_u32_e32 v54, v1
	v_min_u32_e32 v54, 32, v54
	v_sub_u32_e64 v54, v54, 4 clamp
	v_lshlrev_b32_e32 v65, v54, v1
	v_lshlrev_b32_e32 v54, 23, v54
	v_lshrrev_b32_e32 v65, 4, v65
	v_add_u32_e32 v64, 0x1000000, v1
	v_sub_u32_e32 v54, v65, v54
	v_ashrrev_i32_e32 v64, 8, v64
	v_add_u32_e32 v54, 0x3c000000, v54
	v_and_or_b32 v54, v64, vcc_lo, v54
	v_cmp_ne_u32_e32 vcc, 0, v1
	v_cndmask_b32_e32 v1, 0, v54, vcc
	s_brev_b32 vcc_lo, 1
	v_and_or_b32 v54, v0, vcc_lo, v1
.LBB47_1489:                            ;   in Loop: Header=BB47_17 Depth=1
	s_or_b64 exec, exec, s[72:73]
                                        ; implicit-def: $vgpr0_vgpr1
.LBB47_1490:                            ;   in Loop: Header=BB47_17 Depth=1
	s_andn2_saveexec_b64 s[70:71], s[70:71]
	s_cbranch_execz .LBB47_1492
; %bb.1491:                             ;   in Loop: Header=BB47_17 Depth=1
	flat_load_ubyte v0, v[0:1]
	s_movk_i32 vcc_lo, 0x7f00
	s_waitcnt vmcnt(0) lgkmcnt(0)
	v_lshlrev_b16_e32 v1, 8, v0
	v_lshlrev_b32_e32 v0, 25, v0
	v_lshrrev_b32_e32 v54, 4, v0
	v_and_or_b32 v64, v1, vcc_lo, 0.5
	v_or_b32_e32 v54, 0x70000000, v54
	s_brev_b32 vcc_lo, 16
	v_add_f32_e32 v64, -0.5, v64
	v_mul_f32_e32 v54, 0x7800000, v54
	v_cmp_gt_u32_e32 vcc, vcc_lo, v0
	v_cndmask_b32_e32 v0, v54, v64, vcc
	v_bfe_i32 v1, v1, 0, 16
	s_brev_b32 vcc_lo, 1
	v_and_or_b32 v54, v1, vcc_lo, v0
.LBB47_1492:                            ;   in Loop: Header=BB47_17 Depth=1
	s_or_b64 exec, exec, s[70:71]
	s_or_b64 s[70:71], s[62:63], exec
                                        ; implicit-def: $vgpr0_vgpr1
.LBB47_1493:                            ;   in Loop: Header=BB47_17 Depth=1
	s_or_saveexec_b64 s[68:69], s[68:69]
                                        ; implicit-def: $vcc
                                        ; implicit-def: $sgpr76_sgpr77
	s_xor_b64 exec, exec, s[68:69]
	s_cbranch_execz .LBB47_1503
; %bb.1494:                             ;   in Loop: Header=BB47_17 Depth=1
	v_cmp_gt_i16_sdwa vcc, v8, v33 src0_sel:BYTE_0 src1_sel:DWORD
	s_mov_b64 s[74:75], s[70:71]
                                        ; implicit-def: $sgpr76_sgpr77
                                        ; implicit-def: $sgpr72_sgpr73
                                        ; implicit-def: $vgpr54
	s_and_saveexec_b64 s[78:79], vcc
	s_xor_b64 vcc, exec, s[78:79]
	s_cbranch_execz .LBB47_1498
; %bb.1495:                             ;   in Loop: Header=BB47_17 Depth=1
	v_cmp_eq_u16_sdwa s[76:77], v8, v34 src0_sel:BYTE_0 src1_sel:DWORD
	s_mov_b64 s[74:75], s[70:71]
                                        ; implicit-def: $vgpr54
	s_and_saveexec_b64 s[72:73], s[76:77]
	s_cbranch_execz .LBB47_1497
; %bb.1496:                             ;   in Loop: Header=BB47_17 Depth=1
	flat_load_ushort v0, v[0:1]
	s_or_b64 s[74:75], s[70:71], exec
	s_waitcnt vmcnt(0) lgkmcnt(0)
	v_lshlrev_b32_e32 v54, 16, v0
.LBB47_1497:                            ;   in Loop: Header=BB47_17 Depth=1
	s_or_b64 exec, exec, s[72:73]
	s_andn2_b64 s[78:79], s[70:71], exec
	s_and_b64 s[74:75], s[74:75], exec
	s_mov_b64 s[72:73], 0
	s_mov_b64 s[76:77], -1
	s_or_b64 s[74:75], s[78:79], s[74:75]
                                        ; implicit-def: $vgpr0_vgpr1
.LBB47_1498:                            ;   in Loop: Header=BB47_17 Depth=1
	s_andn2_saveexec_b64 s[78:79], vcc
	s_cbranch_execz .LBB47_1502
; %bb.1499:                             ;   in Loop: Header=BB47_17 Depth=1
	v_cmp_eq_u16_sdwa s[82:83], v8, v35 src0_sel:BYTE_0 src1_sel:DWORD
	s_mov_b64 vcc, s[74:75]
                                        ; implicit-def: $vgpr54
	s_and_saveexec_b64 s[80:81], s[82:83]
	s_cbranch_execz .LBB47_1501
; %bb.1500:                             ;   in Loop: Header=BB47_17 Depth=1
	flat_load_ubyte v0, v[0:1]
	s_waitcnt vmcnt(0) lgkmcnt(0)
	v_cmp_ne_u16_e32 vcc, 0, v0
	v_cndmask_b32_e64 v54, 0, 1.0, vcc
	s_or_b64 vcc, s[74:75], exec
.LBB47_1501:                            ;   in Loop: Header=BB47_17 Depth=1
	s_or_b64 exec, exec, s[80:81]
	s_andn2_b64 s[74:75], s[74:75], exec
	s_and_b64 vcc, vcc, exec
	s_or_b64 s[76:77], s[76:77], exec
	s_andn2_b64 s[72:73], s[72:73], exec
	s_or_b64 s[74:75], s[74:75], vcc
.LBB47_1502:                            ;   in Loop: Header=BB47_17 Depth=1
	s_or_b64 exec, exec, s[78:79]
	s_and_b64 vcc, s[72:73], exec
	s_andn2_b64 s[70:71], s[70:71], exec
	s_and_b64 s[72:73], s[74:75], exec
	s_and_b64 s[76:77], s[76:77], exec
	s_or_b64 s[70:71], s[70:71], s[72:73]
.LBB47_1503:                            ;   in Loop: Header=BB47_17 Depth=1
	s_or_b64 exec, exec, s[68:69]
	s_andn2_b64 s[64:65], s[64:65], exec
	s_and_b64 vcc, vcc, exec
	s_andn2_b64 s[66:67], s[66:67], exec
	s_and_b64 s[68:69], s[76:77], exec
	s_or_b64 s[64:65], s[64:65], vcc
	s_andn2_b64 vcc, s[62:63], exec
	s_and_b64 s[62:63], s[70:71], exec
	s_or_b64 s[66:67], s[66:67], s[68:69]
	s_or_b64 s[62:63], vcc, s[62:63]
.LBB47_1504:                            ;   in Loop: Header=BB47_17 Depth=1
	s_or_b64 exec, exec, s[60:61]
	s_and_b64 s[60:61], s[66:67], exec
	s_and_b64 vcc, s[64:65], exec
	s_and_b64 s[62:63], s[62:63], exec
                                        ; implicit-def: $vgpr0_vgpr1
	s_andn2_saveexec_b64 s[58:59], s[58:59]
	s_cbranch_execz .LBB47_1421
.LBB47_1505:                            ;   in Loop: Header=BB47_17 Depth=1
	v_cmp_gt_i16_sdwa s[64:65], v8, v36 src0_sel:BYTE_0 src1_sel:DWORD
                                        ; implicit-def: $vgpr54
	s_and_saveexec_b64 s[66:67], s[64:65]
	s_xor_b64 s[64:65], exec, s[66:67]
	s_cbranch_execz .LBB47_1527
; %bb.1506:                             ;   in Loop: Header=BB47_17 Depth=1
	v_cmp_gt_i16_sdwa s[66:67], v8, v37 src0_sel:BYTE_0 src1_sel:DWORD
                                        ; implicit-def: $vgpr54
	s_and_saveexec_b64 s[68:69], s[66:67]
	s_xor_b64 s[66:67], exec, s[68:69]
	s_cbranch_execz .LBB47_1516
; %bb.1507:                             ;   in Loop: Header=BB47_17 Depth=1
	;; [unrolled: 6-line block ×4, first 2 shown]
	flat_load_dwordx2 v[0:1], v[0:1]
	s_waitcnt vmcnt(0) lgkmcnt(0)
	v_cvt_f32_f64_e32 v54, v[0:1]
                                        ; implicit-def: $vgpr0_vgpr1
.LBB47_1510:                            ;   in Loop: Header=BB47_17 Depth=1
	s_andn2_saveexec_b64 s[70:71], s[70:71]
	s_cbranch_execz .LBB47_1512
; %bb.1511:                             ;   in Loop: Header=BB47_17 Depth=1
	flat_load_dword v54, v[0:1]
.LBB47_1512:                            ;   in Loop: Header=BB47_17 Depth=1
	s_or_b64 exec, exec, s[70:71]
                                        ; implicit-def: $vgpr0_vgpr1
.LBB47_1513:                            ;   in Loop: Header=BB47_17 Depth=1
	s_andn2_saveexec_b64 s[68:69], s[68:69]
	s_cbranch_execz .LBB47_1515
; %bb.1514:                             ;   in Loop: Header=BB47_17 Depth=1
	flat_load_dword v0, v[0:1]
	s_waitcnt vmcnt(0) lgkmcnt(0)
	v_cvt_f32_f16_e32 v54, v0
.LBB47_1515:                            ;   in Loop: Header=BB47_17 Depth=1
	s_or_b64 exec, exec, s[68:69]
                                        ; implicit-def: $vgpr0_vgpr1
.LBB47_1516:                            ;   in Loop: Header=BB47_17 Depth=1
	s_andn2_saveexec_b64 s[66:67], s[66:67]
	s_cbranch_execz .LBB47_1526
; %bb.1517:                             ;   in Loop: Header=BB47_17 Depth=1
	v_cmp_gt_i16_sdwa s[68:69], v8, v48 src0_sel:BYTE_0 src1_sel:DWORD
                                        ; implicit-def: $vgpr54
	s_and_saveexec_b64 s[70:71], s[68:69]
	s_xor_b64 s[68:69], exec, s[70:71]
	s_cbranch_execz .LBB47_1523
; %bb.1518:                             ;   in Loop: Header=BB47_17 Depth=1
	v_cmp_gt_i16_sdwa s[70:71], v8, v49 src0_sel:BYTE_0 src1_sel:DWORD
                                        ; implicit-def: $vgpr54
	s_and_saveexec_b64 s[72:73], s[70:71]
	s_xor_b64 s[70:71], exec, s[72:73]
	s_cbranch_execz .LBB47_1520
; %bb.1519:                             ;   in Loop: Header=BB47_17 Depth=1
	flat_load_dwordx2 v[0:1], v[0:1]
	s_waitcnt vmcnt(0) lgkmcnt(0)
	v_cvt_f32_f64_e32 v54, v[0:1]
                                        ; implicit-def: $vgpr0_vgpr1
.LBB47_1520:                            ;   in Loop: Header=BB47_17 Depth=1
	s_andn2_saveexec_b64 s[70:71], s[70:71]
	s_cbranch_execz .LBB47_1522
; %bb.1521:                             ;   in Loop: Header=BB47_17 Depth=1
	s_waitcnt vmcnt(0) lgkmcnt(0)
	flat_load_dword v54, v[0:1]
.LBB47_1522:                            ;   in Loop: Header=BB47_17 Depth=1
	s_or_b64 exec, exec, s[70:71]
                                        ; implicit-def: $vgpr0_vgpr1
.LBB47_1523:                            ;   in Loop: Header=BB47_17 Depth=1
	s_andn2_saveexec_b64 s[68:69], s[68:69]
	s_cbranch_execz .LBB47_1525
; %bb.1524:                             ;   in Loop: Header=BB47_17 Depth=1
	flat_load_ushort v0, v[0:1]
	s_waitcnt vmcnt(0) lgkmcnt(0)
	v_cvt_f32_f16_e32 v54, v0
.LBB47_1525:                            ;   in Loop: Header=BB47_17 Depth=1
	s_or_b64 exec, exec, s[68:69]
.LBB47_1526:                            ;   in Loop: Header=BB47_17 Depth=1
	s_or_b64 exec, exec, s[66:67]
                                        ; implicit-def: $vgpr0_vgpr1
.LBB47_1527:                            ;   in Loop: Header=BB47_17 Depth=1
	s_andn2_saveexec_b64 s[64:65], s[64:65]
	s_cbranch_execz .LBB47_1545
; %bb.1528:                             ;   in Loop: Header=BB47_17 Depth=1
	v_cmp_gt_i16_sdwa s[66:67], v8, v50 src0_sel:BYTE_0 src1_sel:DWORD
                                        ; implicit-def: $vgpr54
	s_and_saveexec_b64 s[68:69], s[66:67]
	s_xor_b64 s[66:67], exec, s[68:69]
	s_cbranch_execz .LBB47_1538
; %bb.1529:                             ;   in Loop: Header=BB47_17 Depth=1
	v_cmp_gt_i16_sdwa s[68:69], v8, v51 src0_sel:BYTE_0 src1_sel:DWORD
                                        ; implicit-def: $vgpr54
	s_and_saveexec_b64 s[70:71], s[68:69]
	s_xor_b64 s[68:69], exec, s[70:71]
	;; [unrolled: 6-line block ×3, first 2 shown]
	s_cbranch_execz .LBB47_1532
; %bb.1531:                             ;   in Loop: Header=BB47_17 Depth=1
	flat_load_dwordx2 v[0:1], v[0:1]
	s_waitcnt vmcnt(0) lgkmcnt(0)
	v_xor_b32_e32 v64, v0, v1
	v_ffbh_i32_e32 v54, v1
	v_ashrrev_i32_e32 v64, 31, v64
	v_add_u32_e32 v54, -1, v54
	v_add_u32_e32 v64, 32, v64
	v_min_u32_e32 v54, v54, v64
	v_lshlrev_b64 v[0:1], v54, v[0:1]
	v_min_u32_e32 v0, 1, v0
	v_or_b32_e32 v0, v1, v0
	v_cvt_f32_i32_e32 v0, v0
	v_sub_u32_e32 v1, 32, v54
	v_ldexp_f32 v54, v0, v1
                                        ; implicit-def: $vgpr0_vgpr1
.LBB47_1532:                            ;   in Loop: Header=BB47_17 Depth=1
	s_andn2_saveexec_b64 s[70:71], s[70:71]
	s_cbranch_execz .LBB47_1534
; %bb.1533:                             ;   in Loop: Header=BB47_17 Depth=1
	flat_load_dword v0, v[0:1]
	s_waitcnt vmcnt(0) lgkmcnt(0)
	v_cvt_f32_i32_e32 v54, v0
.LBB47_1534:                            ;   in Loop: Header=BB47_17 Depth=1
	s_or_b64 exec, exec, s[70:71]
                                        ; implicit-def: $vgpr0_vgpr1
.LBB47_1535:                            ;   in Loop: Header=BB47_17 Depth=1
	s_andn2_saveexec_b64 s[68:69], s[68:69]
	s_cbranch_execz .LBB47_1537
; %bb.1536:                             ;   in Loop: Header=BB47_17 Depth=1
	flat_load_sshort v0, v[0:1]
	s_waitcnt vmcnt(0) lgkmcnt(0)
	v_cvt_f32_i32_e32 v54, v0
.LBB47_1537:                            ;   in Loop: Header=BB47_17 Depth=1
	s_or_b64 exec, exec, s[68:69]
                                        ; implicit-def: $vgpr0_vgpr1
.LBB47_1538:                            ;   in Loop: Header=BB47_17 Depth=1
	s_andn2_saveexec_b64 s[66:67], s[66:67]
	s_cbranch_execz .LBB47_1544
; %bb.1539:                             ;   in Loop: Header=BB47_17 Depth=1
	v_cmp_gt_i16_sdwa s[68:69], v8, v14 src0_sel:BYTE_0 src1_sel:DWORD
                                        ; implicit-def: $vgpr54
	s_and_saveexec_b64 s[70:71], s[68:69]
	s_xor_b64 s[68:69], exec, s[70:71]
	s_cbranch_execz .LBB47_1541
; %bb.1540:                             ;   in Loop: Header=BB47_17 Depth=1
	flat_load_sbyte v0, v[0:1]
	s_waitcnt vmcnt(0) lgkmcnt(0)
	v_cvt_f32_i32_e32 v54, v0
                                        ; implicit-def: $vgpr0_vgpr1
.LBB47_1541:                            ;   in Loop: Header=BB47_17 Depth=1
	s_andn2_saveexec_b64 s[68:69], s[68:69]
	s_cbranch_execz .LBB47_1543
; %bb.1542:                             ;   in Loop: Header=BB47_17 Depth=1
	flat_load_ubyte v0, v[0:1]
	s_waitcnt vmcnt(0) lgkmcnt(0)
	v_cvt_f32_ubyte0_e32 v54, v0
.LBB47_1543:                            ;   in Loop: Header=BB47_17 Depth=1
	s_or_b64 exec, exec, s[68:69]
.LBB47_1544:                            ;   in Loop: Header=BB47_17 Depth=1
	s_or_b64 exec, exec, s[66:67]
.LBB47_1545:                            ;   in Loop: Header=BB47_17 Depth=1
	s_or_b64 exec, exec, s[64:65]
	s_andn2_b64 s[60:61], s[60:61], exec
	s_andn2_b64 vcc, vcc, exec
	s_or_b64 s[62:63], s[62:63], exec
	s_or_b64 exec, exec, s[58:59]
	s_mov_b64 s[58:59], 0
	s_and_saveexec_b64 s[64:65], s[62:63]
	s_cbranch_execnz .LBB47_1422
	s_branch .LBB47_1423
.LBB47_1546:                            ;   in Loop: Header=BB47_17 Depth=1
	v_cmp_gt_i16_sdwa vcc, v7, v17 src0_sel:BYTE_0 src1_sel:DWORD
	s_mov_b64 s[64:65], 0
                                        ; implicit-def: $sgpr66_sgpr67
                                        ; implicit-def: $sgpr56_sgpr57
                                        ; implicit-def: $vgpr64
	s_and_saveexec_b64 s[54:55], vcc
	s_xor_b64 s[54:55], exec, s[54:55]
	s_cbranch_execz .LBB47_1578
; %bb.1547:                             ;   in Loop: Header=BB47_17 Depth=1
	v_cmp_gt_i16_sdwa vcc, v7, v18 src0_sel:BYTE_0 src1_sel:DWORD
                                        ; implicit-def: $sgpr66_sgpr67
                                        ; implicit-def: $sgpr68_sgpr69
                                        ; implicit-def: $vgpr64
	s_and_saveexec_b64 s[56:57], vcc
	s_xor_b64 s[56:57], exec, s[56:57]
	s_cbranch_execz .LBB47_1563
; %bb.1548:                             ;   in Loop: Header=BB47_17 Depth=1
	v_cmp_gt_i16_sdwa s[64:65], v7, v19 src0_sel:BYTE_0 src1_sel:DWORD
	s_mov_b64 s[70:71], 0
                                        ; implicit-def: $vcc
                                        ; implicit-def: $sgpr66_sgpr67
                                        ; implicit-def: $vgpr64
	s_and_saveexec_b64 s[68:69], s[64:65]
	s_xor_b64 s[64:65], exec, s[68:69]
	s_cbranch_execz .LBB47_1558
; %bb.1549:                             ;   in Loop: Header=BB47_17 Depth=1
	v_cmp_gt_i16_sdwa vcc, v7, v20 src0_sel:BYTE_0 src1_sel:DWORD
	s_mov_b64 s[68:69], 0
                                        ; implicit-def: $sgpr66_sgpr67
                                        ; implicit-def: $sgpr70_sgpr71
                                        ; implicit-def: $vgpr64
	s_and_saveexec_b64 s[72:73], vcc
	s_xor_b64 vcc, exec, s[72:73]
	s_cbranch_execz .LBB47_1553
; %bb.1550:                             ;   in Loop: Header=BB47_17 Depth=1
	v_cmp_eq_u16_sdwa s[72:73], v7, v21 src0_sel:BYTE_0 src1_sel:DWORD
	s_mov_b64 s[66:67], 0
                                        ; implicit-def: $vgpr64
	s_and_saveexec_b64 s[70:71], s[72:73]
	s_cbranch_execz .LBB47_1552
; %bb.1551:                             ;   in Loop: Header=BB47_17 Depth=1
	flat_load_dword v0, v[0:1]
	s_mov_b64 s[68:69], exec
	s_waitcnt vmcnt(0) lgkmcnt(0)
	v_lshlrev_b32_e32 v64, 16, v0
.LBB47_1552:                            ;   in Loop: Header=BB47_17 Depth=1
	s_or_b64 exec, exec, s[70:71]
	s_mov_b64 s[70:71], -1
	s_and_b64 s[68:69], s[68:69], exec
                                        ; implicit-def: $vgpr0_vgpr1
.LBB47_1553:                            ;   in Loop: Header=BB47_17 Depth=1
	s_andn2_saveexec_b64 s[72:73], vcc
	s_cbranch_execz .LBB47_1557
; %bb.1554:                             ;   in Loop: Header=BB47_17 Depth=1
	v_cmp_eq_u16_sdwa s[76:77], v7, v22 src0_sel:BYTE_0 src1_sel:DWORD
	s_mov_b64 vcc, s[68:69]
                                        ; implicit-def: $vgpr64
	s_and_saveexec_b64 s[74:75], s[76:77]
	s_cbranch_execz .LBB47_1556
; %bb.1555:                             ;   in Loop: Header=BB47_17 Depth=1
	flat_load_ubyte v0, v[0:1]
	s_movk_i32 vcc_lo, 0xff
	s_waitcnt vmcnt(0) lgkmcnt(0)
	v_lshlrev_b32_e32 v1, 23, v0
	v_cmp_ne_u32_e32 vcc, vcc_lo, v0
	v_cndmask_b32_e32 v1, v23, v1, vcc
	v_cmp_ne_u32_e32 vcc, 0, v0
	v_cndmask_b32_e32 v64, v24, v1, vcc
	s_or_b64 vcc, s[68:69], exec
.LBB47_1556:                            ;   in Loop: Header=BB47_17 Depth=1
	s_or_b64 exec, exec, s[74:75]
	s_andn2_b64 s[68:69], s[68:69], exec
	s_and_b64 vcc, vcc, exec
	s_andn2_b64 s[66:67], s[66:67], exec
	s_or_b64 s[70:71], s[70:71], exec
	s_or_b64 s[68:69], s[68:69], vcc
.LBB47_1557:                            ;   in Loop: Header=BB47_17 Depth=1
	s_or_b64 exec, exec, s[72:73]
	s_and_b64 s[66:67], s[66:67], exec
	s_and_b64 vcc, s[70:71], exec
	s_and_b64 s[70:71], s[68:69], exec
                                        ; implicit-def: $vgpr0_vgpr1
.LBB47_1558:                            ;   in Loop: Header=BB47_17 Depth=1
	s_andn2_saveexec_b64 s[64:65], s[64:65]
	s_cbranch_execz .LBB47_1562
; %bb.1559:                             ;   in Loop: Header=BB47_17 Depth=1
	v_cmp_eq_u16_sdwa s[74:75], v7, v25 src0_sel:BYTE_0 src1_sel:DWORD
	s_mov_b64 s[72:73], s[70:71]
                                        ; implicit-def: $vgpr64
	s_and_saveexec_b64 s[68:69], s[74:75]
	s_cbranch_execz .LBB47_1561
; %bb.1560:                             ;   in Loop: Header=BB47_17 Depth=1
	flat_load_dwordx2 v[0:1], v[0:1]
	s_or_b64 s[72:73], s[70:71], exec
	s_waitcnt vmcnt(0) lgkmcnt(0)
	v_ffbh_u32_e32 v55, v1
	v_min_u32_e32 v55, 32, v55
	s_waitcnt vmcnt(0) expcnt(0) lgkmcnt(0)
	v_swap_b32 v2, v55
	v_lshlrev_b64 v[0:1], v2, v[0:1]
	v_swap_b32 v55, v2
	v_min_u32_e32 v0, 1, v0
	v_or_b32_e32 v0, v1, v0
	v_cvt_f32_u32_e32 v0, v0
	v_sub_u32_e32 v1, 32, v55
	v_ldexp_f32 v64, v0, v1
.LBB47_1561:                            ;   in Loop: Header=BB47_17 Depth=1
	s_or_b64 exec, exec, s[68:69]
	s_andn2_b64 s[68:69], s[70:71], exec
	s_and_b64 s[70:71], s[72:73], exec
	s_andn2_b64 s[66:67], s[66:67], exec
	s_or_b64 vcc, vcc, exec
	s_or_b64 s[70:71], s[68:69], s[70:71]
.LBB47_1562:                            ;   in Loop: Header=BB47_17 Depth=1
	s_or_b64 exec, exec, s[64:65]
	s_and_b64 s[68:69], s[66:67], exec
	s_and_b64 s[66:67], vcc, exec
	s_and_b64 s[64:65], s[70:71], exec
                                        ; implicit-def: $vgpr0_vgpr1
.LBB47_1563:                            ;   in Loop: Header=BB47_17 Depth=1
	s_andn2_saveexec_b64 s[56:57], s[56:57]
	s_cbranch_execz .LBB47_1577
; %bb.1564:                             ;   in Loop: Header=BB47_17 Depth=1
	v_cmp_gt_i16_sdwa vcc, v7, v26 src0_sel:BYTE_0 src1_sel:DWORD
                                        ; implicit-def: $vgpr64
	s_and_saveexec_b64 s[70:71], vcc
	s_xor_b64 vcc, exec, s[70:71]
	s_cbranch_execz .LBB47_1570
; %bb.1565:                             ;   in Loop: Header=BB47_17 Depth=1
	v_cmp_gt_i16_sdwa s[70:71], v7, v27 src0_sel:BYTE_0 src1_sel:DWORD
                                        ; implicit-def: $vgpr64
	s_and_saveexec_b64 s[72:73], s[70:71]
	s_xor_b64 s[70:71], exec, s[72:73]
	s_cbranch_execz .LBB47_1567
; %bb.1566:                             ;   in Loop: Header=BB47_17 Depth=1
	flat_load_dword v0, v[0:1]
	s_waitcnt vmcnt(0) lgkmcnt(0)
	v_cvt_f32_u32_e32 v64, v0
                                        ; implicit-def: $vgpr0_vgpr1
.LBB47_1567:                            ;   in Loop: Header=BB47_17 Depth=1
	s_andn2_saveexec_b64 s[70:71], s[70:71]
	s_cbranch_execz .LBB47_1569
; %bb.1568:                             ;   in Loop: Header=BB47_17 Depth=1
	flat_load_ushort v0, v[0:1]
	s_waitcnt vmcnt(0) lgkmcnt(0)
	v_cvt_f32_u32_e32 v64, v0
.LBB47_1569:                            ;   in Loop: Header=BB47_17 Depth=1
	s_or_b64 exec, exec, s[70:71]
                                        ; implicit-def: $vgpr0_vgpr1
.LBB47_1570:                            ;   in Loop: Header=BB47_17 Depth=1
	s_andn2_saveexec_b64 s[70:71], vcc
	s_cbranch_execz .LBB47_1576
; %bb.1571:                             ;   in Loop: Header=BB47_17 Depth=1
	flat_load_ubyte v0, v[0:1]
	s_movk_i32 vcc_lo, 0x7f
	s_mov_b64 s[72:73], 0
                                        ; implicit-def: $sgpr78
	s_waitcnt vmcnt(0) lgkmcnt(0)
	v_cmp_lt_i16_e32 vcc, vcc_lo, v0
	s_and_saveexec_b64 s[74:75], vcc
	s_xor_b64 s[74:75], exec, s[74:75]
	s_cbranch_execnz .LBB47_2350
; %bb.1572:                             ;   in Loop: Header=BB47_17 Depth=1
	s_or_saveexec_b64 s[74:75], s[74:75]
	v_mov_b32_e32 v64, s78
	s_xor_b64 exec, exec, s[74:75]
	s_cbranch_execnz .LBB47_2353
.LBB47_1573:                            ;   in Loop: Header=BB47_17 Depth=1
	s_or_b64 exec, exec, s[74:75]
	s_and_saveexec_b64 s[74:75], s[72:73]
	s_cbranch_execz .LBB47_1575
.LBB47_1574:                            ;   in Loop: Header=BB47_17 Depth=1
	v_lshlrev_b32_e32 v1, 24, v0
	v_and_b32_e32 v0, 0xffff, v0
	v_and_b32_e32 v55, 7, v0
	v_ffbh_u32_e32 v65, v55
	v_min_u32_e32 v65, 32, v65
	v_subrev_u32_e32 v66, 28, v65
	v_bfe_u32 v64, v0, 3, 4
	v_lshlrev_b32_e32 v0, v66, v0
	v_sub_u32_e32 v65, 29, v65
	v_and_b32_e32 v0, 7, v0
	v_cmp_eq_u32_e32 vcc, 0, v64
	v_cndmask_b32_e32 v64, v64, v65, vcc
	v_cndmask_b32_e32 v0, v55, v0, vcc
	v_lshlrev_b32_e32 v0, 20, v0
	v_and_b32_e32 v1, 0x80000000, v1
	v_lshl_add_u32 v55, v64, 23, v28
	v_or3_b32 v64, v1, v55, v0
.LBB47_1575:                            ;   in Loop: Header=BB47_17 Depth=1
	s_or_b64 exec, exec, s[74:75]
.LBB47_1576:                            ;   in Loop: Header=BB47_17 Depth=1
	s_or_b64 exec, exec, s[70:71]
	s_andn2_b64 s[68:69], s[68:69], exec
	s_andn2_b64 s[66:67], s[66:67], exec
	s_or_b64 s[64:65], s[64:65], exec
.LBB47_1577:                            ;   in Loop: Header=BB47_17 Depth=1
	s_or_b64 exec, exec, s[56:57]
	s_and_b64 s[56:57], s[68:69], exec
	s_and_b64 s[66:67], s[66:67], exec
	;; [unrolled: 1-line block ×3, first 2 shown]
                                        ; implicit-def: $vgpr0_vgpr1
.LBB47_1578:                            ;   in Loop: Header=BB47_17 Depth=1
	s_andn2_saveexec_b64 s[54:55], s[54:55]
	s_cbranch_execz .LBB47_1604
; %bb.1579:                             ;   in Loop: Header=BB47_17 Depth=1
	v_cmp_gt_i16_sdwa vcc, v7, v29 src0_sel:BYTE_0 src1_sel:DWORD
	s_mov_b64 s[70:71], s[64:65]
                                        ; implicit-def: $vgpr64
	s_and_saveexec_b64 s[68:69], vcc
	s_xor_b64 s[68:69], exec, s[68:69]
	s_cbranch_execz .LBB47_1593
; %bb.1580:                             ;   in Loop: Header=BB47_17 Depth=1
	v_cmp_gt_i16_sdwa vcc, v7, v30 src0_sel:BYTE_0 src1_sel:DWORD
                                        ; implicit-def: $vgpr64
	s_and_saveexec_b64 s[70:71], vcc
	s_xor_b64 s[70:71], exec, s[70:71]
	s_cbranch_execz .LBB47_1590
; %bb.1581:                             ;   in Loop: Header=BB47_17 Depth=1
	v_cmp_gt_i16_sdwa vcc, v7, v31 src0_sel:BYTE_0 src1_sel:DWORD
                                        ; implicit-def: $vgpr64
	s_and_saveexec_b64 s[72:73], vcc
	s_xor_b64 s[72:73], exec, s[72:73]
	s_cbranch_execz .LBB47_1587
; %bb.1582:                             ;   in Loop: Header=BB47_17 Depth=1
	flat_load_ubyte v0, v[0:1]
	s_movk_i32 vcc_lo, 0x7f
	s_mov_b64 s[74:75], 0
                                        ; implicit-def: $sgpr80
	s_waitcnt vmcnt(0) lgkmcnt(0)
	v_cmp_lt_i16_e32 vcc, vcc_lo, v0
	s_and_saveexec_b64 s[76:77], vcc
	s_xor_b64 s[76:77], exec, s[76:77]
	s_cbranch_execnz .LBB47_2569
; %bb.1583:                             ;   in Loop: Header=BB47_17 Depth=1
	s_or_saveexec_b64 s[76:77], s[76:77]
	v_mov_b32_e32 v64, s80
	s_xor_b64 exec, exec, s[76:77]
	s_cbranch_execnz .LBB47_2572
.LBB47_1584:                            ;   in Loop: Header=BB47_17 Depth=1
	s_or_b64 exec, exec, s[76:77]
	s_and_saveexec_b64 s[76:77], s[74:75]
	s_cbranch_execz .LBB47_1586
.LBB47_1585:                            ;   in Loop: Header=BB47_17 Depth=1
	v_lshlrev_b32_e32 v1, 24, v0
	v_and_b32_e32 v0, 0xffff, v0
	v_and_b32_e32 v55, 3, v0
	v_ffbh_u32_e32 v65, v55
	v_min_u32_e32 v65, 32, v65
	v_subrev_u32_e32 v66, 29, v65
	v_bfe_u32 v64, v0, 2, 5
	v_lshlrev_b32_e32 v0, v66, v0
	v_sub_u32_e32 v65, 30, v65
	v_and_b32_e32 v0, 3, v0
	v_cmp_eq_u32_e32 vcc, 0, v64
	v_cndmask_b32_e32 v64, v64, v65, vcc
	v_cndmask_b32_e32 v0, v55, v0, vcc
	v_lshlrev_b32_e32 v0, 21, v0
	v_and_b32_e32 v1, 0x80000000, v1
	v_lshl_add_u32 v55, v64, 23, v32
	v_or3_b32 v64, v1, v55, v0
.LBB47_1586:                            ;   in Loop: Header=BB47_17 Depth=1
	s_or_b64 exec, exec, s[76:77]
                                        ; implicit-def: $vgpr0_vgpr1
.LBB47_1587:                            ;   in Loop: Header=BB47_17 Depth=1
	s_andn2_saveexec_b64 s[72:73], s[72:73]
	s_cbranch_execz .LBB47_1589
; %bb.1588:                             ;   in Loop: Header=BB47_17 Depth=1
	flat_load_ubyte v0, v[0:1]
	s_mov_b32 vcc_lo, 0x7f800000
	s_waitcnt vmcnt(0) lgkmcnt(0)
	v_lshlrev_b32_e32 v0, 24, v0
	v_and_b32_e32 v1, 0x7f000000, v0
	v_ffbh_u32_e32 v55, v1
	v_min_u32_e32 v55, 32, v55
	v_sub_u32_e64 v55, v55, 4 clamp
	v_lshlrev_b32_e32 v65, v55, v1
	v_lshlrev_b32_e32 v55, 23, v55
	v_lshrrev_b32_e32 v65, 4, v65
	v_add_u32_e32 v64, 0x1000000, v1
	v_sub_u32_e32 v55, v65, v55
	v_ashrrev_i32_e32 v64, 8, v64
	v_add_u32_e32 v55, 0x3c000000, v55
	v_and_or_b32 v55, v64, vcc_lo, v55
	v_cmp_ne_u32_e32 vcc, 0, v1
	v_cndmask_b32_e32 v1, 0, v55, vcc
	s_brev_b32 vcc_lo, 1
	v_and_or_b32 v64, v0, vcc_lo, v1
.LBB47_1589:                            ;   in Loop: Header=BB47_17 Depth=1
	s_or_b64 exec, exec, s[72:73]
                                        ; implicit-def: $vgpr0_vgpr1
.LBB47_1590:                            ;   in Loop: Header=BB47_17 Depth=1
	s_andn2_saveexec_b64 s[70:71], s[70:71]
	s_cbranch_execz .LBB47_1592
; %bb.1591:                             ;   in Loop: Header=BB47_17 Depth=1
	flat_load_ubyte v0, v[0:1]
	s_movk_i32 vcc_lo, 0x7f00
	s_waitcnt vmcnt(0) lgkmcnt(0)
	v_lshlrev_b16_e32 v1, 8, v0
	v_lshlrev_b32_e32 v0, 25, v0
	v_lshrrev_b32_e32 v55, 4, v0
	v_and_or_b32 v64, v1, vcc_lo, 0.5
	v_or_b32_e32 v55, 0x70000000, v55
	s_brev_b32 vcc_lo, 16
	v_add_f32_e32 v64, -0.5, v64
	v_mul_f32_e32 v55, 0x7800000, v55
	v_cmp_gt_u32_e32 vcc, vcc_lo, v0
	v_cndmask_b32_e32 v0, v55, v64, vcc
	v_bfe_i32 v1, v1, 0, 16
	s_brev_b32 vcc_lo, 1
	v_and_or_b32 v64, v1, vcc_lo, v0
.LBB47_1592:                            ;   in Loop: Header=BB47_17 Depth=1
	s_or_b64 exec, exec, s[70:71]
	s_or_b64 s[70:71], s[64:65], exec
                                        ; implicit-def: $vgpr0_vgpr1
.LBB47_1593:                            ;   in Loop: Header=BB47_17 Depth=1
	s_or_saveexec_b64 s[68:69], s[68:69]
                                        ; implicit-def: $vcc
                                        ; implicit-def: $sgpr76_sgpr77
	s_xor_b64 exec, exec, s[68:69]
	s_cbranch_execz .LBB47_1603
; %bb.1594:                             ;   in Loop: Header=BB47_17 Depth=1
	v_cmp_gt_i16_sdwa vcc, v7, v33 src0_sel:BYTE_0 src1_sel:DWORD
	s_mov_b64 s[74:75], s[70:71]
                                        ; implicit-def: $sgpr76_sgpr77
                                        ; implicit-def: $sgpr72_sgpr73
                                        ; implicit-def: $vgpr64
	s_and_saveexec_b64 s[78:79], vcc
	s_xor_b64 vcc, exec, s[78:79]
	s_cbranch_execz .LBB47_1598
; %bb.1595:                             ;   in Loop: Header=BB47_17 Depth=1
	v_cmp_eq_u16_sdwa s[76:77], v7, v34 src0_sel:BYTE_0 src1_sel:DWORD
	s_mov_b64 s[74:75], s[70:71]
                                        ; implicit-def: $vgpr64
	s_and_saveexec_b64 s[72:73], s[76:77]
	s_cbranch_execz .LBB47_1597
; %bb.1596:                             ;   in Loop: Header=BB47_17 Depth=1
	flat_load_ushort v0, v[0:1]
	s_or_b64 s[74:75], s[70:71], exec
	s_waitcnt vmcnt(0) lgkmcnt(0)
	v_lshlrev_b32_e32 v64, 16, v0
.LBB47_1597:                            ;   in Loop: Header=BB47_17 Depth=1
	s_or_b64 exec, exec, s[72:73]
	s_andn2_b64 s[78:79], s[70:71], exec
	s_and_b64 s[74:75], s[74:75], exec
	s_mov_b64 s[72:73], -1
	s_mov_b64 s[76:77], 0
	s_or_b64 s[74:75], s[78:79], s[74:75]
                                        ; implicit-def: $vgpr0_vgpr1
.LBB47_1598:                            ;   in Loop: Header=BB47_17 Depth=1
	s_andn2_saveexec_b64 s[78:79], vcc
	s_cbranch_execz .LBB47_1602
; %bb.1599:                             ;   in Loop: Header=BB47_17 Depth=1
	v_cmp_eq_u16_sdwa s[82:83], v7, v35 src0_sel:BYTE_0 src1_sel:DWORD
	s_mov_b64 vcc, s[74:75]
                                        ; implicit-def: $vgpr64
	s_and_saveexec_b64 s[80:81], s[82:83]
	s_cbranch_execz .LBB47_1601
; %bb.1600:                             ;   in Loop: Header=BB47_17 Depth=1
	flat_load_ubyte v0, v[0:1]
	s_waitcnt vmcnt(0) lgkmcnt(0)
	v_cmp_ne_u16_e32 vcc, 0, v0
	v_cndmask_b32_e64 v64, 0, 1.0, vcc
	s_or_b64 vcc, s[74:75], exec
.LBB47_1601:                            ;   in Loop: Header=BB47_17 Depth=1
	s_or_b64 exec, exec, s[80:81]
	s_andn2_b64 s[74:75], s[74:75], exec
	s_and_b64 vcc, vcc, exec
	s_andn2_b64 s[76:77], s[76:77], exec
	s_or_b64 s[72:73], s[72:73], exec
	s_or_b64 s[74:75], s[74:75], vcc
.LBB47_1602:                            ;   in Loop: Header=BB47_17 Depth=1
	s_or_b64 exec, exec, s[78:79]
	s_and_b64 vcc, s[72:73], exec
	s_andn2_b64 s[70:71], s[70:71], exec
	s_and_b64 s[72:73], s[74:75], exec
	s_and_b64 s[76:77], s[76:77], exec
	s_or_b64 s[70:71], s[70:71], s[72:73]
.LBB47_1603:                            ;   in Loop: Header=BB47_17 Depth=1
	s_or_b64 exec, exec, s[68:69]
	s_andn2_b64 s[66:67], s[66:67], exec
	s_and_b64 vcc, vcc, exec
	s_andn2_b64 s[56:57], s[56:57], exec
	s_and_b64 s[68:69], s[76:77], exec
	s_or_b64 s[66:67], s[66:67], vcc
	s_andn2_b64 vcc, s[64:65], exec
	s_and_b64 s[64:65], s[70:71], exec
	s_or_b64 s[56:57], s[56:57], s[68:69]
	s_or_b64 s[64:65], vcc, s[64:65]
.LBB47_1604:                            ;   in Loop: Header=BB47_17 Depth=1
	s_or_b64 exec, exec, s[54:55]
	s_and_b64 s[56:57], s[56:57], exec
	s_and_b64 s[54:55], s[66:67], exec
	s_and_b64 vcc, s[64:65], exec
                                        ; implicit-def: $vgpr0_vgpr1
	s_andn2_saveexec_b64 s[62:63], s[62:63]
	s_cbranch_execz .LBB47_1429
.LBB47_1605:                            ;   in Loop: Header=BB47_17 Depth=1
	v_cmp_gt_i16_sdwa s[64:65], v7, v36 src0_sel:BYTE_0 src1_sel:DWORD
                                        ; implicit-def: $vgpr64
	s_and_saveexec_b64 s[66:67], s[64:65]
	s_xor_b64 s[64:65], exec, s[66:67]
	s_cbranch_execz .LBB47_1627
; %bb.1606:                             ;   in Loop: Header=BB47_17 Depth=1
	v_cmp_gt_i16_sdwa s[66:67], v7, v37 src0_sel:BYTE_0 src1_sel:DWORD
                                        ; implicit-def: $vgpr64
	s_and_saveexec_b64 s[68:69], s[66:67]
	s_xor_b64 s[66:67], exec, s[68:69]
	s_cbranch_execz .LBB47_1616
; %bb.1607:                             ;   in Loop: Header=BB47_17 Depth=1
	;; [unrolled: 6-line block ×4, first 2 shown]
	flat_load_dwordx2 v[0:1], v[0:1]
	s_waitcnt vmcnt(0) lgkmcnt(0)
	v_cvt_f32_f64_e32 v64, v[0:1]
                                        ; implicit-def: $vgpr0_vgpr1
.LBB47_1610:                            ;   in Loop: Header=BB47_17 Depth=1
	s_andn2_saveexec_b64 s[70:71], s[70:71]
	s_cbranch_execz .LBB47_1612
; %bb.1611:                             ;   in Loop: Header=BB47_17 Depth=1
	flat_load_dword v64, v[0:1]
.LBB47_1612:                            ;   in Loop: Header=BB47_17 Depth=1
	s_or_b64 exec, exec, s[70:71]
                                        ; implicit-def: $vgpr0_vgpr1
.LBB47_1613:                            ;   in Loop: Header=BB47_17 Depth=1
	s_andn2_saveexec_b64 s[68:69], s[68:69]
	s_cbranch_execz .LBB47_1615
; %bb.1614:                             ;   in Loop: Header=BB47_17 Depth=1
	flat_load_dword v0, v[0:1]
	s_waitcnt vmcnt(0) lgkmcnt(0)
	v_cvt_f32_f16_e32 v64, v0
.LBB47_1615:                            ;   in Loop: Header=BB47_17 Depth=1
	s_or_b64 exec, exec, s[68:69]
                                        ; implicit-def: $vgpr0_vgpr1
.LBB47_1616:                            ;   in Loop: Header=BB47_17 Depth=1
	s_andn2_saveexec_b64 s[66:67], s[66:67]
	s_cbranch_execz .LBB47_1626
; %bb.1617:                             ;   in Loop: Header=BB47_17 Depth=1
	v_cmp_gt_i16_sdwa s[68:69], v7, v48 src0_sel:BYTE_0 src1_sel:DWORD
                                        ; implicit-def: $vgpr64
	s_and_saveexec_b64 s[70:71], s[68:69]
	s_xor_b64 s[68:69], exec, s[70:71]
	s_cbranch_execz .LBB47_1623
; %bb.1618:                             ;   in Loop: Header=BB47_17 Depth=1
	v_cmp_gt_i16_sdwa s[70:71], v7, v49 src0_sel:BYTE_0 src1_sel:DWORD
                                        ; implicit-def: $vgpr64
	s_and_saveexec_b64 s[72:73], s[70:71]
	s_xor_b64 s[70:71], exec, s[72:73]
	s_cbranch_execz .LBB47_1620
; %bb.1619:                             ;   in Loop: Header=BB47_17 Depth=1
	flat_load_dwordx2 v[0:1], v[0:1]
	s_waitcnt vmcnt(0) lgkmcnt(0)
	v_cvt_f32_f64_e32 v64, v[0:1]
                                        ; implicit-def: $vgpr0_vgpr1
.LBB47_1620:                            ;   in Loop: Header=BB47_17 Depth=1
	s_andn2_saveexec_b64 s[70:71], s[70:71]
	s_cbranch_execz .LBB47_1622
; %bb.1621:                             ;   in Loop: Header=BB47_17 Depth=1
	s_waitcnt vmcnt(0) lgkmcnt(0)
	flat_load_dword v64, v[0:1]
.LBB47_1622:                            ;   in Loop: Header=BB47_17 Depth=1
	s_or_b64 exec, exec, s[70:71]
                                        ; implicit-def: $vgpr0_vgpr1
.LBB47_1623:                            ;   in Loop: Header=BB47_17 Depth=1
	s_andn2_saveexec_b64 s[68:69], s[68:69]
	s_cbranch_execz .LBB47_1625
; %bb.1624:                             ;   in Loop: Header=BB47_17 Depth=1
	flat_load_ushort v0, v[0:1]
	s_waitcnt vmcnt(0) lgkmcnt(0)
	v_cvt_f32_f16_e32 v64, v0
.LBB47_1625:                            ;   in Loop: Header=BB47_17 Depth=1
	s_or_b64 exec, exec, s[68:69]
.LBB47_1626:                            ;   in Loop: Header=BB47_17 Depth=1
	s_or_b64 exec, exec, s[66:67]
                                        ; implicit-def: $vgpr0_vgpr1
.LBB47_1627:                            ;   in Loop: Header=BB47_17 Depth=1
	s_andn2_saveexec_b64 s[64:65], s[64:65]
	s_cbranch_execz .LBB47_1645
; %bb.1628:                             ;   in Loop: Header=BB47_17 Depth=1
	v_cmp_gt_i16_sdwa s[66:67], v7, v50 src0_sel:BYTE_0 src1_sel:DWORD
                                        ; implicit-def: $vgpr64
	s_and_saveexec_b64 s[68:69], s[66:67]
	s_xor_b64 s[66:67], exec, s[68:69]
	s_cbranch_execz .LBB47_1638
; %bb.1629:                             ;   in Loop: Header=BB47_17 Depth=1
	v_cmp_gt_i16_sdwa s[68:69], v7, v51 src0_sel:BYTE_0 src1_sel:DWORD
                                        ; implicit-def: $vgpr64
	s_and_saveexec_b64 s[70:71], s[68:69]
	s_xor_b64 s[68:69], exec, s[70:71]
	;; [unrolled: 6-line block ×3, first 2 shown]
	s_cbranch_execz .LBB47_1632
; %bb.1631:                             ;   in Loop: Header=BB47_17 Depth=1
	flat_load_dwordx2 v[0:1], v[0:1]
	s_waitcnt vmcnt(0) lgkmcnt(0)
	v_xor_b32_e32 v64, v0, v1
	v_ffbh_i32_e32 v55, v1
	v_ashrrev_i32_e32 v64, 31, v64
	v_add_u32_e32 v55, -1, v55
	v_add_u32_e32 v64, 32, v64
	v_min_u32_e32 v55, v55, v64
	s_waitcnt vmcnt(0) expcnt(0) lgkmcnt(0)
	v_swap_b32 v2, v55
	v_lshlrev_b64 v[0:1], v2, v[0:1]
	v_swap_b32 v55, v2
	v_min_u32_e32 v0, 1, v0
	v_or_b32_e32 v0, v1, v0
	v_cvt_f32_i32_e32 v0, v0
	v_sub_u32_e32 v1, 32, v55
	v_ldexp_f32 v64, v0, v1
                                        ; implicit-def: $vgpr0_vgpr1
.LBB47_1632:                            ;   in Loop: Header=BB47_17 Depth=1
	s_andn2_saveexec_b64 s[70:71], s[70:71]
	s_cbranch_execz .LBB47_1634
; %bb.1633:                             ;   in Loop: Header=BB47_17 Depth=1
	flat_load_dword v0, v[0:1]
	s_waitcnt vmcnt(0) lgkmcnt(0)
	v_cvt_f32_i32_e32 v64, v0
.LBB47_1634:                            ;   in Loop: Header=BB47_17 Depth=1
	s_or_b64 exec, exec, s[70:71]
                                        ; implicit-def: $vgpr0_vgpr1
.LBB47_1635:                            ;   in Loop: Header=BB47_17 Depth=1
	s_andn2_saveexec_b64 s[68:69], s[68:69]
	s_cbranch_execz .LBB47_1637
; %bb.1636:                             ;   in Loop: Header=BB47_17 Depth=1
	flat_load_sshort v0, v[0:1]
	s_waitcnt vmcnt(0) lgkmcnt(0)
	v_cvt_f32_i32_e32 v64, v0
.LBB47_1637:                            ;   in Loop: Header=BB47_17 Depth=1
	s_or_b64 exec, exec, s[68:69]
                                        ; implicit-def: $vgpr0_vgpr1
.LBB47_1638:                            ;   in Loop: Header=BB47_17 Depth=1
	s_andn2_saveexec_b64 s[66:67], s[66:67]
	s_cbranch_execz .LBB47_1644
; %bb.1639:                             ;   in Loop: Header=BB47_17 Depth=1
	v_cmp_gt_i16_sdwa s[68:69], v7, v14 src0_sel:BYTE_0 src1_sel:DWORD
                                        ; implicit-def: $vgpr64
	s_and_saveexec_b64 s[70:71], s[68:69]
	s_xor_b64 s[68:69], exec, s[70:71]
	s_cbranch_execz .LBB47_1641
; %bb.1640:                             ;   in Loop: Header=BB47_17 Depth=1
	flat_load_sbyte v0, v[0:1]
	s_waitcnt vmcnt(0) lgkmcnt(0)
	v_cvt_f32_i32_e32 v64, v0
                                        ; implicit-def: $vgpr0_vgpr1
.LBB47_1641:                            ;   in Loop: Header=BB47_17 Depth=1
	s_andn2_saveexec_b64 s[68:69], s[68:69]
	s_cbranch_execz .LBB47_1643
; %bb.1642:                             ;   in Loop: Header=BB47_17 Depth=1
	flat_load_ubyte v0, v[0:1]
	s_waitcnt vmcnt(0) lgkmcnt(0)
	v_cvt_f32_ubyte0_e32 v64, v0
.LBB47_1643:                            ;   in Loop: Header=BB47_17 Depth=1
	s_or_b64 exec, exec, s[68:69]
.LBB47_1644:                            ;   in Loop: Header=BB47_17 Depth=1
	s_or_b64 exec, exec, s[66:67]
.LBB47_1645:                            ;   in Loop: Header=BB47_17 Depth=1
	s_or_b64 exec, exec, s[64:65]
	s_andn2_b64 s[56:57], s[56:57], exec
	s_andn2_b64 s[54:55], s[54:55], exec
	s_or_b64 vcc, vcc, exec
	s_or_b64 exec, exec, s[62:63]
	s_mov_b64 s[64:65], 0
	s_and_saveexec_b64 s[62:63], vcc
	s_cbranch_execz .LBB47_1651
.LBB47_1646:                            ;   in Loop: Header=BB47_17 Depth=1
	v_mul_lo_u32 v0, v54, v10
	v_readlane_b32 s64, v44, 0
	v_add_co_u32_e32 v0, vcc, v4, v0
	v_add_u32_e32 v55, s64, v15
	v_addc_co_u32_e32 v1, vcc, 0, v5, vcc
	v_cmp_gt_i16_sdwa s[64:65], v8, v16 src0_sel:BYTE_0 src1_sel:DWORD
	s_mov_b64 s[68:69], 0
	s_waitcnt vmcnt(0) lgkmcnt(0)
	buffer_store_dword v64, v55, s[0:3], 0 offen offset:60
                                        ; implicit-def: $vcc
                                        ; implicit-def: $sgpr66_sgpr67
                                        ; implicit-def: $vgpr54
	s_and_saveexec_b64 s[70:71], s[64:65]
	s_xor_b64 s[64:65], exec, s[70:71]
	s_cbranch_execnz .LBB47_1673
; %bb.1647:                             ;   in Loop: Header=BB47_17 Depth=1
	s_andn2_saveexec_b64 s[64:65], s[64:65]
	s_cbranch_execnz .LBB47_1732
.LBB47_1648:                            ;   in Loop: Header=BB47_17 Depth=1
	s_or_b64 exec, exec, s[64:65]
	s_mov_b64 s[64:65], 0
	s_and_saveexec_b64 s[70:71], s[68:69]
	s_cbranch_execz .LBB47_1650
.LBB47_1649:                            ;   in Loop: Header=BB47_17 Depth=1
	s_mov_b64 s[64:65], exec
	v_add_u32_e32 v53, 0x200, v53
	s_andn2_b64 s[66:67], s[66:67], exec
	s_andn2_b64 vcc, vcc, exec
	s_waitcnt vmcnt(0) lgkmcnt(0)
	buffer_store_dword v54, v55, s[0:3], 0 offen offset:56
.LBB47_1650:                            ;   in Loop: Header=BB47_17 Depth=1
	s_or_b64 exec, exec, s[70:71]
	s_andn2_b64 s[56:57], s[56:57], exec
	s_and_b64 s[66:67], s[66:67], exec
	s_andn2_b64 s[54:55], s[54:55], exec
	s_and_b64 vcc, vcc, exec
	s_or_b64 s[56:57], s[56:57], s[66:67]
	s_or_b64 s[54:55], s[54:55], vcc
	s_and_b64 s[64:65], s[64:65], exec
.LBB47_1651:                            ;   in Loop: Header=BB47_17 Depth=1
	s_or_b64 exec, exec, s[62:63]
	s_and_b64 s[56:57], s[56:57], exec
	s_and_b64 s[54:55], s[54:55], exec
	s_orn2_b64 s[62:63], s[64:65], exec
.LBB47_1652:                            ;   in Loop: Header=BB47_17 Depth=1
	s_or_b64 exec, exec, s[58:59]
	s_and_saveexec_b64 s[58:59], s[62:63]
	s_cbranch_execz .LBB47_9
; %bb.1653:                             ;   in Loop: Header=BB47_17 Depth=1
	v_cmp_lt_i32_e32 vcc, v53, v6
	s_mov_b64 s[66:67], -1
	s_mov_b64 s[68:69], -1
                                        ; implicit-def: $sgpr60_sgpr61
                                        ; implicit-def: $sgpr62_sgpr63
                                        ; kill: killed $sgpr62_sgpr63
	s_and_saveexec_b64 s[64:65], vcc
	s_cbranch_execz .LBB47_1879
; %bb.1654:                             ;   in Loop: Header=BB47_17 Depth=1
	v_readlane_b32 vcc_lo, v44, 1
	s_waitcnt vmcnt(0) lgkmcnt(0)
	v_add_u32_e32 v54, vcc_lo, v53
	v_mul_lo_u32 v0, v54, v9
	v_add_co_u32_e32 v0, vcc, v2, v0
	v_addc_co_u32_e32 v1, vcc, 0, v3, vcc
	v_cmp_gt_i16_sdwa s[68:69], v7, v16 src0_sel:BYTE_0 src1_sel:DWORD
	s_mov_b64 vcc, 0
                                        ; implicit-def: $sgpr60_sgpr61
                                        ; implicit-def: $sgpr62_sgpr63
                                        ; implicit-def: $vgpr64
	s_and_saveexec_b64 s[70:71], s[68:69]
	s_xor_b64 s[68:69], exec, s[70:71]
	s_cbranch_execnz .LBB47_1773
; %bb.1655:                             ;   in Loop: Header=BB47_17 Depth=1
	s_andn2_saveexec_b64 s[68:69], s[68:69]
	s_cbranch_execnz .LBB47_1832
.LBB47_1656:                            ;   in Loop: Header=BB47_17 Depth=1
	s_or_b64 exec, exec, s[68:69]
	s_mov_b64 s[70:71], 0
	s_and_saveexec_b64 s[68:69], vcc
	s_cbranch_execnz .LBB47_1873
	s_branch .LBB47_1878
.LBB47_1657:                            ;   in Loop: Header=BB47_17 Depth=1
	s_movk_i32 vcc_lo, 0x80
	v_cmp_eq_u16_e32 vcc, vcc_lo, v0
	s_mov_b64 s[50:51], -1
                                        ; implicit-def: $sgpr56
	s_and_saveexec_b64 s[54:55], vcc
; %bb.1658:                             ;   in Loop: Header=BB47_17 Depth=1
	s_mov_b32 s56, 0x7f800001
	s_xor_b64 s[50:51], exec, -1
; %bb.1659:                             ;   in Loop: Header=BB47_17 Depth=1
	s_or_b64 exec, exec, s[54:55]
	s_and_b64 s[50:51], s[50:51], exec
	s_or_saveexec_b64 s[52:53], s[52:53]
	v_mov_b32_e32 v54, s56
	s_xor_b64 exec, exec, s[52:53]
	s_cbranch_execz .LBB47_592
.LBB47_1660:                            ;   in Loop: Header=BB47_17 Depth=1
	v_cmp_ne_u16_e32 vcc, 0, v0
	s_andn2_b64 s[50:51], s[50:51], exec
	s_and_b64 vcc, vcc, exec
	v_mov_b32_e32 v54, 0
	s_or_b64 s[50:51], s[50:51], vcc
	s_or_b64 exec, exec, s[52:53]
	s_and_saveexec_b64 s[52:53], s[50:51]
	s_cbranch_execnz .LBB47_593
	s_branch .LBB47_594
.LBB47_1661:                            ;   in Loop: Header=BB47_17 Depth=1
	s_movk_i32 vcc_lo, 0x80
	v_cmp_eq_u16_e32 vcc, vcc_lo, v0
	s_mov_b64 s[50:51], -1
                                        ; implicit-def: $sgpr56
	s_and_saveexec_b64 s[54:55], vcc
; %bb.1662:                             ;   in Loop: Header=BB47_17 Depth=1
	s_mov_b32 s56, 0x7f800001
	s_xor_b64 s[50:51], exec, -1
; %bb.1663:                             ;   in Loop: Header=BB47_17 Depth=1
	s_or_b64 exec, exec, s[54:55]
	s_and_b64 s[50:51], s[50:51], exec
	s_or_saveexec_b64 s[52:53], s[52:53]
	v_mov_b32_e32 v64, s56
	s_xor_b64 exec, exec, s[52:53]
	s_cbranch_execz .LBB47_692
.LBB47_1664:                            ;   in Loop: Header=BB47_17 Depth=1
	v_cmp_ne_u16_e32 vcc, 0, v0
	s_andn2_b64 s[50:51], s[50:51], exec
	s_and_b64 vcc, vcc, exec
	v_mov_b32_e32 v64, 0
	s_or_b64 s[50:51], s[50:51], vcc
	s_or_b64 exec, exec, s[52:53]
	s_and_saveexec_b64 s[52:53], s[50:51]
	s_cbranch_execnz .LBB47_693
	s_branch .LBB47_694
.LBB47_1665:                            ;   in Loop: Header=BB47_17 Depth=1
	s_movk_i32 vcc_lo, 0x80
	v_cmp_eq_u16_e32 vcc, vcc_lo, v0
	s_mov_b64 s[54:55], -1
                                        ; implicit-def: $sgpr60
	s_and_saveexec_b64 s[58:59], vcc
; %bb.1666:                             ;   in Loop: Header=BB47_17 Depth=1
	s_mov_b32 s60, 0x7f800001
	s_xor_b64 s[54:55], exec, -1
; %bb.1667:                             ;   in Loop: Header=BB47_17 Depth=1
	s_or_b64 exec, exec, s[58:59]
	s_and_b64 s[54:55], s[54:55], exec
	s_or_saveexec_b64 s[56:57], s[56:57]
	v_mov_b32_e32 v54, s60
	s_xor_b64 exec, exec, s[56:57]
	s_cbranch_execz .LBB47_796
.LBB47_1668:                            ;   in Loop: Header=BB47_17 Depth=1
	v_cmp_ne_u16_e32 vcc, 0, v0
	s_andn2_b64 s[54:55], s[54:55], exec
	s_and_b64 vcc, vcc, exec
	v_mov_b32_e32 v54, 0
	s_or_b64 s[54:55], s[54:55], vcc
	s_or_b64 exec, exec, s[56:57]
	s_and_saveexec_b64 s[56:57], s[54:55]
	s_cbranch_execnz .LBB47_797
	s_branch .LBB47_798
.LBB47_1669:                            ;   in Loop: Header=BB47_17 Depth=1
	s_movk_i32 vcc_lo, 0x80
	v_cmp_eq_u16_e32 vcc, vcc_lo, v0
	s_mov_b64 s[54:55], -1
                                        ; implicit-def: $sgpr60
	s_and_saveexec_b64 s[58:59], vcc
; %bb.1670:                             ;   in Loop: Header=BB47_17 Depth=1
	s_mov_b32 s60, 0x7f800001
	s_xor_b64 s[54:55], exec, -1
; %bb.1671:                             ;   in Loop: Header=BB47_17 Depth=1
	s_or_b64 exec, exec, s[58:59]
	s_and_b64 s[54:55], s[54:55], exec
	s_or_saveexec_b64 s[56:57], s[56:57]
	v_mov_b32_e32 v64, s60
	s_xor_b64 exec, exec, s[56:57]
	s_cbranch_execz .LBB47_896
.LBB47_1672:                            ;   in Loop: Header=BB47_17 Depth=1
	v_cmp_ne_u16_e32 vcc, 0, v0
	s_andn2_b64 s[54:55], s[54:55], exec
	s_and_b64 vcc, vcc, exec
	v_mov_b32_e32 v64, 0
	s_or_b64 s[54:55], s[54:55], vcc
	s_or_b64 exec, exec, s[56:57]
	s_and_saveexec_b64 s[56:57], s[54:55]
	s_cbranch_execnz .LBB47_897
	s_branch .LBB47_898
.LBB47_1673:                            ;   in Loop: Header=BB47_17 Depth=1
	v_cmp_gt_i16_sdwa vcc, v8, v17 src0_sel:BYTE_0 src1_sel:DWORD
                                        ; implicit-def: $sgpr70_sgpr71
                                        ; implicit-def: $sgpr72_sgpr73
                                        ; implicit-def: $vgpr54
	s_and_saveexec_b64 s[66:67], vcc
	s_xor_b64 s[66:67], exec, s[66:67]
	s_cbranch_execz .LBB47_1705
; %bb.1674:                             ;   in Loop: Header=BB47_17 Depth=1
	v_cmp_gt_i16_sdwa vcc, v8, v18 src0_sel:BYTE_0 src1_sel:DWORD
                                        ; implicit-def: $sgpr70_sgpr71
                                        ; implicit-def: $sgpr74_sgpr75
                                        ; implicit-def: $vgpr54
	s_and_saveexec_b64 s[72:73], vcc
	s_xor_b64 s[72:73], exec, s[72:73]
	s_cbranch_execz .LBB47_1690
; %bb.1675:                             ;   in Loop: Header=BB47_17 Depth=1
	v_cmp_gt_i16_sdwa s[68:69], v8, v19 src0_sel:BYTE_0 src1_sel:DWORD
	s_mov_b64 s[76:77], 0
                                        ; implicit-def: $vcc
                                        ; implicit-def: $sgpr74_sgpr75
                                        ; implicit-def: $vgpr54
	s_and_saveexec_b64 s[70:71], s[68:69]
	s_xor_b64 s[68:69], exec, s[70:71]
	s_cbranch_execz .LBB47_1685
; %bb.1676:                             ;   in Loop: Header=BB47_17 Depth=1
	v_cmp_gt_i16_sdwa vcc, v8, v20 src0_sel:BYTE_0 src1_sel:DWORD
                                        ; implicit-def: $sgpr74_sgpr75
                                        ; implicit-def: $sgpr70_sgpr71
                                        ; implicit-def: $vgpr54
	s_and_saveexec_b64 s[78:79], vcc
	s_xor_b64 vcc, exec, s[78:79]
	s_cbranch_execz .LBB47_1680
; %bb.1677:                             ;   in Loop: Header=BB47_17 Depth=1
	v_cmp_eq_u16_sdwa s[78:79], v8, v21 src0_sel:BYTE_0 src1_sel:DWORD
	s_mov_b64 s[70:71], 0
                                        ; implicit-def: $vgpr54
	s_and_saveexec_b64 s[74:75], s[78:79]
	s_cbranch_execz .LBB47_1679
; %bb.1678:                             ;   in Loop: Header=BB47_17 Depth=1
	flat_load_dword v0, v[0:1]
	s_mov_b64 s[76:77], exec
	s_waitcnt vmcnt(0) lgkmcnt(0)
	v_lshlrev_b32_e32 v54, 16, v0
.LBB47_1679:                            ;   in Loop: Header=BB47_17 Depth=1
	s_or_b64 exec, exec, s[74:75]
	s_mov_b64 s[74:75], -1
	s_and_b64 s[76:77], s[76:77], exec
                                        ; implicit-def: $vgpr0_vgpr1
.LBB47_1680:                            ;   in Loop: Header=BB47_17 Depth=1
	s_andn2_saveexec_b64 s[78:79], vcc
	s_cbranch_execz .LBB47_1684
; %bb.1681:                             ;   in Loop: Header=BB47_17 Depth=1
	v_cmp_eq_u16_sdwa s[82:83], v8, v22 src0_sel:BYTE_0 src1_sel:DWORD
	s_mov_b64 vcc, s[76:77]
                                        ; implicit-def: $vgpr54
	s_and_saveexec_b64 s[80:81], s[82:83]
	s_cbranch_execz .LBB47_1683
; %bb.1682:                             ;   in Loop: Header=BB47_17 Depth=1
	flat_load_ubyte v0, v[0:1]
	s_movk_i32 vcc_lo, 0xff
	s_waitcnt vmcnt(0) lgkmcnt(0)
	v_lshlrev_b32_e32 v1, 23, v0
	v_cmp_ne_u32_e32 vcc, vcc_lo, v0
	v_cndmask_b32_e32 v1, v23, v1, vcc
	v_cmp_ne_u32_e32 vcc, 0, v0
	v_cndmask_b32_e32 v54, v24, v1, vcc
	s_or_b64 vcc, s[76:77], exec
.LBB47_1683:                            ;   in Loop: Header=BB47_17 Depth=1
	s_or_b64 exec, exec, s[80:81]
	s_andn2_b64 s[76:77], s[76:77], exec
	s_and_b64 vcc, vcc, exec
	s_or_b64 s[74:75], s[74:75], exec
	s_andn2_b64 s[70:71], s[70:71], exec
	s_or_b64 s[76:77], s[76:77], vcc
.LBB47_1684:                            ;   in Loop: Header=BB47_17 Depth=1
	s_or_b64 exec, exec, s[78:79]
	s_and_b64 s[74:75], s[74:75], exec
	s_and_b64 vcc, s[70:71], exec
	s_and_b64 s[76:77], s[76:77], exec
                                        ; implicit-def: $vgpr0_vgpr1
.LBB47_1685:                            ;   in Loop: Header=BB47_17 Depth=1
	s_andn2_saveexec_b64 s[68:69], s[68:69]
	s_cbranch_execz .LBB47_1689
; %bb.1686:                             ;   in Loop: Header=BB47_17 Depth=1
	v_cmp_eq_u16_sdwa s[80:81], v8, v25 src0_sel:BYTE_0 src1_sel:DWORD
	s_mov_b64 s[78:79], s[76:77]
                                        ; implicit-def: $vgpr54
	s_and_saveexec_b64 s[70:71], s[80:81]
	s_cbranch_execz .LBB47_1688
; %bb.1687:                             ;   in Loop: Header=BB47_17 Depth=1
	flat_load_dwordx2 v[0:1], v[0:1]
	s_or_b64 s[78:79], s[76:77], exec
	s_waitcnt vmcnt(0) lgkmcnt(0)
	v_ffbh_u32_e32 v54, v1
	v_min_u32_e32 v54, 32, v54
	v_lshlrev_b64 v[0:1], v54, v[0:1]
	v_min_u32_e32 v0, 1, v0
	v_or_b32_e32 v0, v1, v0
	v_cvt_f32_u32_e32 v0, v0
	v_sub_u32_e32 v1, 32, v54
	v_ldexp_f32 v54, v0, v1
.LBB47_1688:                            ;   in Loop: Header=BB47_17 Depth=1
	s_or_b64 exec, exec, s[70:71]
	s_andn2_b64 s[70:71], s[76:77], exec
	s_and_b64 s[76:77], s[78:79], exec
	s_or_b64 s[74:75], s[74:75], exec
	s_andn2_b64 vcc, vcc, exec
	s_or_b64 s[76:77], s[70:71], s[76:77]
.LBB47_1689:                            ;   in Loop: Header=BB47_17 Depth=1
	s_or_b64 exec, exec, s[68:69]
	s_and_b64 s[74:75], s[74:75], exec
	s_and_b64 s[70:71], vcc, exec
	s_and_b64 s[68:69], s[76:77], exec
                                        ; implicit-def: $vgpr0_vgpr1
.LBB47_1690:                            ;   in Loop: Header=BB47_17 Depth=1
	s_andn2_saveexec_b64 s[72:73], s[72:73]
	s_cbranch_execz .LBB47_1704
; %bb.1691:                             ;   in Loop: Header=BB47_17 Depth=1
	v_cmp_gt_i16_sdwa vcc, v8, v26 src0_sel:BYTE_0 src1_sel:DWORD
                                        ; implicit-def: $vgpr54
	s_and_saveexec_b64 s[76:77], vcc
	s_xor_b64 vcc, exec, s[76:77]
	s_cbranch_execz .LBB47_1697
; %bb.1692:                             ;   in Loop: Header=BB47_17 Depth=1
	v_cmp_gt_i16_sdwa s[76:77], v8, v27 src0_sel:BYTE_0 src1_sel:DWORD
                                        ; implicit-def: $vgpr54
	s_and_saveexec_b64 s[78:79], s[76:77]
	s_xor_b64 s[76:77], exec, s[78:79]
	s_cbranch_execz .LBB47_1694
; %bb.1693:                             ;   in Loop: Header=BB47_17 Depth=1
	flat_load_dword v0, v[0:1]
	s_waitcnt vmcnt(0) lgkmcnt(0)
	v_cvt_f32_u32_e32 v54, v0
                                        ; implicit-def: $vgpr0_vgpr1
.LBB47_1694:                            ;   in Loop: Header=BB47_17 Depth=1
	s_andn2_saveexec_b64 s[76:77], s[76:77]
	s_cbranch_execz .LBB47_1696
; %bb.1695:                             ;   in Loop: Header=BB47_17 Depth=1
	flat_load_ushort v0, v[0:1]
	s_waitcnt vmcnt(0) lgkmcnt(0)
	v_cvt_f32_u32_e32 v54, v0
.LBB47_1696:                            ;   in Loop: Header=BB47_17 Depth=1
	s_or_b64 exec, exec, s[76:77]
                                        ; implicit-def: $vgpr0_vgpr1
.LBB47_1697:                            ;   in Loop: Header=BB47_17 Depth=1
	s_andn2_saveexec_b64 s[76:77], vcc
	s_cbranch_execz .LBB47_1703
; %bb.1698:                             ;   in Loop: Header=BB47_17 Depth=1
	flat_load_ubyte v0, v[0:1]
	s_movk_i32 vcc_lo, 0x7f
	s_mov_b64 s[78:79], 0
                                        ; implicit-def: $sgpr84
	s_waitcnt vmcnt(0) lgkmcnt(0)
	v_cmp_lt_i16_e32 vcc, vcc_lo, v0
	s_and_saveexec_b64 s[80:81], vcc
	s_xor_b64 s[80:81], exec, s[80:81]
	s_cbranch_execnz .LBB47_2573
; %bb.1699:                             ;   in Loop: Header=BB47_17 Depth=1
	s_or_saveexec_b64 s[80:81], s[80:81]
	v_mov_b32_e32 v54, s84
	s_xor_b64 exec, exec, s[80:81]
	s_cbranch_execnz .LBB47_2576
.LBB47_1700:                            ;   in Loop: Header=BB47_17 Depth=1
	s_or_b64 exec, exec, s[80:81]
	s_and_saveexec_b64 s[80:81], s[78:79]
	s_cbranch_execz .LBB47_1702
.LBB47_1701:                            ;   in Loop: Header=BB47_17 Depth=1
	v_lshlrev_b32_e32 v1, 24, v0
	v_and_b32_e32 v0, 0xffff, v0
	v_and_b32_e32 v54, 7, v0
	v_ffbh_u32_e32 v65, v54
	v_min_u32_e32 v65, 32, v65
	v_subrev_u32_e32 v66, 28, v65
	v_bfe_u32 v64, v0, 3, 4
	v_lshlrev_b32_e32 v0, v66, v0
	v_sub_u32_e32 v65, 29, v65
	v_and_b32_e32 v0, 7, v0
	v_cmp_eq_u32_e32 vcc, 0, v64
	v_cndmask_b32_e32 v64, v64, v65, vcc
	v_cndmask_b32_e32 v0, v54, v0, vcc
	v_lshlrev_b32_e32 v0, 20, v0
	v_and_b32_e32 v1, 0x80000000, v1
	v_lshl_add_u32 v54, v64, 23, v28
	v_or3_b32 v54, v1, v54, v0
.LBB47_1702:                            ;   in Loop: Header=BB47_17 Depth=1
	s_or_b64 exec, exec, s[80:81]
.LBB47_1703:                            ;   in Loop: Header=BB47_17 Depth=1
	s_or_b64 exec, exec, s[76:77]
	s_andn2_b64 s[74:75], s[74:75], exec
	s_andn2_b64 s[70:71], s[70:71], exec
	s_or_b64 s[68:69], s[68:69], exec
.LBB47_1704:                            ;   in Loop: Header=BB47_17 Depth=1
	s_or_b64 exec, exec, s[72:73]
	s_and_b64 s[72:73], s[74:75], exec
	s_and_b64 s[70:71], s[70:71], exec
	;; [unrolled: 1-line block ×3, first 2 shown]
                                        ; implicit-def: $vgpr0_vgpr1
.LBB47_1705:                            ;   in Loop: Header=BB47_17 Depth=1
	s_andn2_saveexec_b64 s[66:67], s[66:67]
	s_cbranch_execz .LBB47_1731
; %bb.1706:                             ;   in Loop: Header=BB47_17 Depth=1
	v_cmp_gt_i16_sdwa vcc, v8, v29 src0_sel:BYTE_0 src1_sel:DWORD
	s_mov_b64 s[76:77], s[68:69]
                                        ; implicit-def: $vgpr54
	s_and_saveexec_b64 s[74:75], vcc
	s_xor_b64 s[74:75], exec, s[74:75]
	s_cbranch_execz .LBB47_1720
; %bb.1707:                             ;   in Loop: Header=BB47_17 Depth=1
	v_cmp_gt_i16_sdwa vcc, v8, v30 src0_sel:BYTE_0 src1_sel:DWORD
                                        ; implicit-def: $vgpr54
	s_and_saveexec_b64 s[76:77], vcc
	s_xor_b64 s[76:77], exec, s[76:77]
	s_cbranch_execz .LBB47_1717
; %bb.1708:                             ;   in Loop: Header=BB47_17 Depth=1
	v_cmp_gt_i16_sdwa vcc, v8, v31 src0_sel:BYTE_0 src1_sel:DWORD
                                        ; implicit-def: $vgpr54
	s_and_saveexec_b64 s[78:79], vcc
	s_xor_b64 s[78:79], exec, s[78:79]
	s_cbranch_execz .LBB47_1714
; %bb.1709:                             ;   in Loop: Header=BB47_17 Depth=1
	flat_load_ubyte v0, v[0:1]
	s_movk_i32 vcc_lo, 0x7f
	s_mov_b64 s[80:81], 0
                                        ; implicit-def: $sgpr86
	s_waitcnt vmcnt(0) lgkmcnt(0)
	v_cmp_lt_i16_e32 vcc, vcc_lo, v0
	s_and_saveexec_b64 s[82:83], vcc
	s_xor_b64 s[82:83], exec, s[82:83]
	s_cbranch_execnz .LBB47_2892
; %bb.1710:                             ;   in Loop: Header=BB47_17 Depth=1
	s_or_saveexec_b64 s[82:83], s[82:83]
	v_mov_b32_e32 v54, s86
	s_xor_b64 exec, exec, s[82:83]
	s_cbranch_execnz .LBB47_2895
.LBB47_1711:                            ;   in Loop: Header=BB47_17 Depth=1
	s_or_b64 exec, exec, s[82:83]
	s_and_saveexec_b64 s[82:83], s[80:81]
	s_cbranch_execz .LBB47_1713
.LBB47_1712:                            ;   in Loop: Header=BB47_17 Depth=1
	v_lshlrev_b32_e32 v1, 24, v0
	v_and_b32_e32 v0, 0xffff, v0
	v_and_b32_e32 v54, 3, v0
	v_ffbh_u32_e32 v65, v54
	v_min_u32_e32 v65, 32, v65
	v_subrev_u32_e32 v66, 29, v65
	v_bfe_u32 v64, v0, 2, 5
	v_lshlrev_b32_e32 v0, v66, v0
	v_sub_u32_e32 v65, 30, v65
	v_and_b32_e32 v0, 3, v0
	v_cmp_eq_u32_e32 vcc, 0, v64
	v_cndmask_b32_e32 v64, v64, v65, vcc
	v_cndmask_b32_e32 v0, v54, v0, vcc
	v_lshlrev_b32_e32 v0, 21, v0
	v_and_b32_e32 v1, 0x80000000, v1
	v_lshl_add_u32 v54, v64, 23, v32
	v_or3_b32 v54, v1, v54, v0
.LBB47_1713:                            ;   in Loop: Header=BB47_17 Depth=1
	s_or_b64 exec, exec, s[82:83]
                                        ; implicit-def: $vgpr0_vgpr1
.LBB47_1714:                            ;   in Loop: Header=BB47_17 Depth=1
	s_andn2_saveexec_b64 s[78:79], s[78:79]
	s_cbranch_execz .LBB47_1716
; %bb.1715:                             ;   in Loop: Header=BB47_17 Depth=1
	flat_load_ubyte v0, v[0:1]
	s_mov_b32 vcc_lo, 0x7f800000
	s_waitcnt vmcnt(0) lgkmcnt(0)
	v_lshlrev_b32_e32 v0, 24, v0
	v_and_b32_e32 v1, 0x7f000000, v0
	v_ffbh_u32_e32 v54, v1
	v_min_u32_e32 v54, 32, v54
	v_sub_u32_e64 v54, v54, 4 clamp
	v_lshlrev_b32_e32 v65, v54, v1
	v_lshlrev_b32_e32 v54, 23, v54
	v_lshrrev_b32_e32 v65, 4, v65
	v_add_u32_e32 v64, 0x1000000, v1
	v_sub_u32_e32 v54, v65, v54
	v_ashrrev_i32_e32 v64, 8, v64
	v_add_u32_e32 v54, 0x3c000000, v54
	v_and_or_b32 v54, v64, vcc_lo, v54
	v_cmp_ne_u32_e32 vcc, 0, v1
	v_cndmask_b32_e32 v1, 0, v54, vcc
	s_brev_b32 vcc_lo, 1
	v_and_or_b32 v54, v0, vcc_lo, v1
.LBB47_1716:                            ;   in Loop: Header=BB47_17 Depth=1
	s_or_b64 exec, exec, s[78:79]
                                        ; implicit-def: $vgpr0_vgpr1
.LBB47_1717:                            ;   in Loop: Header=BB47_17 Depth=1
	s_andn2_saveexec_b64 s[76:77], s[76:77]
	s_cbranch_execz .LBB47_1719
; %bb.1718:                             ;   in Loop: Header=BB47_17 Depth=1
	flat_load_ubyte v0, v[0:1]
	s_movk_i32 vcc_lo, 0x7f00
	s_waitcnt vmcnt(0) lgkmcnt(0)
	v_lshlrev_b16_e32 v1, 8, v0
	v_lshlrev_b32_e32 v0, 25, v0
	v_lshrrev_b32_e32 v54, 4, v0
	v_and_or_b32 v64, v1, vcc_lo, 0.5
	v_or_b32_e32 v54, 0x70000000, v54
	s_brev_b32 vcc_lo, 16
	v_add_f32_e32 v64, -0.5, v64
	v_mul_f32_e32 v54, 0x7800000, v54
	v_cmp_gt_u32_e32 vcc, vcc_lo, v0
	v_cndmask_b32_e32 v0, v54, v64, vcc
	v_bfe_i32 v1, v1, 0, 16
	s_brev_b32 vcc_lo, 1
	v_and_or_b32 v54, v1, vcc_lo, v0
.LBB47_1719:                            ;   in Loop: Header=BB47_17 Depth=1
	s_or_b64 exec, exec, s[76:77]
	s_or_b64 s[76:77], s[68:69], exec
                                        ; implicit-def: $vgpr0_vgpr1
.LBB47_1720:                            ;   in Loop: Header=BB47_17 Depth=1
	s_or_saveexec_b64 s[74:75], s[74:75]
                                        ; implicit-def: $vcc
                                        ; implicit-def: $sgpr82_sgpr83
	s_xor_b64 exec, exec, s[74:75]
	s_cbranch_execz .LBB47_1730
; %bb.1721:                             ;   in Loop: Header=BB47_17 Depth=1
	v_cmp_gt_i16_sdwa vcc, v8, v33 src0_sel:BYTE_0 src1_sel:DWORD
	s_mov_b64 s[80:81], s[76:77]
                                        ; implicit-def: $sgpr82_sgpr83
                                        ; implicit-def: $sgpr78_sgpr79
                                        ; implicit-def: $vgpr54
	s_and_saveexec_b64 s[84:85], vcc
	s_xor_b64 vcc, exec, s[84:85]
	s_cbranch_execz .LBB47_1725
; %bb.1722:                             ;   in Loop: Header=BB47_17 Depth=1
	v_cmp_eq_u16_sdwa s[82:83], v8, v34 src0_sel:BYTE_0 src1_sel:DWORD
	s_mov_b64 s[80:81], s[76:77]
                                        ; implicit-def: $vgpr54
	s_and_saveexec_b64 s[78:79], s[82:83]
	s_cbranch_execz .LBB47_1724
; %bb.1723:                             ;   in Loop: Header=BB47_17 Depth=1
	flat_load_ushort v0, v[0:1]
	s_or_b64 s[80:81], s[76:77], exec
	s_waitcnt vmcnt(0) lgkmcnt(0)
	v_lshlrev_b32_e32 v54, 16, v0
.LBB47_1724:                            ;   in Loop: Header=BB47_17 Depth=1
	s_or_b64 exec, exec, s[78:79]
	s_andn2_b64 s[84:85], s[76:77], exec
	s_and_b64 s[80:81], s[80:81], exec
	s_mov_b64 s[78:79], 0
	s_mov_b64 s[82:83], -1
	s_or_b64 s[80:81], s[84:85], s[80:81]
                                        ; implicit-def: $vgpr0_vgpr1
.LBB47_1725:                            ;   in Loop: Header=BB47_17 Depth=1
	s_andn2_saveexec_b64 s[84:85], vcc
	s_cbranch_execz .LBB47_1729
; %bb.1726:                             ;   in Loop: Header=BB47_17 Depth=1
	v_cmp_eq_u16_sdwa s[88:89], v8, v35 src0_sel:BYTE_0 src1_sel:DWORD
	s_mov_b64 vcc, s[80:81]
                                        ; implicit-def: $vgpr54
	s_and_saveexec_b64 s[86:87], s[88:89]
	s_cbranch_execz .LBB47_1728
; %bb.1727:                             ;   in Loop: Header=BB47_17 Depth=1
	flat_load_ubyte v0, v[0:1]
	s_waitcnt vmcnt(0) lgkmcnt(0)
	v_cmp_ne_u16_e32 vcc, 0, v0
	v_cndmask_b32_e64 v54, 0, 1.0, vcc
	s_or_b64 vcc, s[80:81], exec
.LBB47_1728:                            ;   in Loop: Header=BB47_17 Depth=1
	s_or_b64 exec, exec, s[86:87]
	s_andn2_b64 s[80:81], s[80:81], exec
	s_and_b64 vcc, vcc, exec
	s_or_b64 s[82:83], s[82:83], exec
	s_andn2_b64 s[78:79], s[78:79], exec
	s_or_b64 s[80:81], s[80:81], vcc
.LBB47_1729:                            ;   in Loop: Header=BB47_17 Depth=1
	s_or_b64 exec, exec, s[84:85]
	s_and_b64 vcc, s[78:79], exec
	s_andn2_b64 s[76:77], s[76:77], exec
	s_and_b64 s[78:79], s[80:81], exec
	s_and_b64 s[82:83], s[82:83], exec
	s_or_b64 s[76:77], s[76:77], s[78:79]
.LBB47_1730:                            ;   in Loop: Header=BB47_17 Depth=1
	s_or_b64 exec, exec, s[74:75]
	s_andn2_b64 s[70:71], s[70:71], exec
	s_and_b64 vcc, vcc, exec
	s_andn2_b64 s[72:73], s[72:73], exec
	s_and_b64 s[74:75], s[82:83], exec
	s_or_b64 s[70:71], s[70:71], vcc
	s_andn2_b64 vcc, s[68:69], exec
	s_and_b64 s[68:69], s[76:77], exec
	s_or_b64 s[72:73], s[72:73], s[74:75]
	s_or_b64 s[68:69], vcc, s[68:69]
.LBB47_1731:                            ;   in Loop: Header=BB47_17 Depth=1
	s_or_b64 exec, exec, s[66:67]
	s_and_b64 s[66:67], s[72:73], exec
	s_and_b64 vcc, s[70:71], exec
	s_and_b64 s[68:69], s[68:69], exec
                                        ; implicit-def: $vgpr0_vgpr1
	s_andn2_saveexec_b64 s[64:65], s[64:65]
	s_cbranch_execz .LBB47_1648
.LBB47_1732:                            ;   in Loop: Header=BB47_17 Depth=1
	v_cmp_gt_i16_sdwa s[70:71], v8, v36 src0_sel:BYTE_0 src1_sel:DWORD
                                        ; implicit-def: $vgpr54
	s_and_saveexec_b64 s[72:73], s[70:71]
	s_xor_b64 s[70:71], exec, s[72:73]
	s_cbranch_execz .LBB47_1754
; %bb.1733:                             ;   in Loop: Header=BB47_17 Depth=1
	v_cmp_gt_i16_sdwa s[72:73], v8, v37 src0_sel:BYTE_0 src1_sel:DWORD
                                        ; implicit-def: $vgpr54
	s_and_saveexec_b64 s[74:75], s[72:73]
	s_xor_b64 s[72:73], exec, s[74:75]
	s_cbranch_execz .LBB47_1743
; %bb.1734:                             ;   in Loop: Header=BB47_17 Depth=1
	;; [unrolled: 6-line block ×4, first 2 shown]
	flat_load_dwordx2 v[0:1], v[0:1]
	s_waitcnt vmcnt(0) lgkmcnt(0)
	v_cvt_f32_f64_e32 v54, v[0:1]
                                        ; implicit-def: $vgpr0_vgpr1
.LBB47_1737:                            ;   in Loop: Header=BB47_17 Depth=1
	s_andn2_saveexec_b64 s[76:77], s[76:77]
	s_cbranch_execz .LBB47_1739
; %bb.1738:                             ;   in Loop: Header=BB47_17 Depth=1
	flat_load_dword v54, v[0:1]
.LBB47_1739:                            ;   in Loop: Header=BB47_17 Depth=1
	s_or_b64 exec, exec, s[76:77]
                                        ; implicit-def: $vgpr0_vgpr1
.LBB47_1740:                            ;   in Loop: Header=BB47_17 Depth=1
	s_andn2_saveexec_b64 s[74:75], s[74:75]
	s_cbranch_execz .LBB47_1742
; %bb.1741:                             ;   in Loop: Header=BB47_17 Depth=1
	flat_load_dword v0, v[0:1]
	s_waitcnt vmcnt(0) lgkmcnt(0)
	v_cvt_f32_f16_e32 v54, v0
.LBB47_1742:                            ;   in Loop: Header=BB47_17 Depth=1
	s_or_b64 exec, exec, s[74:75]
                                        ; implicit-def: $vgpr0_vgpr1
.LBB47_1743:                            ;   in Loop: Header=BB47_17 Depth=1
	s_andn2_saveexec_b64 s[72:73], s[72:73]
	s_cbranch_execz .LBB47_1753
; %bb.1744:                             ;   in Loop: Header=BB47_17 Depth=1
	v_cmp_gt_i16_sdwa s[74:75], v8, v48 src0_sel:BYTE_0 src1_sel:DWORD
                                        ; implicit-def: $vgpr54
	s_and_saveexec_b64 s[76:77], s[74:75]
	s_xor_b64 s[74:75], exec, s[76:77]
	s_cbranch_execz .LBB47_1750
; %bb.1745:                             ;   in Loop: Header=BB47_17 Depth=1
	v_cmp_gt_i16_sdwa s[76:77], v8, v49 src0_sel:BYTE_0 src1_sel:DWORD
                                        ; implicit-def: $vgpr54
	s_and_saveexec_b64 s[78:79], s[76:77]
	s_xor_b64 s[76:77], exec, s[78:79]
	s_cbranch_execz .LBB47_1747
; %bb.1746:                             ;   in Loop: Header=BB47_17 Depth=1
	flat_load_dwordx2 v[0:1], v[0:1]
	s_waitcnt vmcnt(0) lgkmcnt(0)
	v_cvt_f32_f64_e32 v54, v[0:1]
                                        ; implicit-def: $vgpr0_vgpr1
.LBB47_1747:                            ;   in Loop: Header=BB47_17 Depth=1
	s_andn2_saveexec_b64 s[76:77], s[76:77]
	s_cbranch_execz .LBB47_1749
; %bb.1748:                             ;   in Loop: Header=BB47_17 Depth=1
	s_waitcnt vmcnt(0) lgkmcnt(0)
	flat_load_dword v54, v[0:1]
.LBB47_1749:                            ;   in Loop: Header=BB47_17 Depth=1
	s_or_b64 exec, exec, s[76:77]
                                        ; implicit-def: $vgpr0_vgpr1
.LBB47_1750:                            ;   in Loop: Header=BB47_17 Depth=1
	s_andn2_saveexec_b64 s[74:75], s[74:75]
	s_cbranch_execz .LBB47_1752
; %bb.1751:                             ;   in Loop: Header=BB47_17 Depth=1
	flat_load_ushort v0, v[0:1]
	s_waitcnt vmcnt(0) lgkmcnt(0)
	v_cvt_f32_f16_e32 v54, v0
.LBB47_1752:                            ;   in Loop: Header=BB47_17 Depth=1
	s_or_b64 exec, exec, s[74:75]
.LBB47_1753:                            ;   in Loop: Header=BB47_17 Depth=1
	s_or_b64 exec, exec, s[72:73]
                                        ; implicit-def: $vgpr0_vgpr1
.LBB47_1754:                            ;   in Loop: Header=BB47_17 Depth=1
	s_andn2_saveexec_b64 s[70:71], s[70:71]
	s_cbranch_execz .LBB47_1772
; %bb.1755:                             ;   in Loop: Header=BB47_17 Depth=1
	v_cmp_gt_i16_sdwa s[72:73], v8, v50 src0_sel:BYTE_0 src1_sel:DWORD
                                        ; implicit-def: $vgpr54
	s_and_saveexec_b64 s[74:75], s[72:73]
	s_xor_b64 s[72:73], exec, s[74:75]
	s_cbranch_execz .LBB47_1765
; %bb.1756:                             ;   in Loop: Header=BB47_17 Depth=1
	v_cmp_gt_i16_sdwa s[74:75], v8, v51 src0_sel:BYTE_0 src1_sel:DWORD
                                        ; implicit-def: $vgpr54
	s_and_saveexec_b64 s[76:77], s[74:75]
	s_xor_b64 s[74:75], exec, s[76:77]
	;; [unrolled: 6-line block ×3, first 2 shown]
	s_cbranch_execz .LBB47_1759
; %bb.1758:                             ;   in Loop: Header=BB47_17 Depth=1
	flat_load_dwordx2 v[0:1], v[0:1]
	s_waitcnt vmcnt(0) lgkmcnt(0)
	v_xor_b32_e32 v64, v0, v1
	v_ffbh_i32_e32 v54, v1
	v_ashrrev_i32_e32 v64, 31, v64
	v_add_u32_e32 v54, -1, v54
	v_add_u32_e32 v64, 32, v64
	v_min_u32_e32 v54, v54, v64
	v_lshlrev_b64 v[0:1], v54, v[0:1]
	v_min_u32_e32 v0, 1, v0
	v_or_b32_e32 v0, v1, v0
	v_cvt_f32_i32_e32 v0, v0
	v_sub_u32_e32 v1, 32, v54
	v_ldexp_f32 v54, v0, v1
                                        ; implicit-def: $vgpr0_vgpr1
.LBB47_1759:                            ;   in Loop: Header=BB47_17 Depth=1
	s_andn2_saveexec_b64 s[76:77], s[76:77]
	s_cbranch_execz .LBB47_1761
; %bb.1760:                             ;   in Loop: Header=BB47_17 Depth=1
	flat_load_dword v0, v[0:1]
	s_waitcnt vmcnt(0) lgkmcnt(0)
	v_cvt_f32_i32_e32 v54, v0
.LBB47_1761:                            ;   in Loop: Header=BB47_17 Depth=1
	s_or_b64 exec, exec, s[76:77]
                                        ; implicit-def: $vgpr0_vgpr1
.LBB47_1762:                            ;   in Loop: Header=BB47_17 Depth=1
	s_andn2_saveexec_b64 s[74:75], s[74:75]
	s_cbranch_execz .LBB47_1764
; %bb.1763:                             ;   in Loop: Header=BB47_17 Depth=1
	flat_load_sshort v0, v[0:1]
	s_waitcnt vmcnt(0) lgkmcnt(0)
	v_cvt_f32_i32_e32 v54, v0
.LBB47_1764:                            ;   in Loop: Header=BB47_17 Depth=1
	s_or_b64 exec, exec, s[74:75]
                                        ; implicit-def: $vgpr0_vgpr1
.LBB47_1765:                            ;   in Loop: Header=BB47_17 Depth=1
	s_andn2_saveexec_b64 s[72:73], s[72:73]
	s_cbranch_execz .LBB47_1771
; %bb.1766:                             ;   in Loop: Header=BB47_17 Depth=1
	v_cmp_gt_i16_sdwa s[74:75], v8, v14 src0_sel:BYTE_0 src1_sel:DWORD
                                        ; implicit-def: $vgpr54
	s_and_saveexec_b64 s[76:77], s[74:75]
	s_xor_b64 s[74:75], exec, s[76:77]
	s_cbranch_execz .LBB47_1768
; %bb.1767:                             ;   in Loop: Header=BB47_17 Depth=1
	flat_load_sbyte v0, v[0:1]
	s_waitcnt vmcnt(0) lgkmcnt(0)
	v_cvt_f32_i32_e32 v54, v0
                                        ; implicit-def: $vgpr0_vgpr1
.LBB47_1768:                            ;   in Loop: Header=BB47_17 Depth=1
	s_andn2_saveexec_b64 s[74:75], s[74:75]
	s_cbranch_execz .LBB47_1770
; %bb.1769:                             ;   in Loop: Header=BB47_17 Depth=1
	flat_load_ubyte v0, v[0:1]
	s_waitcnt vmcnt(0) lgkmcnt(0)
	v_cvt_f32_ubyte0_e32 v54, v0
.LBB47_1770:                            ;   in Loop: Header=BB47_17 Depth=1
	s_or_b64 exec, exec, s[74:75]
.LBB47_1771:                            ;   in Loop: Header=BB47_17 Depth=1
	s_or_b64 exec, exec, s[72:73]
.LBB47_1772:                            ;   in Loop: Header=BB47_17 Depth=1
	s_or_b64 exec, exec, s[70:71]
	s_andn2_b64 s[66:67], s[66:67], exec
	s_andn2_b64 vcc, vcc, exec
	s_or_b64 s[68:69], s[68:69], exec
	s_or_b64 exec, exec, s[64:65]
	s_mov_b64 s[64:65], 0
	s_and_saveexec_b64 s[70:71], s[68:69]
	s_cbranch_execnz .LBB47_1649
	s_branch .LBB47_1650
.LBB47_1773:                            ;   in Loop: Header=BB47_17 Depth=1
	v_cmp_gt_i16_sdwa vcc, v7, v17 src0_sel:BYTE_0 src1_sel:DWORD
	s_mov_b64 s[70:71], 0
                                        ; implicit-def: $sgpr72_sgpr73
                                        ; implicit-def: $sgpr62_sgpr63
                                        ; implicit-def: $vgpr64
	s_and_saveexec_b64 s[60:61], vcc
	s_xor_b64 s[60:61], exec, s[60:61]
	s_cbranch_execz .LBB47_1805
; %bb.1774:                             ;   in Loop: Header=BB47_17 Depth=1
	v_cmp_gt_i16_sdwa vcc, v7, v18 src0_sel:BYTE_0 src1_sel:DWORD
                                        ; implicit-def: $sgpr72_sgpr73
                                        ; implicit-def: $sgpr74_sgpr75
                                        ; implicit-def: $vgpr64
	s_and_saveexec_b64 s[62:63], vcc
	s_xor_b64 s[62:63], exec, s[62:63]
	s_cbranch_execz .LBB47_1790
; %bb.1775:                             ;   in Loop: Header=BB47_17 Depth=1
	v_cmp_gt_i16_sdwa s[70:71], v7, v19 src0_sel:BYTE_0 src1_sel:DWORD
	s_mov_b64 s[76:77], 0
                                        ; implicit-def: $vcc
                                        ; implicit-def: $sgpr72_sgpr73
                                        ; implicit-def: $vgpr64
	s_and_saveexec_b64 s[74:75], s[70:71]
	s_xor_b64 s[70:71], exec, s[74:75]
	s_cbranch_execz .LBB47_1785
; %bb.1776:                             ;   in Loop: Header=BB47_17 Depth=1
	v_cmp_gt_i16_sdwa vcc, v7, v20 src0_sel:BYTE_0 src1_sel:DWORD
	s_mov_b64 s[74:75], 0
                                        ; implicit-def: $sgpr72_sgpr73
                                        ; implicit-def: $sgpr76_sgpr77
                                        ; implicit-def: $vgpr64
	s_and_saveexec_b64 s[78:79], vcc
	s_xor_b64 vcc, exec, s[78:79]
	s_cbranch_execz .LBB47_1780
; %bb.1777:                             ;   in Loop: Header=BB47_17 Depth=1
	v_cmp_eq_u16_sdwa s[78:79], v7, v21 src0_sel:BYTE_0 src1_sel:DWORD
	s_mov_b64 s[72:73], 0
                                        ; implicit-def: $vgpr64
	s_and_saveexec_b64 s[76:77], s[78:79]
	s_cbranch_execz .LBB47_1779
; %bb.1778:                             ;   in Loop: Header=BB47_17 Depth=1
	flat_load_dword v0, v[0:1]
	s_mov_b64 s[74:75], exec
	s_waitcnt vmcnt(0) lgkmcnt(0)
	v_lshlrev_b32_e32 v64, 16, v0
.LBB47_1779:                            ;   in Loop: Header=BB47_17 Depth=1
	s_or_b64 exec, exec, s[76:77]
	s_mov_b64 s[76:77], -1
	s_and_b64 s[74:75], s[74:75], exec
                                        ; implicit-def: $vgpr0_vgpr1
.LBB47_1780:                            ;   in Loop: Header=BB47_17 Depth=1
	s_andn2_saveexec_b64 s[78:79], vcc
	s_cbranch_execz .LBB47_1784
; %bb.1781:                             ;   in Loop: Header=BB47_17 Depth=1
	v_cmp_eq_u16_sdwa s[82:83], v7, v22 src0_sel:BYTE_0 src1_sel:DWORD
	s_mov_b64 vcc, s[74:75]
                                        ; implicit-def: $vgpr64
	s_and_saveexec_b64 s[80:81], s[82:83]
	s_cbranch_execz .LBB47_1783
; %bb.1782:                             ;   in Loop: Header=BB47_17 Depth=1
	flat_load_ubyte v0, v[0:1]
	s_movk_i32 vcc_lo, 0xff
	s_waitcnt vmcnt(0) lgkmcnt(0)
	v_lshlrev_b32_e32 v1, 23, v0
	v_cmp_ne_u32_e32 vcc, vcc_lo, v0
	v_cndmask_b32_e32 v1, v23, v1, vcc
	v_cmp_ne_u32_e32 vcc, 0, v0
	v_cndmask_b32_e32 v64, v24, v1, vcc
	s_or_b64 vcc, s[74:75], exec
.LBB47_1783:                            ;   in Loop: Header=BB47_17 Depth=1
	s_or_b64 exec, exec, s[80:81]
	s_andn2_b64 s[74:75], s[74:75], exec
	s_and_b64 vcc, vcc, exec
	s_andn2_b64 s[72:73], s[72:73], exec
	s_or_b64 s[76:77], s[76:77], exec
	s_or_b64 s[74:75], s[74:75], vcc
.LBB47_1784:                            ;   in Loop: Header=BB47_17 Depth=1
	s_or_b64 exec, exec, s[78:79]
	s_and_b64 s[72:73], s[72:73], exec
	s_and_b64 vcc, s[76:77], exec
	s_and_b64 s[76:77], s[74:75], exec
                                        ; implicit-def: $vgpr0_vgpr1
.LBB47_1785:                            ;   in Loop: Header=BB47_17 Depth=1
	s_andn2_saveexec_b64 s[70:71], s[70:71]
	s_cbranch_execz .LBB47_1789
; %bb.1786:                             ;   in Loop: Header=BB47_17 Depth=1
	v_cmp_eq_u16_sdwa s[80:81], v7, v25 src0_sel:BYTE_0 src1_sel:DWORD
	s_mov_b64 s[78:79], s[76:77]
                                        ; implicit-def: $vgpr64
	s_and_saveexec_b64 s[74:75], s[80:81]
	s_cbranch_execz .LBB47_1788
; %bb.1787:                             ;   in Loop: Header=BB47_17 Depth=1
	flat_load_dwordx2 v[0:1], v[0:1]
	s_or_b64 s[78:79], s[76:77], exec
	s_waitcnt vmcnt(0) lgkmcnt(0)
	v_ffbh_u32_e32 v55, v1
	v_min_u32_e32 v55, 32, v55
	s_waitcnt vmcnt(0) expcnt(0) lgkmcnt(0)
	v_swap_b32 v2, v55
	v_lshlrev_b64 v[0:1], v2, v[0:1]
	v_swap_b32 v55, v2
	v_min_u32_e32 v0, 1, v0
	v_or_b32_e32 v0, v1, v0
	v_cvt_f32_u32_e32 v0, v0
	v_sub_u32_e32 v1, 32, v55
	v_ldexp_f32 v64, v0, v1
.LBB47_1788:                            ;   in Loop: Header=BB47_17 Depth=1
	s_or_b64 exec, exec, s[74:75]
	s_andn2_b64 s[74:75], s[76:77], exec
	s_and_b64 s[76:77], s[78:79], exec
	s_andn2_b64 s[72:73], s[72:73], exec
	s_or_b64 vcc, vcc, exec
	s_or_b64 s[76:77], s[74:75], s[76:77]
.LBB47_1789:                            ;   in Loop: Header=BB47_17 Depth=1
	s_or_b64 exec, exec, s[70:71]
	s_and_b64 s[74:75], s[72:73], exec
	s_and_b64 s[72:73], vcc, exec
	s_and_b64 s[70:71], s[76:77], exec
                                        ; implicit-def: $vgpr0_vgpr1
.LBB47_1790:                            ;   in Loop: Header=BB47_17 Depth=1
	s_andn2_saveexec_b64 s[62:63], s[62:63]
	s_cbranch_execz .LBB47_1804
; %bb.1791:                             ;   in Loop: Header=BB47_17 Depth=1
	v_cmp_gt_i16_sdwa vcc, v7, v26 src0_sel:BYTE_0 src1_sel:DWORD
                                        ; implicit-def: $vgpr64
	s_and_saveexec_b64 s[76:77], vcc
	s_xor_b64 vcc, exec, s[76:77]
	s_cbranch_execz .LBB47_1797
; %bb.1792:                             ;   in Loop: Header=BB47_17 Depth=1
	v_cmp_gt_i16_sdwa s[76:77], v7, v27 src0_sel:BYTE_0 src1_sel:DWORD
                                        ; implicit-def: $vgpr64
	s_and_saveexec_b64 s[78:79], s[76:77]
	s_xor_b64 s[76:77], exec, s[78:79]
	s_cbranch_execz .LBB47_1794
; %bb.1793:                             ;   in Loop: Header=BB47_17 Depth=1
	flat_load_dword v0, v[0:1]
	s_waitcnt vmcnt(0) lgkmcnt(0)
	v_cvt_f32_u32_e32 v64, v0
                                        ; implicit-def: $vgpr0_vgpr1
.LBB47_1794:                            ;   in Loop: Header=BB47_17 Depth=1
	s_andn2_saveexec_b64 s[76:77], s[76:77]
	s_cbranch_execz .LBB47_1796
; %bb.1795:                             ;   in Loop: Header=BB47_17 Depth=1
	flat_load_ushort v0, v[0:1]
	s_waitcnt vmcnt(0) lgkmcnt(0)
	v_cvt_f32_u32_e32 v64, v0
.LBB47_1796:                            ;   in Loop: Header=BB47_17 Depth=1
	s_or_b64 exec, exec, s[76:77]
                                        ; implicit-def: $vgpr0_vgpr1
.LBB47_1797:                            ;   in Loop: Header=BB47_17 Depth=1
	s_andn2_saveexec_b64 s[76:77], vcc
	s_cbranch_execz .LBB47_1803
; %bb.1798:                             ;   in Loop: Header=BB47_17 Depth=1
	flat_load_ubyte v0, v[0:1]
	s_movk_i32 vcc_lo, 0x7f
	s_mov_b64 s[78:79], 0
                                        ; implicit-def: $sgpr84
	s_waitcnt vmcnt(0) lgkmcnt(0)
	v_cmp_lt_i16_e32 vcc, vcc_lo, v0
	s_and_saveexec_b64 s[80:81], vcc
	s_xor_b64 s[80:81], exec, s[80:81]
	s_cbranch_execnz .LBB47_2577
; %bb.1799:                             ;   in Loop: Header=BB47_17 Depth=1
	s_or_saveexec_b64 s[80:81], s[80:81]
	v_mov_b32_e32 v64, s84
	s_xor_b64 exec, exec, s[80:81]
	s_cbranch_execnz .LBB47_2580
.LBB47_1800:                            ;   in Loop: Header=BB47_17 Depth=1
	s_or_b64 exec, exec, s[80:81]
	s_and_saveexec_b64 s[80:81], s[78:79]
	s_cbranch_execz .LBB47_1802
.LBB47_1801:                            ;   in Loop: Header=BB47_17 Depth=1
	v_lshlrev_b32_e32 v1, 24, v0
	v_and_b32_e32 v0, 0xffff, v0
	v_and_b32_e32 v55, 7, v0
	v_ffbh_u32_e32 v65, v55
	v_min_u32_e32 v65, 32, v65
	v_subrev_u32_e32 v66, 28, v65
	v_bfe_u32 v64, v0, 3, 4
	v_lshlrev_b32_e32 v0, v66, v0
	v_sub_u32_e32 v65, 29, v65
	v_and_b32_e32 v0, 7, v0
	v_cmp_eq_u32_e32 vcc, 0, v64
	v_cndmask_b32_e32 v64, v64, v65, vcc
	v_cndmask_b32_e32 v0, v55, v0, vcc
	v_lshlrev_b32_e32 v0, 20, v0
	v_and_b32_e32 v1, 0x80000000, v1
	v_lshl_add_u32 v55, v64, 23, v28
	v_or3_b32 v64, v1, v55, v0
.LBB47_1802:                            ;   in Loop: Header=BB47_17 Depth=1
	s_or_b64 exec, exec, s[80:81]
.LBB47_1803:                            ;   in Loop: Header=BB47_17 Depth=1
	s_or_b64 exec, exec, s[76:77]
	s_andn2_b64 s[74:75], s[74:75], exec
	s_andn2_b64 s[72:73], s[72:73], exec
	s_or_b64 s[70:71], s[70:71], exec
.LBB47_1804:                            ;   in Loop: Header=BB47_17 Depth=1
	s_or_b64 exec, exec, s[62:63]
	s_and_b64 s[62:63], s[74:75], exec
	s_and_b64 s[72:73], s[72:73], exec
	;; [unrolled: 1-line block ×3, first 2 shown]
                                        ; implicit-def: $vgpr0_vgpr1
.LBB47_1805:                            ;   in Loop: Header=BB47_17 Depth=1
	s_andn2_saveexec_b64 s[60:61], s[60:61]
	s_cbranch_execz .LBB47_1831
; %bb.1806:                             ;   in Loop: Header=BB47_17 Depth=1
	v_cmp_gt_i16_sdwa vcc, v7, v29 src0_sel:BYTE_0 src1_sel:DWORD
	s_mov_b64 s[76:77], s[70:71]
                                        ; implicit-def: $vgpr64
	s_and_saveexec_b64 s[74:75], vcc
	s_xor_b64 s[74:75], exec, s[74:75]
	s_cbranch_execz .LBB47_1820
; %bb.1807:                             ;   in Loop: Header=BB47_17 Depth=1
	v_cmp_gt_i16_sdwa vcc, v7, v30 src0_sel:BYTE_0 src1_sel:DWORD
                                        ; implicit-def: $vgpr64
	s_and_saveexec_b64 s[76:77], vcc
	s_xor_b64 s[76:77], exec, s[76:77]
	s_cbranch_execz .LBB47_1817
; %bb.1808:                             ;   in Loop: Header=BB47_17 Depth=1
	v_cmp_gt_i16_sdwa vcc, v7, v31 src0_sel:BYTE_0 src1_sel:DWORD
                                        ; implicit-def: $vgpr64
	s_and_saveexec_b64 s[78:79], vcc
	s_xor_b64 s[78:79], exec, s[78:79]
	s_cbranch_execz .LBB47_1814
; %bb.1809:                             ;   in Loop: Header=BB47_17 Depth=1
	flat_load_ubyte v0, v[0:1]
	s_movk_i32 vcc_lo, 0x7f
	s_mov_b64 s[80:81], 0
                                        ; implicit-def: $sgpr86
	s_waitcnt vmcnt(0) lgkmcnt(0)
	v_cmp_lt_i16_e32 vcc, vcc_lo, v0
	s_and_saveexec_b64 s[82:83], vcc
	s_xor_b64 s[82:83], exec, s[82:83]
	s_cbranch_execnz .LBB47_2896
; %bb.1810:                             ;   in Loop: Header=BB47_17 Depth=1
	s_or_saveexec_b64 s[82:83], s[82:83]
	v_mov_b32_e32 v64, s86
	s_xor_b64 exec, exec, s[82:83]
	s_cbranch_execnz .LBB47_2899
.LBB47_1811:                            ;   in Loop: Header=BB47_17 Depth=1
	s_or_b64 exec, exec, s[82:83]
	s_and_saveexec_b64 s[82:83], s[80:81]
	s_cbranch_execz .LBB47_1813
.LBB47_1812:                            ;   in Loop: Header=BB47_17 Depth=1
	v_lshlrev_b32_e32 v1, 24, v0
	v_and_b32_e32 v0, 0xffff, v0
	v_and_b32_e32 v55, 3, v0
	v_ffbh_u32_e32 v65, v55
	v_min_u32_e32 v65, 32, v65
	v_subrev_u32_e32 v66, 29, v65
	v_bfe_u32 v64, v0, 2, 5
	v_lshlrev_b32_e32 v0, v66, v0
	v_sub_u32_e32 v65, 30, v65
	v_and_b32_e32 v0, 3, v0
	v_cmp_eq_u32_e32 vcc, 0, v64
	v_cndmask_b32_e32 v64, v64, v65, vcc
	v_cndmask_b32_e32 v0, v55, v0, vcc
	v_lshlrev_b32_e32 v0, 21, v0
	v_and_b32_e32 v1, 0x80000000, v1
	v_lshl_add_u32 v55, v64, 23, v32
	v_or3_b32 v64, v1, v55, v0
.LBB47_1813:                            ;   in Loop: Header=BB47_17 Depth=1
	s_or_b64 exec, exec, s[82:83]
                                        ; implicit-def: $vgpr0_vgpr1
.LBB47_1814:                            ;   in Loop: Header=BB47_17 Depth=1
	s_andn2_saveexec_b64 s[78:79], s[78:79]
	s_cbranch_execz .LBB47_1816
; %bb.1815:                             ;   in Loop: Header=BB47_17 Depth=1
	flat_load_ubyte v0, v[0:1]
	s_mov_b32 vcc_lo, 0x7f800000
	s_waitcnt vmcnt(0) lgkmcnt(0)
	v_lshlrev_b32_e32 v0, 24, v0
	v_and_b32_e32 v1, 0x7f000000, v0
	v_ffbh_u32_e32 v55, v1
	v_min_u32_e32 v55, 32, v55
	v_sub_u32_e64 v55, v55, 4 clamp
	v_lshlrev_b32_e32 v65, v55, v1
	v_lshlrev_b32_e32 v55, 23, v55
	v_lshrrev_b32_e32 v65, 4, v65
	v_add_u32_e32 v64, 0x1000000, v1
	v_sub_u32_e32 v55, v65, v55
	v_ashrrev_i32_e32 v64, 8, v64
	v_add_u32_e32 v55, 0x3c000000, v55
	v_and_or_b32 v55, v64, vcc_lo, v55
	v_cmp_ne_u32_e32 vcc, 0, v1
	v_cndmask_b32_e32 v1, 0, v55, vcc
	s_brev_b32 vcc_lo, 1
	v_and_or_b32 v64, v0, vcc_lo, v1
.LBB47_1816:                            ;   in Loop: Header=BB47_17 Depth=1
	s_or_b64 exec, exec, s[78:79]
                                        ; implicit-def: $vgpr0_vgpr1
.LBB47_1817:                            ;   in Loop: Header=BB47_17 Depth=1
	s_andn2_saveexec_b64 s[76:77], s[76:77]
	s_cbranch_execz .LBB47_1819
; %bb.1818:                             ;   in Loop: Header=BB47_17 Depth=1
	flat_load_ubyte v0, v[0:1]
	s_movk_i32 vcc_lo, 0x7f00
	s_waitcnt vmcnt(0) lgkmcnt(0)
	v_lshlrev_b16_e32 v1, 8, v0
	v_lshlrev_b32_e32 v0, 25, v0
	v_lshrrev_b32_e32 v55, 4, v0
	v_and_or_b32 v64, v1, vcc_lo, 0.5
	v_or_b32_e32 v55, 0x70000000, v55
	s_brev_b32 vcc_lo, 16
	v_add_f32_e32 v64, -0.5, v64
	v_mul_f32_e32 v55, 0x7800000, v55
	v_cmp_gt_u32_e32 vcc, vcc_lo, v0
	v_cndmask_b32_e32 v0, v55, v64, vcc
	v_bfe_i32 v1, v1, 0, 16
	s_brev_b32 vcc_lo, 1
	v_and_or_b32 v64, v1, vcc_lo, v0
.LBB47_1819:                            ;   in Loop: Header=BB47_17 Depth=1
	s_or_b64 exec, exec, s[76:77]
	s_or_b64 s[76:77], s[70:71], exec
                                        ; implicit-def: $vgpr0_vgpr1
.LBB47_1820:                            ;   in Loop: Header=BB47_17 Depth=1
	s_or_saveexec_b64 s[74:75], s[74:75]
                                        ; implicit-def: $vcc
                                        ; implicit-def: $sgpr82_sgpr83
	s_xor_b64 exec, exec, s[74:75]
	s_cbranch_execz .LBB47_1830
; %bb.1821:                             ;   in Loop: Header=BB47_17 Depth=1
	v_cmp_gt_i16_sdwa vcc, v7, v33 src0_sel:BYTE_0 src1_sel:DWORD
	s_mov_b64 s[80:81], s[76:77]
                                        ; implicit-def: $sgpr82_sgpr83
                                        ; implicit-def: $sgpr78_sgpr79
                                        ; implicit-def: $vgpr64
	s_and_saveexec_b64 s[84:85], vcc
	s_xor_b64 vcc, exec, s[84:85]
	s_cbranch_execz .LBB47_1825
; %bb.1822:                             ;   in Loop: Header=BB47_17 Depth=1
	v_cmp_eq_u16_sdwa s[82:83], v7, v34 src0_sel:BYTE_0 src1_sel:DWORD
	s_mov_b64 s[80:81], s[76:77]
                                        ; implicit-def: $vgpr64
	s_and_saveexec_b64 s[78:79], s[82:83]
	s_cbranch_execz .LBB47_1824
; %bb.1823:                             ;   in Loop: Header=BB47_17 Depth=1
	flat_load_ushort v0, v[0:1]
	s_or_b64 s[80:81], s[76:77], exec
	s_waitcnt vmcnt(0) lgkmcnt(0)
	v_lshlrev_b32_e32 v64, 16, v0
.LBB47_1824:                            ;   in Loop: Header=BB47_17 Depth=1
	s_or_b64 exec, exec, s[78:79]
	s_andn2_b64 s[84:85], s[76:77], exec
	s_and_b64 s[80:81], s[80:81], exec
	s_mov_b64 s[78:79], -1
	s_mov_b64 s[82:83], 0
	s_or_b64 s[80:81], s[84:85], s[80:81]
                                        ; implicit-def: $vgpr0_vgpr1
.LBB47_1825:                            ;   in Loop: Header=BB47_17 Depth=1
	s_andn2_saveexec_b64 s[84:85], vcc
	s_cbranch_execz .LBB47_1829
; %bb.1826:                             ;   in Loop: Header=BB47_17 Depth=1
	v_cmp_eq_u16_sdwa s[88:89], v7, v35 src0_sel:BYTE_0 src1_sel:DWORD
	s_mov_b64 vcc, s[80:81]
                                        ; implicit-def: $vgpr64
	s_and_saveexec_b64 s[86:87], s[88:89]
	s_cbranch_execz .LBB47_1828
; %bb.1827:                             ;   in Loop: Header=BB47_17 Depth=1
	flat_load_ubyte v0, v[0:1]
	s_waitcnt vmcnt(0) lgkmcnt(0)
	v_cmp_ne_u16_e32 vcc, 0, v0
	v_cndmask_b32_e64 v64, 0, 1.0, vcc
	s_or_b64 vcc, s[80:81], exec
.LBB47_1828:                            ;   in Loop: Header=BB47_17 Depth=1
	s_or_b64 exec, exec, s[86:87]
	s_andn2_b64 s[80:81], s[80:81], exec
	s_and_b64 vcc, vcc, exec
	s_andn2_b64 s[82:83], s[82:83], exec
	s_or_b64 s[78:79], s[78:79], exec
	s_or_b64 s[80:81], s[80:81], vcc
.LBB47_1829:                            ;   in Loop: Header=BB47_17 Depth=1
	s_or_b64 exec, exec, s[84:85]
	s_and_b64 vcc, s[78:79], exec
	s_andn2_b64 s[76:77], s[76:77], exec
	s_and_b64 s[78:79], s[80:81], exec
	s_and_b64 s[82:83], s[82:83], exec
	s_or_b64 s[76:77], s[76:77], s[78:79]
.LBB47_1830:                            ;   in Loop: Header=BB47_17 Depth=1
	s_or_b64 exec, exec, s[74:75]
	s_andn2_b64 s[72:73], s[72:73], exec
	s_and_b64 vcc, vcc, exec
	s_andn2_b64 s[62:63], s[62:63], exec
	s_and_b64 s[74:75], s[82:83], exec
	s_or_b64 s[72:73], s[72:73], vcc
	s_andn2_b64 vcc, s[70:71], exec
	s_and_b64 s[70:71], s[76:77], exec
	s_or_b64 s[62:63], s[62:63], s[74:75]
	s_or_b64 s[70:71], vcc, s[70:71]
.LBB47_1831:                            ;   in Loop: Header=BB47_17 Depth=1
	s_or_b64 exec, exec, s[60:61]
	s_and_b64 s[62:63], s[62:63], exec
	s_and_b64 s[60:61], s[72:73], exec
	s_and_b64 vcc, s[70:71], exec
                                        ; implicit-def: $vgpr0_vgpr1
	s_andn2_saveexec_b64 s[68:69], s[68:69]
	s_cbranch_execz .LBB47_1656
.LBB47_1832:                            ;   in Loop: Header=BB47_17 Depth=1
	v_cmp_gt_i16_sdwa s[70:71], v7, v36 src0_sel:BYTE_0 src1_sel:DWORD
                                        ; implicit-def: $vgpr64
	s_and_saveexec_b64 s[72:73], s[70:71]
	s_xor_b64 s[70:71], exec, s[72:73]
	s_cbranch_execz .LBB47_1854
; %bb.1833:                             ;   in Loop: Header=BB47_17 Depth=1
	v_cmp_gt_i16_sdwa s[72:73], v7, v37 src0_sel:BYTE_0 src1_sel:DWORD
                                        ; implicit-def: $vgpr64
	s_and_saveexec_b64 s[74:75], s[72:73]
	s_xor_b64 s[72:73], exec, s[74:75]
	s_cbranch_execz .LBB47_1843
; %bb.1834:                             ;   in Loop: Header=BB47_17 Depth=1
	;; [unrolled: 6-line block ×4, first 2 shown]
	flat_load_dwordx2 v[0:1], v[0:1]
	s_waitcnt vmcnt(0) lgkmcnt(0)
	v_cvt_f32_f64_e32 v64, v[0:1]
                                        ; implicit-def: $vgpr0_vgpr1
.LBB47_1837:                            ;   in Loop: Header=BB47_17 Depth=1
	s_andn2_saveexec_b64 s[76:77], s[76:77]
	s_cbranch_execz .LBB47_1839
; %bb.1838:                             ;   in Loop: Header=BB47_17 Depth=1
	flat_load_dword v64, v[0:1]
.LBB47_1839:                            ;   in Loop: Header=BB47_17 Depth=1
	s_or_b64 exec, exec, s[76:77]
                                        ; implicit-def: $vgpr0_vgpr1
.LBB47_1840:                            ;   in Loop: Header=BB47_17 Depth=1
	s_andn2_saveexec_b64 s[74:75], s[74:75]
	s_cbranch_execz .LBB47_1842
; %bb.1841:                             ;   in Loop: Header=BB47_17 Depth=1
	flat_load_dword v0, v[0:1]
	s_waitcnt vmcnt(0) lgkmcnt(0)
	v_cvt_f32_f16_e32 v64, v0
.LBB47_1842:                            ;   in Loop: Header=BB47_17 Depth=1
	s_or_b64 exec, exec, s[74:75]
                                        ; implicit-def: $vgpr0_vgpr1
.LBB47_1843:                            ;   in Loop: Header=BB47_17 Depth=1
	s_andn2_saveexec_b64 s[72:73], s[72:73]
	s_cbranch_execz .LBB47_1853
; %bb.1844:                             ;   in Loop: Header=BB47_17 Depth=1
	v_cmp_gt_i16_sdwa s[74:75], v7, v48 src0_sel:BYTE_0 src1_sel:DWORD
                                        ; implicit-def: $vgpr64
	s_and_saveexec_b64 s[76:77], s[74:75]
	s_xor_b64 s[74:75], exec, s[76:77]
	s_cbranch_execz .LBB47_1850
; %bb.1845:                             ;   in Loop: Header=BB47_17 Depth=1
	v_cmp_gt_i16_sdwa s[76:77], v7, v49 src0_sel:BYTE_0 src1_sel:DWORD
                                        ; implicit-def: $vgpr64
	s_and_saveexec_b64 s[78:79], s[76:77]
	s_xor_b64 s[76:77], exec, s[78:79]
	s_cbranch_execz .LBB47_1847
; %bb.1846:                             ;   in Loop: Header=BB47_17 Depth=1
	flat_load_dwordx2 v[0:1], v[0:1]
	s_waitcnt vmcnt(0) lgkmcnt(0)
	v_cvt_f32_f64_e32 v64, v[0:1]
                                        ; implicit-def: $vgpr0_vgpr1
.LBB47_1847:                            ;   in Loop: Header=BB47_17 Depth=1
	s_andn2_saveexec_b64 s[76:77], s[76:77]
	s_cbranch_execz .LBB47_1849
; %bb.1848:                             ;   in Loop: Header=BB47_17 Depth=1
	s_waitcnt vmcnt(0) lgkmcnt(0)
	flat_load_dword v64, v[0:1]
.LBB47_1849:                            ;   in Loop: Header=BB47_17 Depth=1
	s_or_b64 exec, exec, s[76:77]
                                        ; implicit-def: $vgpr0_vgpr1
.LBB47_1850:                            ;   in Loop: Header=BB47_17 Depth=1
	s_andn2_saveexec_b64 s[74:75], s[74:75]
	s_cbranch_execz .LBB47_1852
; %bb.1851:                             ;   in Loop: Header=BB47_17 Depth=1
	flat_load_ushort v0, v[0:1]
	s_waitcnt vmcnt(0) lgkmcnt(0)
	v_cvt_f32_f16_e32 v64, v0
.LBB47_1852:                            ;   in Loop: Header=BB47_17 Depth=1
	s_or_b64 exec, exec, s[74:75]
.LBB47_1853:                            ;   in Loop: Header=BB47_17 Depth=1
	s_or_b64 exec, exec, s[72:73]
                                        ; implicit-def: $vgpr0_vgpr1
.LBB47_1854:                            ;   in Loop: Header=BB47_17 Depth=1
	s_andn2_saveexec_b64 s[70:71], s[70:71]
	s_cbranch_execz .LBB47_1872
; %bb.1855:                             ;   in Loop: Header=BB47_17 Depth=1
	v_cmp_gt_i16_sdwa s[72:73], v7, v50 src0_sel:BYTE_0 src1_sel:DWORD
                                        ; implicit-def: $vgpr64
	s_and_saveexec_b64 s[74:75], s[72:73]
	s_xor_b64 s[72:73], exec, s[74:75]
	s_cbranch_execz .LBB47_1865
; %bb.1856:                             ;   in Loop: Header=BB47_17 Depth=1
	v_cmp_gt_i16_sdwa s[74:75], v7, v51 src0_sel:BYTE_0 src1_sel:DWORD
                                        ; implicit-def: $vgpr64
	s_and_saveexec_b64 s[76:77], s[74:75]
	s_xor_b64 s[74:75], exec, s[76:77]
	;; [unrolled: 6-line block ×3, first 2 shown]
	s_cbranch_execz .LBB47_1859
; %bb.1858:                             ;   in Loop: Header=BB47_17 Depth=1
	flat_load_dwordx2 v[0:1], v[0:1]
	s_waitcnt vmcnt(0) lgkmcnt(0)
	v_xor_b32_e32 v64, v0, v1
	v_ffbh_i32_e32 v55, v1
	v_ashrrev_i32_e32 v64, 31, v64
	v_add_u32_e32 v55, -1, v55
	v_add_u32_e32 v64, 32, v64
	v_min_u32_e32 v55, v55, v64
	s_waitcnt vmcnt(0) expcnt(0) lgkmcnt(0)
	v_swap_b32 v2, v55
	v_lshlrev_b64 v[0:1], v2, v[0:1]
	v_swap_b32 v55, v2
	v_min_u32_e32 v0, 1, v0
	v_or_b32_e32 v0, v1, v0
	v_cvt_f32_i32_e32 v0, v0
	v_sub_u32_e32 v1, 32, v55
	v_ldexp_f32 v64, v0, v1
                                        ; implicit-def: $vgpr0_vgpr1
.LBB47_1859:                            ;   in Loop: Header=BB47_17 Depth=1
	s_andn2_saveexec_b64 s[76:77], s[76:77]
	s_cbranch_execz .LBB47_1861
; %bb.1860:                             ;   in Loop: Header=BB47_17 Depth=1
	flat_load_dword v0, v[0:1]
	s_waitcnt vmcnt(0) lgkmcnt(0)
	v_cvt_f32_i32_e32 v64, v0
.LBB47_1861:                            ;   in Loop: Header=BB47_17 Depth=1
	s_or_b64 exec, exec, s[76:77]
                                        ; implicit-def: $vgpr0_vgpr1
.LBB47_1862:                            ;   in Loop: Header=BB47_17 Depth=1
	s_andn2_saveexec_b64 s[74:75], s[74:75]
	s_cbranch_execz .LBB47_1864
; %bb.1863:                             ;   in Loop: Header=BB47_17 Depth=1
	flat_load_sshort v0, v[0:1]
	s_waitcnt vmcnt(0) lgkmcnt(0)
	v_cvt_f32_i32_e32 v64, v0
.LBB47_1864:                            ;   in Loop: Header=BB47_17 Depth=1
	s_or_b64 exec, exec, s[74:75]
                                        ; implicit-def: $vgpr0_vgpr1
.LBB47_1865:                            ;   in Loop: Header=BB47_17 Depth=1
	s_andn2_saveexec_b64 s[72:73], s[72:73]
	s_cbranch_execz .LBB47_1871
; %bb.1866:                             ;   in Loop: Header=BB47_17 Depth=1
	v_cmp_gt_i16_sdwa s[74:75], v7, v14 src0_sel:BYTE_0 src1_sel:DWORD
                                        ; implicit-def: $vgpr64
	s_and_saveexec_b64 s[76:77], s[74:75]
	s_xor_b64 s[74:75], exec, s[76:77]
	s_cbranch_execz .LBB47_1868
; %bb.1867:                             ;   in Loop: Header=BB47_17 Depth=1
	flat_load_sbyte v0, v[0:1]
	s_waitcnt vmcnt(0) lgkmcnt(0)
	v_cvt_f32_i32_e32 v64, v0
                                        ; implicit-def: $vgpr0_vgpr1
.LBB47_1868:                            ;   in Loop: Header=BB47_17 Depth=1
	s_andn2_saveexec_b64 s[74:75], s[74:75]
	s_cbranch_execz .LBB47_1870
; %bb.1869:                             ;   in Loop: Header=BB47_17 Depth=1
	flat_load_ubyte v0, v[0:1]
	s_waitcnt vmcnt(0) lgkmcnt(0)
	v_cvt_f32_ubyte0_e32 v64, v0
.LBB47_1870:                            ;   in Loop: Header=BB47_17 Depth=1
	s_or_b64 exec, exec, s[74:75]
.LBB47_1871:                            ;   in Loop: Header=BB47_17 Depth=1
	s_or_b64 exec, exec, s[72:73]
.LBB47_1872:                            ;   in Loop: Header=BB47_17 Depth=1
	s_or_b64 exec, exec, s[70:71]
	s_andn2_b64 s[62:63], s[62:63], exec
	s_andn2_b64 s[60:61], s[60:61], exec
	s_or_b64 vcc, vcc, exec
	s_or_b64 exec, exec, s[68:69]
	s_mov_b64 s[70:71], 0
	s_and_saveexec_b64 s[68:69], vcc
	s_cbranch_execz .LBB47_1878
.LBB47_1873:                            ;   in Loop: Header=BB47_17 Depth=1
	v_mul_lo_u32 v0, v54, v10
	v_readlane_b32 s70, v44, 0
	v_add_co_u32_e32 v0, vcc, v4, v0
	v_add_u32_e32 v55, s70, v15
	v_addc_co_u32_e32 v1, vcc, 0, v5, vcc
	v_cmp_gt_i16_sdwa s[70:71], v8, v16 src0_sel:BYTE_0 src1_sel:DWORD
	s_mov_b64 s[74:75], 0
	s_waitcnt vmcnt(0) lgkmcnt(0)
	buffer_store_dword v64, v55, s[0:3], 0 offen offset:68
                                        ; implicit-def: $vcc
                                        ; implicit-def: $sgpr72_sgpr73
                                        ; implicit-def: $vgpr54
	s_and_saveexec_b64 s[76:77], s[70:71]
	s_xor_b64 s[70:71], exec, s[76:77]
	s_cbranch_execnz .LBB47_1900
; %bb.1874:                             ;   in Loop: Header=BB47_17 Depth=1
	s_andn2_saveexec_b64 s[70:71], s[70:71]
	s_cbranch_execnz .LBB47_1959
.LBB47_1875:                            ;   in Loop: Header=BB47_17 Depth=1
	s_or_b64 exec, exec, s[70:71]
	s_mov_b64 s[70:71], 0
	s_and_saveexec_b64 s[76:77], s[74:75]
	s_cbranch_execz .LBB47_1877
.LBB47_1876:                            ;   in Loop: Header=BB47_17 Depth=1
	s_mov_b64 s[70:71], exec
	v_add_u32_e32 v53, 0x200, v53
	s_andn2_b64 s[72:73], s[72:73], exec
	s_andn2_b64 vcc, vcc, exec
	s_waitcnt vmcnt(0) lgkmcnt(0)
	buffer_store_dword v54, v55, s[0:3], 0 offen offset:64
.LBB47_1877:                            ;   in Loop: Header=BB47_17 Depth=1
	s_or_b64 exec, exec, s[76:77]
	s_andn2_b64 s[62:63], s[62:63], exec
	s_and_b64 s[72:73], s[72:73], exec
	s_andn2_b64 s[60:61], s[60:61], exec
	s_and_b64 vcc, vcc, exec
	s_or_b64 s[62:63], s[62:63], s[72:73]
	s_or_b64 s[60:61], s[60:61], vcc
	s_and_b64 s[70:71], s[70:71], exec
.LBB47_1878:                            ;   in Loop: Header=BB47_17 Depth=1
	s_or_b64 exec, exec, s[68:69]
	s_and_b64 vcc, s[62:63], exec
	v_writelane_b32 v44, vcc_lo, 2
	v_writelane_b32 v44, vcc_hi, 3
	s_and_b64 s[60:61], s[60:61], exec
	s_orn2_b64 s[68:69], s[70:71], exec
.LBB47_1879:                            ;   in Loop: Header=BB47_17 Depth=1
	s_or_b64 exec, exec, s[64:65]
	s_and_saveexec_b64 s[64:65], s[68:69]
	s_cbranch_execz .LBB47_8
; %bb.1880:                             ;   in Loop: Header=BB47_17 Depth=1
	v_writelane_b32 v44, s60, 4
	v_cmp_lt_i32_e32 vcc, v53, v6
	s_mov_b64 s[72:73], -1
	v_writelane_b32 v44, s61, 5
                                        ; implicit-def: $sgpr62_sgpr63
                                        ; implicit-def: $sgpr60_sgpr61
                                        ; kill: killed $sgpr60_sgpr61
	s_and_saveexec_b64 s[70:71], vcc
	s_cbranch_execz .LBB47_2106
; %bb.1881:                             ;   in Loop: Header=BB47_17 Depth=1
	v_readlane_b32 vcc_lo, v44, 1
	s_waitcnt vmcnt(0) lgkmcnt(0)
	v_add_u32_e32 v54, vcc_lo, v53
	v_mul_lo_u32 v0, v54, v9
	v_add_co_u32_e32 v0, vcc, v2, v0
	v_addc_co_u32_e32 v1, vcc, 0, v3, vcc
	v_cmp_gt_i16_sdwa s[60:61], v7, v16 src0_sel:BYTE_0 src1_sel:DWORD
	s_mov_b64 vcc, 0
                                        ; implicit-def: $sgpr66_sgpr67
                                        ; implicit-def: $sgpr68_sgpr69
                                        ; implicit-def: $vgpr64
	s_and_saveexec_b64 s[74:75], s[60:61]
	s_xor_b64 s[74:75], exec, s[74:75]
	s_cbranch_execnz .LBB47_2000
; %bb.1882:                             ;   in Loop: Header=BB47_17 Depth=1
	s_andn2_saveexec_b64 s[74:75], s[74:75]
	s_cbranch_execnz .LBB47_2059
.LBB47_1883:                            ;   in Loop: Header=BB47_17 Depth=1
	s_or_b64 exec, exec, s[74:75]
	s_mov_b64 s[76:77], 0
	s_and_saveexec_b64 s[74:75], vcc
	s_cbranch_execnz .LBB47_2100
	s_branch .LBB47_2105
.LBB47_1884:                            ;   in Loop: Header=BB47_17 Depth=1
	s_movk_i32 vcc_lo, 0x80
	v_cmp_eq_u16_e32 vcc, vcc_lo, v0
	s_mov_b64 s[56:57], -1
                                        ; implicit-def: $sgpr62
	s_and_saveexec_b64 s[60:61], vcc
; %bb.1885:                             ;   in Loop: Header=BB47_17 Depth=1
	s_mov_b32 s62, 0x7f800001
	s_xor_b64 s[56:57], exec, -1
; %bb.1886:                             ;   in Loop: Header=BB47_17 Depth=1
	s_or_b64 exec, exec, s[60:61]
	s_and_b64 s[56:57], s[56:57], exec
	s_or_saveexec_b64 s[58:59], s[58:59]
	v_mov_b32_e32 v54, s62
	s_xor_b64 exec, exec, s[58:59]
	s_cbranch_execz .LBB47_807
.LBB47_1887:                            ;   in Loop: Header=BB47_17 Depth=1
	v_cmp_ne_u16_e32 vcc, 0, v0
	s_andn2_b64 s[56:57], s[56:57], exec
	s_and_b64 vcc, vcc, exec
	v_mov_b32_e32 v54, 0
	s_or_b64 s[56:57], s[56:57], vcc
	s_or_b64 exec, exec, s[58:59]
	s_and_saveexec_b64 s[58:59], s[56:57]
	s_cbranch_execnz .LBB47_808
	s_branch .LBB47_809
.LBB47_1888:                            ;   in Loop: Header=BB47_17 Depth=1
	s_movk_i32 vcc_lo, 0x80
	v_cmp_eq_u16_e32 vcc, vcc_lo, v0
	s_mov_b64 s[56:57], -1
                                        ; implicit-def: $sgpr62
	s_and_saveexec_b64 s[60:61], vcc
; %bb.1889:                             ;   in Loop: Header=BB47_17 Depth=1
	s_mov_b32 s62, 0x7f800001
	s_xor_b64 s[56:57], exec, -1
; %bb.1890:                             ;   in Loop: Header=BB47_17 Depth=1
	s_or_b64 exec, exec, s[60:61]
	s_and_b64 s[56:57], s[56:57], exec
	s_or_saveexec_b64 s[58:59], s[58:59]
	v_mov_b32_e32 v64, s62
	s_xor_b64 exec, exec, s[58:59]
	s_cbranch_execz .LBB47_907
.LBB47_1891:                            ;   in Loop: Header=BB47_17 Depth=1
	v_cmp_ne_u16_e32 vcc, 0, v0
	s_andn2_b64 s[56:57], s[56:57], exec
	s_and_b64 vcc, vcc, exec
	v_mov_b32_e32 v64, 0
	s_or_b64 s[56:57], s[56:57], vcc
	s_or_b64 exec, exec, s[58:59]
	s_and_saveexec_b64 s[58:59], s[56:57]
	s_cbranch_execnz .LBB47_908
	s_branch .LBB47_909
.LBB47_1892:                            ;   in Loop: Header=BB47_17 Depth=1
	s_movk_i32 vcc_lo, 0x80
	v_cmp_eq_u16_e32 vcc, vcc_lo, v0
	s_mov_b64 s[60:61], -1
                                        ; implicit-def: $sgpr66
	s_and_saveexec_b64 s[64:65], vcc
; %bb.1893:                             ;   in Loop: Header=BB47_17 Depth=1
	s_mov_b32 s66, 0x7f800001
	s_xor_b64 s[60:61], exec, -1
; %bb.1894:                             ;   in Loop: Header=BB47_17 Depth=1
	s_or_b64 exec, exec, s[64:65]
	s_and_b64 s[60:61], s[60:61], exec
	s_or_saveexec_b64 s[62:63], s[62:63]
	v_mov_b32_e32 v54, s66
	s_xor_b64 exec, exec, s[62:63]
	s_cbranch_execz .LBB47_1019
.LBB47_1895:                            ;   in Loop: Header=BB47_17 Depth=1
	v_cmp_ne_u16_e32 vcc, 0, v0
	s_andn2_b64 s[60:61], s[60:61], exec
	s_and_b64 vcc, vcc, exec
	v_mov_b32_e32 v54, 0
	s_or_b64 s[60:61], s[60:61], vcc
	s_or_b64 exec, exec, s[62:63]
	s_and_saveexec_b64 s[62:63], s[60:61]
	s_cbranch_execnz .LBB47_1020
	s_branch .LBB47_1021
.LBB47_1896:                            ;   in Loop: Header=BB47_17 Depth=1
	s_movk_i32 vcc_lo, 0x80
	v_cmp_eq_u16_e32 vcc, vcc_lo, v0
	s_mov_b64 s[60:61], -1
                                        ; implicit-def: $sgpr66
	s_and_saveexec_b64 s[64:65], vcc
; %bb.1897:                             ;   in Loop: Header=BB47_17 Depth=1
	s_mov_b32 s66, 0x7f800001
	s_xor_b64 s[60:61], exec, -1
; %bb.1898:                             ;   in Loop: Header=BB47_17 Depth=1
	s_or_b64 exec, exec, s[64:65]
	s_and_b64 s[60:61], s[60:61], exec
	s_or_saveexec_b64 s[62:63], s[62:63]
	v_mov_b32_e32 v64, s66
	s_xor_b64 exec, exec, s[62:63]
	s_cbranch_execz .LBB47_1119
.LBB47_1899:                            ;   in Loop: Header=BB47_17 Depth=1
	v_cmp_ne_u16_e32 vcc, 0, v0
	s_andn2_b64 s[60:61], s[60:61], exec
	s_and_b64 vcc, vcc, exec
	v_mov_b32_e32 v64, 0
	s_or_b64 s[60:61], s[60:61], vcc
	s_or_b64 exec, exec, s[62:63]
	s_and_saveexec_b64 s[62:63], s[60:61]
	s_cbranch_execnz .LBB47_1120
	s_branch .LBB47_1121
.LBB47_1900:                            ;   in Loop: Header=BB47_17 Depth=1
	v_cmp_gt_i16_sdwa vcc, v8, v17 src0_sel:BYTE_0 src1_sel:DWORD
                                        ; implicit-def: $sgpr76_sgpr77
                                        ; implicit-def: $sgpr78_sgpr79
                                        ; implicit-def: $vgpr54
	s_and_saveexec_b64 s[72:73], vcc
	s_xor_b64 s[72:73], exec, s[72:73]
	s_cbranch_execz .LBB47_1932
; %bb.1901:                             ;   in Loop: Header=BB47_17 Depth=1
	v_cmp_gt_i16_sdwa vcc, v8, v18 src0_sel:BYTE_0 src1_sel:DWORD
                                        ; implicit-def: $sgpr76_sgpr77
                                        ; implicit-def: $sgpr80_sgpr81
                                        ; implicit-def: $vgpr54
	s_and_saveexec_b64 s[78:79], vcc
	s_xor_b64 s[78:79], exec, s[78:79]
	s_cbranch_execz .LBB47_1917
; %bb.1902:                             ;   in Loop: Header=BB47_17 Depth=1
	v_cmp_gt_i16_sdwa s[74:75], v8, v19 src0_sel:BYTE_0 src1_sel:DWORD
	s_mov_b64 s[82:83], 0
                                        ; implicit-def: $vcc
                                        ; implicit-def: $sgpr80_sgpr81
                                        ; implicit-def: $vgpr54
	s_and_saveexec_b64 s[76:77], s[74:75]
	s_xor_b64 s[74:75], exec, s[76:77]
	s_cbranch_execz .LBB47_1912
; %bb.1903:                             ;   in Loop: Header=BB47_17 Depth=1
	v_cmp_gt_i16_sdwa vcc, v8, v20 src0_sel:BYTE_0 src1_sel:DWORD
                                        ; implicit-def: $sgpr80_sgpr81
                                        ; implicit-def: $sgpr76_sgpr77
                                        ; implicit-def: $vgpr54
	s_and_saveexec_b64 s[84:85], vcc
	s_xor_b64 vcc, exec, s[84:85]
	s_cbranch_execz .LBB47_1907
; %bb.1904:                             ;   in Loop: Header=BB47_17 Depth=1
	v_cmp_eq_u16_sdwa s[84:85], v8, v21 src0_sel:BYTE_0 src1_sel:DWORD
	s_mov_b64 s[76:77], 0
                                        ; implicit-def: $vgpr54
	s_and_saveexec_b64 s[80:81], s[84:85]
	s_cbranch_execz .LBB47_1906
; %bb.1905:                             ;   in Loop: Header=BB47_17 Depth=1
	flat_load_dword v0, v[0:1]
	s_mov_b64 s[82:83], exec
	s_waitcnt vmcnt(0) lgkmcnt(0)
	v_lshlrev_b32_e32 v54, 16, v0
.LBB47_1906:                            ;   in Loop: Header=BB47_17 Depth=1
	s_or_b64 exec, exec, s[80:81]
	s_mov_b64 s[80:81], -1
	s_and_b64 s[82:83], s[82:83], exec
                                        ; implicit-def: $vgpr0_vgpr1
.LBB47_1907:                            ;   in Loop: Header=BB47_17 Depth=1
	s_andn2_saveexec_b64 s[84:85], vcc
	s_cbranch_execz .LBB47_1911
; %bb.1908:                             ;   in Loop: Header=BB47_17 Depth=1
	v_cmp_eq_u16_sdwa s[88:89], v8, v22 src0_sel:BYTE_0 src1_sel:DWORD
	s_mov_b64 vcc, s[82:83]
                                        ; implicit-def: $vgpr54
	s_and_saveexec_b64 s[86:87], s[88:89]
	s_cbranch_execz .LBB47_1910
; %bb.1909:                             ;   in Loop: Header=BB47_17 Depth=1
	flat_load_ubyte v0, v[0:1]
	s_movk_i32 vcc_lo, 0xff
	s_waitcnt vmcnt(0) lgkmcnt(0)
	v_lshlrev_b32_e32 v1, 23, v0
	v_cmp_ne_u32_e32 vcc, vcc_lo, v0
	v_cndmask_b32_e32 v1, v23, v1, vcc
	v_cmp_ne_u32_e32 vcc, 0, v0
	v_cndmask_b32_e32 v54, v24, v1, vcc
	s_or_b64 vcc, s[82:83], exec
.LBB47_1910:                            ;   in Loop: Header=BB47_17 Depth=1
	s_or_b64 exec, exec, s[86:87]
	s_andn2_b64 s[82:83], s[82:83], exec
	s_and_b64 vcc, vcc, exec
	s_or_b64 s[80:81], s[80:81], exec
	s_andn2_b64 s[76:77], s[76:77], exec
	s_or_b64 s[82:83], s[82:83], vcc
.LBB47_1911:                            ;   in Loop: Header=BB47_17 Depth=1
	s_or_b64 exec, exec, s[84:85]
	s_and_b64 s[80:81], s[80:81], exec
	s_and_b64 vcc, s[76:77], exec
	s_and_b64 s[82:83], s[82:83], exec
                                        ; implicit-def: $vgpr0_vgpr1
.LBB47_1912:                            ;   in Loop: Header=BB47_17 Depth=1
	s_andn2_saveexec_b64 s[74:75], s[74:75]
	s_cbranch_execz .LBB47_1916
; %bb.1913:                             ;   in Loop: Header=BB47_17 Depth=1
	v_cmp_eq_u16_sdwa s[86:87], v8, v25 src0_sel:BYTE_0 src1_sel:DWORD
	s_mov_b64 s[84:85], s[82:83]
                                        ; implicit-def: $vgpr54
	s_and_saveexec_b64 s[76:77], s[86:87]
	s_cbranch_execz .LBB47_1915
; %bb.1914:                             ;   in Loop: Header=BB47_17 Depth=1
	flat_load_dwordx2 v[0:1], v[0:1]
	s_or_b64 s[84:85], s[82:83], exec
	s_waitcnt vmcnt(0) lgkmcnt(0)
	v_ffbh_u32_e32 v54, v1
	v_min_u32_e32 v54, 32, v54
	v_lshlrev_b64 v[0:1], v54, v[0:1]
	v_min_u32_e32 v0, 1, v0
	v_or_b32_e32 v0, v1, v0
	v_cvt_f32_u32_e32 v0, v0
	v_sub_u32_e32 v1, 32, v54
	v_ldexp_f32 v54, v0, v1
.LBB47_1915:                            ;   in Loop: Header=BB47_17 Depth=1
	s_or_b64 exec, exec, s[76:77]
	s_andn2_b64 s[76:77], s[82:83], exec
	s_and_b64 s[82:83], s[84:85], exec
	s_or_b64 s[80:81], s[80:81], exec
	s_andn2_b64 vcc, vcc, exec
	s_or_b64 s[82:83], s[76:77], s[82:83]
.LBB47_1916:                            ;   in Loop: Header=BB47_17 Depth=1
	s_or_b64 exec, exec, s[74:75]
	s_and_b64 s[80:81], s[80:81], exec
	s_and_b64 s[76:77], vcc, exec
	s_and_b64 s[74:75], s[82:83], exec
                                        ; implicit-def: $vgpr0_vgpr1
.LBB47_1917:                            ;   in Loop: Header=BB47_17 Depth=1
	s_andn2_saveexec_b64 s[78:79], s[78:79]
	s_cbranch_execz .LBB47_1931
; %bb.1918:                             ;   in Loop: Header=BB47_17 Depth=1
	v_cmp_gt_i16_sdwa vcc, v8, v26 src0_sel:BYTE_0 src1_sel:DWORD
                                        ; implicit-def: $vgpr54
	s_and_saveexec_b64 s[82:83], vcc
	s_xor_b64 vcc, exec, s[82:83]
	s_cbranch_execz .LBB47_1924
; %bb.1919:                             ;   in Loop: Header=BB47_17 Depth=1
	v_cmp_gt_i16_sdwa s[82:83], v8, v27 src0_sel:BYTE_0 src1_sel:DWORD
                                        ; implicit-def: $vgpr54
	s_and_saveexec_b64 s[84:85], s[82:83]
	s_xor_b64 s[82:83], exec, s[84:85]
	s_cbranch_execz .LBB47_1921
; %bb.1920:                             ;   in Loop: Header=BB47_17 Depth=1
	flat_load_dword v0, v[0:1]
	s_waitcnt vmcnt(0) lgkmcnt(0)
	v_cvt_f32_u32_e32 v54, v0
                                        ; implicit-def: $vgpr0_vgpr1
.LBB47_1921:                            ;   in Loop: Header=BB47_17 Depth=1
	s_andn2_saveexec_b64 s[82:83], s[82:83]
	s_cbranch_execz .LBB47_1923
; %bb.1922:                             ;   in Loop: Header=BB47_17 Depth=1
	flat_load_ushort v0, v[0:1]
	s_waitcnt vmcnt(0) lgkmcnt(0)
	v_cvt_f32_u32_e32 v54, v0
.LBB47_1923:                            ;   in Loop: Header=BB47_17 Depth=1
	s_or_b64 exec, exec, s[82:83]
                                        ; implicit-def: $vgpr0_vgpr1
.LBB47_1924:                            ;   in Loop: Header=BB47_17 Depth=1
	s_andn2_saveexec_b64 s[82:83], vcc
	s_cbranch_execz .LBB47_1930
; %bb.1925:                             ;   in Loop: Header=BB47_17 Depth=1
	flat_load_ubyte v0, v[0:1]
	s_movk_i32 vcc_lo, 0x7f
	s_mov_b64 s[84:85], 0
                                        ; implicit-def: $sgpr90
	s_waitcnt vmcnt(0) lgkmcnt(0)
	v_cmp_lt_i16_e32 vcc, vcc_lo, v0
	s_and_saveexec_b64 s[86:87], vcc
	s_xor_b64 s[86:87], exec, s[86:87]
	s_cbranch_execnz .LBB47_2900
; %bb.1926:                             ;   in Loop: Header=BB47_17 Depth=1
	s_or_saveexec_b64 s[86:87], s[86:87]
	v_mov_b32_e32 v54, s90
	s_xor_b64 exec, exec, s[86:87]
	s_cbranch_execnz .LBB47_2903
.LBB47_1927:                            ;   in Loop: Header=BB47_17 Depth=1
	s_or_b64 exec, exec, s[86:87]
	s_and_saveexec_b64 s[86:87], s[84:85]
	s_cbranch_execz .LBB47_1929
.LBB47_1928:                            ;   in Loop: Header=BB47_17 Depth=1
	v_lshlrev_b32_e32 v1, 24, v0
	v_and_b32_e32 v0, 0xffff, v0
	v_and_b32_e32 v54, 7, v0
	v_ffbh_u32_e32 v65, v54
	v_min_u32_e32 v65, 32, v65
	v_subrev_u32_e32 v66, 28, v65
	v_bfe_u32 v64, v0, 3, 4
	v_lshlrev_b32_e32 v0, v66, v0
	v_sub_u32_e32 v65, 29, v65
	v_and_b32_e32 v0, 7, v0
	v_cmp_eq_u32_e32 vcc, 0, v64
	v_cndmask_b32_e32 v64, v64, v65, vcc
	v_cndmask_b32_e32 v0, v54, v0, vcc
	v_lshlrev_b32_e32 v0, 20, v0
	v_and_b32_e32 v1, 0x80000000, v1
	v_lshl_add_u32 v54, v64, 23, v28
	v_or3_b32 v54, v1, v54, v0
.LBB47_1929:                            ;   in Loop: Header=BB47_17 Depth=1
	s_or_b64 exec, exec, s[86:87]
.LBB47_1930:                            ;   in Loop: Header=BB47_17 Depth=1
	s_or_b64 exec, exec, s[82:83]
	s_andn2_b64 s[80:81], s[80:81], exec
	s_andn2_b64 s[76:77], s[76:77], exec
	s_or_b64 s[74:75], s[74:75], exec
.LBB47_1931:                            ;   in Loop: Header=BB47_17 Depth=1
	s_or_b64 exec, exec, s[78:79]
	s_and_b64 s[78:79], s[80:81], exec
	s_and_b64 s[76:77], s[76:77], exec
	;; [unrolled: 1-line block ×3, first 2 shown]
                                        ; implicit-def: $vgpr0_vgpr1
.LBB47_1932:                            ;   in Loop: Header=BB47_17 Depth=1
	s_andn2_saveexec_b64 s[72:73], s[72:73]
	s_cbranch_execz .LBB47_1958
; %bb.1933:                             ;   in Loop: Header=BB47_17 Depth=1
	v_cmp_gt_i16_sdwa vcc, v8, v29 src0_sel:BYTE_0 src1_sel:DWORD
	s_mov_b64 s[82:83], s[74:75]
                                        ; implicit-def: $vgpr54
	s_and_saveexec_b64 s[80:81], vcc
	s_xor_b64 s[80:81], exec, s[80:81]
	s_cbranch_execz .LBB47_1947
; %bb.1934:                             ;   in Loop: Header=BB47_17 Depth=1
	v_cmp_gt_i16_sdwa vcc, v8, v30 src0_sel:BYTE_0 src1_sel:DWORD
                                        ; implicit-def: $vgpr54
	s_and_saveexec_b64 s[82:83], vcc
	s_xor_b64 s[82:83], exec, s[82:83]
	s_cbranch_execz .LBB47_1944
; %bb.1935:                             ;   in Loop: Header=BB47_17 Depth=1
	v_cmp_gt_i16_sdwa vcc, v8, v31 src0_sel:BYTE_0 src1_sel:DWORD
                                        ; implicit-def: $vgpr54
	s_and_saveexec_b64 s[84:85], vcc
	s_xor_b64 s[84:85], exec, s[84:85]
	s_cbranch_execz .LBB47_1941
; %bb.1936:                             ;   in Loop: Header=BB47_17 Depth=1
	flat_load_ubyte v0, v[0:1]
	s_movk_i32 vcc_lo, 0x7f
	s_mov_b64 s[86:87], 0
                                        ; implicit-def: $sgpr92
	s_waitcnt vmcnt(0) lgkmcnt(0)
	v_cmp_lt_i16_e32 vcc, vcc_lo, v0
	s_and_saveexec_b64 s[88:89], vcc
	s_xor_b64 s[88:89], exec, s[88:89]
	s_cbranch_execnz .LBB47_3119
; %bb.1937:                             ;   in Loop: Header=BB47_17 Depth=1
	s_or_saveexec_b64 s[88:89], s[88:89]
	v_mov_b32_e32 v54, s92
	s_xor_b64 exec, exec, s[88:89]
	s_cbranch_execnz .LBB47_3122
.LBB47_1938:                            ;   in Loop: Header=BB47_17 Depth=1
	s_or_b64 exec, exec, s[88:89]
	s_and_saveexec_b64 s[88:89], s[86:87]
	s_cbranch_execz .LBB47_1940
.LBB47_1939:                            ;   in Loop: Header=BB47_17 Depth=1
	v_lshlrev_b32_e32 v1, 24, v0
	v_and_b32_e32 v0, 0xffff, v0
	v_and_b32_e32 v54, 3, v0
	v_ffbh_u32_e32 v65, v54
	v_min_u32_e32 v65, 32, v65
	v_subrev_u32_e32 v66, 29, v65
	v_bfe_u32 v64, v0, 2, 5
	v_lshlrev_b32_e32 v0, v66, v0
	v_sub_u32_e32 v65, 30, v65
	v_and_b32_e32 v0, 3, v0
	v_cmp_eq_u32_e32 vcc, 0, v64
	v_cndmask_b32_e32 v64, v64, v65, vcc
	v_cndmask_b32_e32 v0, v54, v0, vcc
	v_lshlrev_b32_e32 v0, 21, v0
	v_and_b32_e32 v1, 0x80000000, v1
	v_lshl_add_u32 v54, v64, 23, v32
	v_or3_b32 v54, v1, v54, v0
.LBB47_1940:                            ;   in Loop: Header=BB47_17 Depth=1
	s_or_b64 exec, exec, s[88:89]
                                        ; implicit-def: $vgpr0_vgpr1
.LBB47_1941:                            ;   in Loop: Header=BB47_17 Depth=1
	s_andn2_saveexec_b64 s[84:85], s[84:85]
	s_cbranch_execz .LBB47_1943
; %bb.1942:                             ;   in Loop: Header=BB47_17 Depth=1
	flat_load_ubyte v0, v[0:1]
	s_mov_b32 vcc_lo, 0x7f800000
	s_waitcnt vmcnt(0) lgkmcnt(0)
	v_lshlrev_b32_e32 v0, 24, v0
	v_and_b32_e32 v1, 0x7f000000, v0
	v_ffbh_u32_e32 v54, v1
	v_min_u32_e32 v54, 32, v54
	v_sub_u32_e64 v54, v54, 4 clamp
	v_lshlrev_b32_e32 v65, v54, v1
	v_lshlrev_b32_e32 v54, 23, v54
	v_lshrrev_b32_e32 v65, 4, v65
	v_add_u32_e32 v64, 0x1000000, v1
	v_sub_u32_e32 v54, v65, v54
	v_ashrrev_i32_e32 v64, 8, v64
	v_add_u32_e32 v54, 0x3c000000, v54
	v_and_or_b32 v54, v64, vcc_lo, v54
	v_cmp_ne_u32_e32 vcc, 0, v1
	v_cndmask_b32_e32 v1, 0, v54, vcc
	s_brev_b32 vcc_lo, 1
	v_and_or_b32 v54, v0, vcc_lo, v1
.LBB47_1943:                            ;   in Loop: Header=BB47_17 Depth=1
	s_or_b64 exec, exec, s[84:85]
                                        ; implicit-def: $vgpr0_vgpr1
.LBB47_1944:                            ;   in Loop: Header=BB47_17 Depth=1
	s_andn2_saveexec_b64 s[82:83], s[82:83]
	s_cbranch_execz .LBB47_1946
; %bb.1945:                             ;   in Loop: Header=BB47_17 Depth=1
	flat_load_ubyte v0, v[0:1]
	s_movk_i32 vcc_lo, 0x7f00
	s_waitcnt vmcnt(0) lgkmcnt(0)
	v_lshlrev_b16_e32 v1, 8, v0
	v_lshlrev_b32_e32 v0, 25, v0
	v_lshrrev_b32_e32 v54, 4, v0
	v_and_or_b32 v64, v1, vcc_lo, 0.5
	v_or_b32_e32 v54, 0x70000000, v54
	s_brev_b32 vcc_lo, 16
	v_add_f32_e32 v64, -0.5, v64
	v_mul_f32_e32 v54, 0x7800000, v54
	v_cmp_gt_u32_e32 vcc, vcc_lo, v0
	v_cndmask_b32_e32 v0, v54, v64, vcc
	v_bfe_i32 v1, v1, 0, 16
	s_brev_b32 vcc_lo, 1
	v_and_or_b32 v54, v1, vcc_lo, v0
.LBB47_1946:                            ;   in Loop: Header=BB47_17 Depth=1
	s_or_b64 exec, exec, s[82:83]
	s_or_b64 s[82:83], s[74:75], exec
                                        ; implicit-def: $vgpr0_vgpr1
.LBB47_1947:                            ;   in Loop: Header=BB47_17 Depth=1
	s_or_saveexec_b64 s[80:81], s[80:81]
                                        ; implicit-def: $vcc
                                        ; implicit-def: $sgpr88_sgpr89
	s_xor_b64 exec, exec, s[80:81]
	s_cbranch_execz .LBB47_1957
; %bb.1948:                             ;   in Loop: Header=BB47_17 Depth=1
	v_cmp_gt_i16_sdwa vcc, v8, v33 src0_sel:BYTE_0 src1_sel:DWORD
	s_mov_b64 s[86:87], s[82:83]
                                        ; implicit-def: $sgpr88_sgpr89
                                        ; implicit-def: $sgpr84_sgpr85
                                        ; implicit-def: $vgpr54
	s_and_saveexec_b64 s[90:91], vcc
	s_xor_b64 vcc, exec, s[90:91]
	s_cbranch_execz .LBB47_1952
; %bb.1949:                             ;   in Loop: Header=BB47_17 Depth=1
	v_cmp_eq_u16_sdwa s[88:89], v8, v34 src0_sel:BYTE_0 src1_sel:DWORD
	s_mov_b64 s[86:87], s[82:83]
                                        ; implicit-def: $vgpr54
	s_and_saveexec_b64 s[84:85], s[88:89]
	s_cbranch_execz .LBB47_1951
; %bb.1950:                             ;   in Loop: Header=BB47_17 Depth=1
	flat_load_ushort v0, v[0:1]
	s_or_b64 s[86:87], s[82:83], exec
	s_waitcnt vmcnt(0) lgkmcnt(0)
	v_lshlrev_b32_e32 v54, 16, v0
.LBB47_1951:                            ;   in Loop: Header=BB47_17 Depth=1
	s_or_b64 exec, exec, s[84:85]
	s_andn2_b64 s[90:91], s[82:83], exec
	s_and_b64 s[86:87], s[86:87], exec
	s_mov_b64 s[84:85], 0
	s_mov_b64 s[88:89], -1
	s_or_b64 s[86:87], s[90:91], s[86:87]
                                        ; implicit-def: $vgpr0_vgpr1
.LBB47_1952:                            ;   in Loop: Header=BB47_17 Depth=1
	s_andn2_saveexec_b64 s[90:91], vcc
	s_cbranch_execz .LBB47_1956
; %bb.1953:                             ;   in Loop: Header=BB47_17 Depth=1
	v_cmp_eq_u16_sdwa s[94:95], v8, v35 src0_sel:BYTE_0 src1_sel:DWORD
	s_mov_b64 vcc, s[86:87]
                                        ; implicit-def: $vgpr54
	s_and_saveexec_b64 s[92:93], s[94:95]
	s_cbranch_execz .LBB47_1955
; %bb.1954:                             ;   in Loop: Header=BB47_17 Depth=1
	flat_load_ubyte v0, v[0:1]
	s_waitcnt vmcnt(0) lgkmcnt(0)
	v_cmp_ne_u16_e32 vcc, 0, v0
	v_cndmask_b32_e64 v54, 0, 1.0, vcc
	s_or_b64 vcc, s[86:87], exec
.LBB47_1955:                            ;   in Loop: Header=BB47_17 Depth=1
	s_or_b64 exec, exec, s[92:93]
	s_andn2_b64 s[86:87], s[86:87], exec
	s_and_b64 vcc, vcc, exec
	s_or_b64 s[88:89], s[88:89], exec
	s_andn2_b64 s[84:85], s[84:85], exec
	s_or_b64 s[86:87], s[86:87], vcc
.LBB47_1956:                            ;   in Loop: Header=BB47_17 Depth=1
	s_or_b64 exec, exec, s[90:91]
	s_and_b64 vcc, s[84:85], exec
	s_andn2_b64 s[82:83], s[82:83], exec
	s_and_b64 s[84:85], s[86:87], exec
	s_and_b64 s[88:89], s[88:89], exec
	s_or_b64 s[82:83], s[82:83], s[84:85]
.LBB47_1957:                            ;   in Loop: Header=BB47_17 Depth=1
	s_or_b64 exec, exec, s[80:81]
	s_andn2_b64 s[76:77], s[76:77], exec
	s_and_b64 vcc, vcc, exec
	s_andn2_b64 s[78:79], s[78:79], exec
	s_and_b64 s[80:81], s[88:89], exec
	s_or_b64 s[76:77], s[76:77], vcc
	s_andn2_b64 vcc, s[74:75], exec
	s_and_b64 s[74:75], s[82:83], exec
	s_or_b64 s[78:79], s[78:79], s[80:81]
	s_or_b64 s[74:75], vcc, s[74:75]
.LBB47_1958:                            ;   in Loop: Header=BB47_17 Depth=1
	s_or_b64 exec, exec, s[72:73]
	s_and_b64 s[72:73], s[78:79], exec
	s_and_b64 vcc, s[76:77], exec
	s_and_b64 s[74:75], s[74:75], exec
                                        ; implicit-def: $vgpr0_vgpr1
	s_andn2_saveexec_b64 s[70:71], s[70:71]
	s_cbranch_execz .LBB47_1875
.LBB47_1959:                            ;   in Loop: Header=BB47_17 Depth=1
	v_cmp_gt_i16_sdwa s[76:77], v8, v36 src0_sel:BYTE_0 src1_sel:DWORD
                                        ; implicit-def: $vgpr54
	s_and_saveexec_b64 s[78:79], s[76:77]
	s_xor_b64 s[76:77], exec, s[78:79]
	s_cbranch_execz .LBB47_1981
; %bb.1960:                             ;   in Loop: Header=BB47_17 Depth=1
	v_cmp_gt_i16_sdwa s[78:79], v8, v37 src0_sel:BYTE_0 src1_sel:DWORD
                                        ; implicit-def: $vgpr54
	s_and_saveexec_b64 s[80:81], s[78:79]
	s_xor_b64 s[78:79], exec, s[80:81]
	s_cbranch_execz .LBB47_1970
; %bb.1961:                             ;   in Loop: Header=BB47_17 Depth=1
	;; [unrolled: 6-line block ×4, first 2 shown]
	flat_load_dwordx2 v[0:1], v[0:1]
	s_waitcnt vmcnt(0) lgkmcnt(0)
	v_cvt_f32_f64_e32 v54, v[0:1]
                                        ; implicit-def: $vgpr0_vgpr1
.LBB47_1964:                            ;   in Loop: Header=BB47_17 Depth=1
	s_andn2_saveexec_b64 s[82:83], s[82:83]
	s_cbranch_execz .LBB47_1966
; %bb.1965:                             ;   in Loop: Header=BB47_17 Depth=1
	flat_load_dword v54, v[0:1]
.LBB47_1966:                            ;   in Loop: Header=BB47_17 Depth=1
	s_or_b64 exec, exec, s[82:83]
                                        ; implicit-def: $vgpr0_vgpr1
.LBB47_1967:                            ;   in Loop: Header=BB47_17 Depth=1
	s_andn2_saveexec_b64 s[80:81], s[80:81]
	s_cbranch_execz .LBB47_1969
; %bb.1968:                             ;   in Loop: Header=BB47_17 Depth=1
	flat_load_dword v0, v[0:1]
	s_waitcnt vmcnt(0) lgkmcnt(0)
	v_cvt_f32_f16_e32 v54, v0
.LBB47_1969:                            ;   in Loop: Header=BB47_17 Depth=1
	s_or_b64 exec, exec, s[80:81]
                                        ; implicit-def: $vgpr0_vgpr1
.LBB47_1970:                            ;   in Loop: Header=BB47_17 Depth=1
	s_andn2_saveexec_b64 s[78:79], s[78:79]
	s_cbranch_execz .LBB47_1980
; %bb.1971:                             ;   in Loop: Header=BB47_17 Depth=1
	v_cmp_gt_i16_sdwa s[80:81], v8, v48 src0_sel:BYTE_0 src1_sel:DWORD
                                        ; implicit-def: $vgpr54
	s_and_saveexec_b64 s[82:83], s[80:81]
	s_xor_b64 s[80:81], exec, s[82:83]
	s_cbranch_execz .LBB47_1977
; %bb.1972:                             ;   in Loop: Header=BB47_17 Depth=1
	v_cmp_gt_i16_sdwa s[82:83], v8, v49 src0_sel:BYTE_0 src1_sel:DWORD
                                        ; implicit-def: $vgpr54
	s_and_saveexec_b64 s[84:85], s[82:83]
	s_xor_b64 s[82:83], exec, s[84:85]
	s_cbranch_execz .LBB47_1974
; %bb.1973:                             ;   in Loop: Header=BB47_17 Depth=1
	flat_load_dwordx2 v[0:1], v[0:1]
	s_waitcnt vmcnt(0) lgkmcnt(0)
	v_cvt_f32_f64_e32 v54, v[0:1]
                                        ; implicit-def: $vgpr0_vgpr1
.LBB47_1974:                            ;   in Loop: Header=BB47_17 Depth=1
	s_andn2_saveexec_b64 s[82:83], s[82:83]
	s_cbranch_execz .LBB47_1976
; %bb.1975:                             ;   in Loop: Header=BB47_17 Depth=1
	s_waitcnt vmcnt(0) lgkmcnt(0)
	flat_load_dword v54, v[0:1]
.LBB47_1976:                            ;   in Loop: Header=BB47_17 Depth=1
	s_or_b64 exec, exec, s[82:83]
                                        ; implicit-def: $vgpr0_vgpr1
.LBB47_1977:                            ;   in Loop: Header=BB47_17 Depth=1
	s_andn2_saveexec_b64 s[80:81], s[80:81]
	s_cbranch_execz .LBB47_1979
; %bb.1978:                             ;   in Loop: Header=BB47_17 Depth=1
	flat_load_ushort v0, v[0:1]
	s_waitcnt vmcnt(0) lgkmcnt(0)
	v_cvt_f32_f16_e32 v54, v0
.LBB47_1979:                            ;   in Loop: Header=BB47_17 Depth=1
	s_or_b64 exec, exec, s[80:81]
.LBB47_1980:                            ;   in Loop: Header=BB47_17 Depth=1
	s_or_b64 exec, exec, s[78:79]
                                        ; implicit-def: $vgpr0_vgpr1
.LBB47_1981:                            ;   in Loop: Header=BB47_17 Depth=1
	s_andn2_saveexec_b64 s[76:77], s[76:77]
	s_cbranch_execz .LBB47_1999
; %bb.1982:                             ;   in Loop: Header=BB47_17 Depth=1
	v_cmp_gt_i16_sdwa s[78:79], v8, v50 src0_sel:BYTE_0 src1_sel:DWORD
                                        ; implicit-def: $vgpr54
	s_and_saveexec_b64 s[80:81], s[78:79]
	s_xor_b64 s[78:79], exec, s[80:81]
	s_cbranch_execz .LBB47_1992
; %bb.1983:                             ;   in Loop: Header=BB47_17 Depth=1
	v_cmp_gt_i16_sdwa s[80:81], v8, v51 src0_sel:BYTE_0 src1_sel:DWORD
                                        ; implicit-def: $vgpr54
	s_and_saveexec_b64 s[82:83], s[80:81]
	s_xor_b64 s[80:81], exec, s[82:83]
	;; [unrolled: 6-line block ×3, first 2 shown]
	s_cbranch_execz .LBB47_1986
; %bb.1985:                             ;   in Loop: Header=BB47_17 Depth=1
	flat_load_dwordx2 v[0:1], v[0:1]
	s_waitcnt vmcnt(0) lgkmcnt(0)
	v_xor_b32_e32 v64, v0, v1
	v_ffbh_i32_e32 v54, v1
	v_ashrrev_i32_e32 v64, 31, v64
	v_add_u32_e32 v54, -1, v54
	v_add_u32_e32 v64, 32, v64
	v_min_u32_e32 v54, v54, v64
	v_lshlrev_b64 v[0:1], v54, v[0:1]
	v_min_u32_e32 v0, 1, v0
	v_or_b32_e32 v0, v1, v0
	v_cvt_f32_i32_e32 v0, v0
	v_sub_u32_e32 v1, 32, v54
	v_ldexp_f32 v54, v0, v1
                                        ; implicit-def: $vgpr0_vgpr1
.LBB47_1986:                            ;   in Loop: Header=BB47_17 Depth=1
	s_andn2_saveexec_b64 s[82:83], s[82:83]
	s_cbranch_execz .LBB47_1988
; %bb.1987:                             ;   in Loop: Header=BB47_17 Depth=1
	flat_load_dword v0, v[0:1]
	s_waitcnt vmcnt(0) lgkmcnt(0)
	v_cvt_f32_i32_e32 v54, v0
.LBB47_1988:                            ;   in Loop: Header=BB47_17 Depth=1
	s_or_b64 exec, exec, s[82:83]
                                        ; implicit-def: $vgpr0_vgpr1
.LBB47_1989:                            ;   in Loop: Header=BB47_17 Depth=1
	s_andn2_saveexec_b64 s[80:81], s[80:81]
	s_cbranch_execz .LBB47_1991
; %bb.1990:                             ;   in Loop: Header=BB47_17 Depth=1
	flat_load_sshort v0, v[0:1]
	s_waitcnt vmcnt(0) lgkmcnt(0)
	v_cvt_f32_i32_e32 v54, v0
.LBB47_1991:                            ;   in Loop: Header=BB47_17 Depth=1
	s_or_b64 exec, exec, s[80:81]
                                        ; implicit-def: $vgpr0_vgpr1
.LBB47_1992:                            ;   in Loop: Header=BB47_17 Depth=1
	s_andn2_saveexec_b64 s[78:79], s[78:79]
	s_cbranch_execz .LBB47_1998
; %bb.1993:                             ;   in Loop: Header=BB47_17 Depth=1
	v_cmp_gt_i16_sdwa s[80:81], v8, v14 src0_sel:BYTE_0 src1_sel:DWORD
                                        ; implicit-def: $vgpr54
	s_and_saveexec_b64 s[82:83], s[80:81]
	s_xor_b64 s[80:81], exec, s[82:83]
	s_cbranch_execz .LBB47_1995
; %bb.1994:                             ;   in Loop: Header=BB47_17 Depth=1
	flat_load_sbyte v0, v[0:1]
	s_waitcnt vmcnt(0) lgkmcnt(0)
	v_cvt_f32_i32_e32 v54, v0
                                        ; implicit-def: $vgpr0_vgpr1
.LBB47_1995:                            ;   in Loop: Header=BB47_17 Depth=1
	s_andn2_saveexec_b64 s[80:81], s[80:81]
	s_cbranch_execz .LBB47_1997
; %bb.1996:                             ;   in Loop: Header=BB47_17 Depth=1
	flat_load_ubyte v0, v[0:1]
	s_waitcnt vmcnt(0) lgkmcnt(0)
	v_cvt_f32_ubyte0_e32 v54, v0
.LBB47_1997:                            ;   in Loop: Header=BB47_17 Depth=1
	s_or_b64 exec, exec, s[80:81]
.LBB47_1998:                            ;   in Loop: Header=BB47_17 Depth=1
	s_or_b64 exec, exec, s[78:79]
.LBB47_1999:                            ;   in Loop: Header=BB47_17 Depth=1
	s_or_b64 exec, exec, s[76:77]
	s_andn2_b64 s[72:73], s[72:73], exec
	s_andn2_b64 vcc, vcc, exec
	s_or_b64 s[74:75], s[74:75], exec
	s_or_b64 exec, exec, s[70:71]
	s_mov_b64 s[70:71], 0
	s_and_saveexec_b64 s[76:77], s[74:75]
	s_cbranch_execnz .LBB47_1876
	s_branch .LBB47_1877
.LBB47_2000:                            ;   in Loop: Header=BB47_17 Depth=1
	v_cmp_gt_i16_sdwa vcc, v7, v17 src0_sel:BYTE_0 src1_sel:DWORD
	s_mov_b64 s[76:77], 0
                                        ; implicit-def: $sgpr78_sgpr79
                                        ; implicit-def: $sgpr68_sgpr69
                                        ; implicit-def: $vgpr64
	s_and_saveexec_b64 s[60:61], vcc
	s_xor_b64 s[66:67], exec, s[60:61]
	s_cbranch_execz .LBB47_2032
; %bb.2001:                             ;   in Loop: Header=BB47_17 Depth=1
	v_cmp_gt_i16_sdwa vcc, v7, v18 src0_sel:BYTE_0 src1_sel:DWORD
                                        ; implicit-def: $sgpr78_sgpr79
                                        ; implicit-def: $sgpr80_sgpr81
                                        ; implicit-def: $vgpr64
	s_and_saveexec_b64 s[60:61], vcc
	s_xor_b64 s[68:69], exec, s[60:61]
	s_cbranch_execz .LBB47_2017
; %bb.2002:                             ;   in Loop: Header=BB47_17 Depth=1
	v_cmp_gt_i16_sdwa s[60:61], v7, v19 src0_sel:BYTE_0 src1_sel:DWORD
	s_mov_b64 s[82:83], 0
                                        ; implicit-def: $vcc
                                        ; implicit-def: $sgpr78_sgpr79
                                        ; implicit-def: $vgpr64
	s_and_saveexec_b64 s[76:77], s[60:61]
	s_xor_b64 s[76:77], exec, s[76:77]
	s_cbranch_execz .LBB47_2012
; %bb.2003:                             ;   in Loop: Header=BB47_17 Depth=1
	v_cmp_gt_i16_sdwa vcc, v7, v20 src0_sel:BYTE_0 src1_sel:DWORD
	s_mov_b64 s[80:81], 0
                                        ; implicit-def: $sgpr78_sgpr79
                                        ; implicit-def: $sgpr82_sgpr83
                                        ; implicit-def: $vgpr64
	s_and_saveexec_b64 s[60:61], vcc
	s_xor_b64 vcc, exec, s[60:61]
	s_cbranch_execz .LBB47_2007
; %bb.2004:                             ;   in Loop: Header=BB47_17 Depth=1
	v_cmp_eq_u16_sdwa s[60:61], v7, v21 src0_sel:BYTE_0 src1_sel:DWORD
	s_mov_b64 s[78:79], 0
                                        ; implicit-def: $vgpr64
	s_and_saveexec_b64 s[82:83], s[60:61]
	s_cbranch_execz .LBB47_2006
; %bb.2005:                             ;   in Loop: Header=BB47_17 Depth=1
	flat_load_dword v0, v[0:1]
	s_mov_b64 s[80:81], exec
	s_waitcnt vmcnt(0) lgkmcnt(0)
	v_lshlrev_b32_e32 v64, 16, v0
.LBB47_2006:                            ;   in Loop: Header=BB47_17 Depth=1
	s_or_b64 exec, exec, s[82:83]
	s_mov_b64 s[82:83], -1
	s_and_b64 s[80:81], s[80:81], exec
                                        ; implicit-def: $vgpr0_vgpr1
.LBB47_2007:                            ;   in Loop: Header=BB47_17 Depth=1
	s_andn2_saveexec_b64 s[84:85], vcc
	s_cbranch_execz .LBB47_2011
; %bb.2008:                             ;   in Loop: Header=BB47_17 Depth=1
	v_cmp_eq_u16_sdwa s[60:61], v7, v22 src0_sel:BYTE_0 src1_sel:DWORD
	s_mov_b64 vcc, s[80:81]
                                        ; implicit-def: $vgpr64
	s_and_saveexec_b64 s[86:87], s[60:61]
	s_cbranch_execz .LBB47_2010
; %bb.2009:                             ;   in Loop: Header=BB47_17 Depth=1
	flat_load_ubyte v0, v[0:1]
	s_movk_i32 vcc_lo, 0xff
	s_waitcnt vmcnt(0) lgkmcnt(0)
	v_lshlrev_b32_e32 v1, 23, v0
	v_cmp_ne_u32_e32 vcc, vcc_lo, v0
	v_cndmask_b32_e32 v1, v23, v1, vcc
	v_cmp_ne_u32_e32 vcc, 0, v0
	v_cndmask_b32_e32 v64, v24, v1, vcc
	s_or_b64 vcc, s[80:81], exec
.LBB47_2010:                            ;   in Loop: Header=BB47_17 Depth=1
	s_or_b64 exec, exec, s[86:87]
	s_andn2_b64 s[60:61], s[80:81], exec
	s_and_b64 vcc, vcc, exec
	s_andn2_b64 s[78:79], s[78:79], exec
	s_or_b64 s[82:83], s[82:83], exec
	s_or_b64 s[80:81], s[60:61], vcc
.LBB47_2011:                            ;   in Loop: Header=BB47_17 Depth=1
	s_or_b64 exec, exec, s[84:85]
	s_and_b64 s[78:79], s[78:79], exec
	s_and_b64 vcc, s[82:83], exec
	s_and_b64 s[82:83], s[80:81], exec
                                        ; implicit-def: $vgpr0_vgpr1
.LBB47_2012:                            ;   in Loop: Header=BB47_17 Depth=1
	s_andn2_saveexec_b64 s[76:77], s[76:77]
	s_cbranch_execz .LBB47_2016
; %bb.2013:                             ;   in Loop: Header=BB47_17 Depth=1
	v_cmp_eq_u16_sdwa s[60:61], v7, v25 src0_sel:BYTE_0 src1_sel:DWORD
	s_mov_b64 s[84:85], s[82:83]
                                        ; implicit-def: $vgpr64
	s_and_saveexec_b64 s[80:81], s[60:61]
	s_cbranch_execz .LBB47_2015
; %bb.2014:                             ;   in Loop: Header=BB47_17 Depth=1
	flat_load_dwordx2 v[0:1], v[0:1]
	s_or_b64 s[84:85], s[82:83], exec
	s_waitcnt vmcnt(0) lgkmcnt(0)
	v_ffbh_u32_e32 v55, v1
	v_min_u32_e32 v55, 32, v55
	s_waitcnt vmcnt(0) expcnt(0) lgkmcnt(0)
	v_swap_b32 v2, v55
	v_lshlrev_b64 v[0:1], v2, v[0:1]
	v_swap_b32 v55, v2
	v_min_u32_e32 v0, 1, v0
	v_or_b32_e32 v0, v1, v0
	v_cvt_f32_u32_e32 v0, v0
	v_sub_u32_e32 v1, 32, v55
	v_ldexp_f32 v64, v0, v1
.LBB47_2015:                            ;   in Loop: Header=BB47_17 Depth=1
	s_or_b64 exec, exec, s[80:81]
	s_andn2_b64 s[60:61], s[82:83], exec
	s_and_b64 s[80:81], s[84:85], exec
	s_andn2_b64 s[78:79], s[78:79], exec
	s_or_b64 vcc, vcc, exec
	s_or_b64 s[82:83], s[60:61], s[80:81]
.LBB47_2016:                            ;   in Loop: Header=BB47_17 Depth=1
	s_or_b64 exec, exec, s[76:77]
	s_and_b64 s[80:81], s[78:79], exec
	s_and_b64 s[78:79], vcc, exec
	s_and_b64 s[76:77], s[82:83], exec
                                        ; implicit-def: $vgpr0_vgpr1
.LBB47_2017:                            ;   in Loop: Header=BB47_17 Depth=1
	s_andn2_saveexec_b64 s[68:69], s[68:69]
	s_cbranch_execz .LBB47_2031
; %bb.2018:                             ;   in Loop: Header=BB47_17 Depth=1
	v_cmp_gt_i16_sdwa vcc, v7, v26 src0_sel:BYTE_0 src1_sel:DWORD
                                        ; implicit-def: $vgpr64
	s_and_saveexec_b64 s[60:61], vcc
	s_xor_b64 vcc, exec, s[60:61]
	s_cbranch_execz .LBB47_2024
; %bb.2019:                             ;   in Loop: Header=BB47_17 Depth=1
	v_cmp_gt_i16_sdwa s[60:61], v7, v27 src0_sel:BYTE_0 src1_sel:DWORD
                                        ; implicit-def: $vgpr64
	s_and_saveexec_b64 s[82:83], s[60:61]
	s_xor_b64 s[60:61], exec, s[82:83]
	s_cbranch_execz .LBB47_2021
; %bb.2020:                             ;   in Loop: Header=BB47_17 Depth=1
	flat_load_dword v0, v[0:1]
	s_waitcnt vmcnt(0) lgkmcnt(0)
	v_cvt_f32_u32_e32 v64, v0
                                        ; implicit-def: $vgpr0_vgpr1
.LBB47_2021:                            ;   in Loop: Header=BB47_17 Depth=1
	s_andn2_saveexec_b64 s[82:83], s[60:61]
	s_cbranch_execz .LBB47_2023
; %bb.2022:                             ;   in Loop: Header=BB47_17 Depth=1
	flat_load_ushort v0, v[0:1]
	s_waitcnt vmcnt(0) lgkmcnt(0)
	v_cvt_f32_u32_e32 v64, v0
.LBB47_2023:                            ;   in Loop: Header=BB47_17 Depth=1
	s_or_b64 exec, exec, s[82:83]
                                        ; implicit-def: $vgpr0_vgpr1
.LBB47_2024:                            ;   in Loop: Header=BB47_17 Depth=1
	s_andn2_saveexec_b64 s[82:83], vcc
	s_cbranch_execz .LBB47_2030
; %bb.2025:                             ;   in Loop: Header=BB47_17 Depth=1
	flat_load_ubyte v0, v[0:1]
	s_movk_i32 vcc_lo, 0x7f
	s_mov_b64 s[84:85], 0
                                        ; implicit-def: $sgpr88
	s_waitcnt vmcnt(0) lgkmcnt(0)
	v_cmp_lt_i16_e32 vcc, vcc_lo, v0
	s_and_saveexec_b64 s[60:61], vcc
	s_xor_b64 s[86:87], exec, s[60:61]
	s_cbranch_execnz .LBB47_2904
; %bb.2026:                             ;   in Loop: Header=BB47_17 Depth=1
	s_or_saveexec_b64 s[86:87], s[86:87]
	v_mov_b32_e32 v64, s88
	s_xor_b64 exec, exec, s[86:87]
	s_cbranch_execnz .LBB47_2907
.LBB47_2027:                            ;   in Loop: Header=BB47_17 Depth=1
	s_or_b64 exec, exec, s[86:87]
	s_and_saveexec_b64 s[86:87], s[84:85]
	s_cbranch_execz .LBB47_2029
.LBB47_2028:                            ;   in Loop: Header=BB47_17 Depth=1
	v_lshlrev_b32_e32 v1, 24, v0
	v_and_b32_e32 v0, 0xffff, v0
	v_and_b32_e32 v55, 7, v0
	v_ffbh_u32_e32 v65, v55
	v_min_u32_e32 v65, 32, v65
	v_subrev_u32_e32 v66, 28, v65
	v_bfe_u32 v64, v0, 3, 4
	v_lshlrev_b32_e32 v0, v66, v0
	v_sub_u32_e32 v65, 29, v65
	v_and_b32_e32 v0, 7, v0
	v_cmp_eq_u32_e32 vcc, 0, v64
	v_cndmask_b32_e32 v64, v64, v65, vcc
	v_cndmask_b32_e32 v0, v55, v0, vcc
	v_lshlrev_b32_e32 v0, 20, v0
	v_and_b32_e32 v1, 0x80000000, v1
	v_lshl_add_u32 v55, v64, 23, v28
	v_or3_b32 v64, v1, v55, v0
.LBB47_2029:                            ;   in Loop: Header=BB47_17 Depth=1
	s_or_b64 exec, exec, s[86:87]
.LBB47_2030:                            ;   in Loop: Header=BB47_17 Depth=1
	s_or_b64 exec, exec, s[82:83]
	s_andn2_b64 s[80:81], s[80:81], exec
	s_andn2_b64 s[78:79], s[78:79], exec
	s_or_b64 s[76:77], s[76:77], exec
.LBB47_2031:                            ;   in Loop: Header=BB47_17 Depth=1
	s_or_b64 exec, exec, s[68:69]
	s_and_b64 s[68:69], s[80:81], exec
	s_and_b64 s[78:79], s[78:79], exec
	;; [unrolled: 1-line block ×3, first 2 shown]
                                        ; implicit-def: $vgpr0_vgpr1
.LBB47_2032:                            ;   in Loop: Header=BB47_17 Depth=1
	s_andn2_saveexec_b64 s[66:67], s[66:67]
	s_cbranch_execz .LBB47_2058
; %bb.2033:                             ;   in Loop: Header=BB47_17 Depth=1
	v_cmp_gt_i16_sdwa vcc, v7, v29 src0_sel:BYTE_0 src1_sel:DWORD
	s_mov_b64 s[82:83], s[76:77]
                                        ; implicit-def: $vgpr64
	s_and_saveexec_b64 s[60:61], vcc
	s_xor_b64 s[80:81], exec, s[60:61]
	s_cbranch_execz .LBB47_2047
; %bb.2034:                             ;   in Loop: Header=BB47_17 Depth=1
	v_cmp_gt_i16_sdwa vcc, v7, v30 src0_sel:BYTE_0 src1_sel:DWORD
                                        ; implicit-def: $vgpr64
	s_and_saveexec_b64 s[60:61], vcc
	s_xor_b64 s[82:83], exec, s[60:61]
	s_cbranch_execz .LBB47_2044
; %bb.2035:                             ;   in Loop: Header=BB47_17 Depth=1
	v_cmp_gt_i16_sdwa vcc, v7, v31 src0_sel:BYTE_0 src1_sel:DWORD
                                        ; implicit-def: $vgpr64
	s_and_saveexec_b64 s[60:61], vcc
	s_xor_b64 s[84:85], exec, s[60:61]
	s_cbranch_execz .LBB47_2041
; %bb.2036:                             ;   in Loop: Header=BB47_17 Depth=1
	flat_load_ubyte v0, v[0:1]
	s_movk_i32 vcc_lo, 0x7f
	s_mov_b64 s[86:87], 0
                                        ; implicit-def: $sgpr90
	s_waitcnt vmcnt(0) lgkmcnt(0)
	v_cmp_lt_i16_e32 vcc, vcc_lo, v0
	s_and_saveexec_b64 s[60:61], vcc
	s_xor_b64 s[88:89], exec, s[60:61]
	s_cbranch_execnz .LBB47_3123
; %bb.2037:                             ;   in Loop: Header=BB47_17 Depth=1
	s_or_saveexec_b64 s[88:89], s[88:89]
	v_mov_b32_e32 v64, s90
	s_xor_b64 exec, exec, s[88:89]
	s_cbranch_execnz .LBB47_3126
.LBB47_2038:                            ;   in Loop: Header=BB47_17 Depth=1
	s_or_b64 exec, exec, s[88:89]
	s_and_saveexec_b64 s[88:89], s[86:87]
	s_cbranch_execz .LBB47_2040
.LBB47_2039:                            ;   in Loop: Header=BB47_17 Depth=1
	v_lshlrev_b32_e32 v1, 24, v0
	v_and_b32_e32 v0, 0xffff, v0
	v_and_b32_e32 v55, 3, v0
	v_ffbh_u32_e32 v65, v55
	v_min_u32_e32 v65, 32, v65
	v_subrev_u32_e32 v66, 29, v65
	v_bfe_u32 v64, v0, 2, 5
	v_lshlrev_b32_e32 v0, v66, v0
	v_sub_u32_e32 v65, 30, v65
	v_and_b32_e32 v0, 3, v0
	v_cmp_eq_u32_e32 vcc, 0, v64
	v_cndmask_b32_e32 v64, v64, v65, vcc
	v_cndmask_b32_e32 v0, v55, v0, vcc
	v_lshlrev_b32_e32 v0, 21, v0
	v_and_b32_e32 v1, 0x80000000, v1
	v_lshl_add_u32 v55, v64, 23, v32
	v_or3_b32 v64, v1, v55, v0
.LBB47_2040:                            ;   in Loop: Header=BB47_17 Depth=1
	s_or_b64 exec, exec, s[88:89]
                                        ; implicit-def: $vgpr0_vgpr1
.LBB47_2041:                            ;   in Loop: Header=BB47_17 Depth=1
	s_andn2_saveexec_b64 s[84:85], s[84:85]
	s_cbranch_execz .LBB47_2043
; %bb.2042:                             ;   in Loop: Header=BB47_17 Depth=1
	flat_load_ubyte v0, v[0:1]
	s_mov_b32 vcc_lo, 0x7f800000
	s_waitcnt vmcnt(0) lgkmcnt(0)
	v_lshlrev_b32_e32 v0, 24, v0
	v_and_b32_e32 v1, 0x7f000000, v0
	v_ffbh_u32_e32 v55, v1
	v_min_u32_e32 v55, 32, v55
	v_sub_u32_e64 v55, v55, 4 clamp
	v_lshlrev_b32_e32 v65, v55, v1
	v_lshlrev_b32_e32 v55, 23, v55
	v_lshrrev_b32_e32 v65, 4, v65
	v_add_u32_e32 v64, 0x1000000, v1
	v_sub_u32_e32 v55, v65, v55
	v_ashrrev_i32_e32 v64, 8, v64
	v_add_u32_e32 v55, 0x3c000000, v55
	v_and_or_b32 v55, v64, vcc_lo, v55
	v_cmp_ne_u32_e32 vcc, 0, v1
	v_cndmask_b32_e32 v1, 0, v55, vcc
	s_brev_b32 vcc_lo, 1
	v_and_or_b32 v64, v0, vcc_lo, v1
.LBB47_2043:                            ;   in Loop: Header=BB47_17 Depth=1
	s_or_b64 exec, exec, s[84:85]
                                        ; implicit-def: $vgpr0_vgpr1
.LBB47_2044:                            ;   in Loop: Header=BB47_17 Depth=1
	s_andn2_saveexec_b64 s[82:83], s[82:83]
	s_cbranch_execz .LBB47_2046
; %bb.2045:                             ;   in Loop: Header=BB47_17 Depth=1
	flat_load_ubyte v0, v[0:1]
	s_movk_i32 vcc_lo, 0x7f00
	s_waitcnt vmcnt(0) lgkmcnt(0)
	v_lshlrev_b16_e32 v1, 8, v0
	v_lshlrev_b32_e32 v0, 25, v0
	v_lshrrev_b32_e32 v55, 4, v0
	v_and_or_b32 v64, v1, vcc_lo, 0.5
	v_or_b32_e32 v55, 0x70000000, v55
	s_brev_b32 vcc_lo, 16
	v_add_f32_e32 v64, -0.5, v64
	v_mul_f32_e32 v55, 0x7800000, v55
	v_cmp_gt_u32_e32 vcc, vcc_lo, v0
	v_cndmask_b32_e32 v0, v55, v64, vcc
	v_bfe_i32 v1, v1, 0, 16
	s_brev_b32 vcc_lo, 1
	v_and_or_b32 v64, v1, vcc_lo, v0
.LBB47_2046:                            ;   in Loop: Header=BB47_17 Depth=1
	s_or_b64 exec, exec, s[82:83]
	s_or_b64 s[82:83], s[76:77], exec
                                        ; implicit-def: $vgpr0_vgpr1
.LBB47_2047:                            ;   in Loop: Header=BB47_17 Depth=1
	s_or_saveexec_b64 s[80:81], s[80:81]
                                        ; implicit-def: $vcc
                                        ; implicit-def: $sgpr88_sgpr89
	s_xor_b64 exec, exec, s[80:81]
	s_cbranch_execz .LBB47_2057
; %bb.2048:                             ;   in Loop: Header=BB47_17 Depth=1
	v_cmp_gt_i16_sdwa vcc, v7, v33 src0_sel:BYTE_0 src1_sel:DWORD
	s_mov_b64 s[86:87], s[82:83]
                                        ; implicit-def: $sgpr88_sgpr89
                                        ; implicit-def: $sgpr84_sgpr85
                                        ; implicit-def: $vgpr64
	s_and_saveexec_b64 s[60:61], vcc
	s_xor_b64 vcc, exec, s[60:61]
	s_cbranch_execz .LBB47_2052
; %bb.2049:                             ;   in Loop: Header=BB47_17 Depth=1
	v_cmp_eq_u16_sdwa s[84:85], v7, v34 src0_sel:BYTE_0 src1_sel:DWORD
	s_mov_b64 s[86:87], s[82:83]
                                        ; implicit-def: $vgpr64
	s_and_saveexec_b64 s[60:61], s[84:85]
	s_cbranch_execz .LBB47_2051
; %bb.2050:                             ;   in Loop: Header=BB47_17 Depth=1
	flat_load_ushort v0, v[0:1]
	s_or_b64 s[86:87], s[82:83], exec
	s_waitcnt vmcnt(0) lgkmcnt(0)
	v_lshlrev_b32_e32 v64, 16, v0
.LBB47_2051:                            ;   in Loop: Header=BB47_17 Depth=1
	s_or_b64 exec, exec, s[60:61]
	s_andn2_b64 s[60:61], s[82:83], exec
	s_and_b64 s[86:87], s[86:87], exec
	s_mov_b64 s[84:85], -1
	s_mov_b64 s[88:89], 0
	s_or_b64 s[86:87], s[60:61], s[86:87]
                                        ; implicit-def: $vgpr0_vgpr1
.LBB47_2052:                            ;   in Loop: Header=BB47_17 Depth=1
	s_andn2_saveexec_b64 s[90:91], vcc
	s_cbranch_execz .LBB47_2056
; %bb.2053:                             ;   in Loop: Header=BB47_17 Depth=1
	v_cmp_eq_u16_sdwa s[60:61], v7, v35 src0_sel:BYTE_0 src1_sel:DWORD
	s_mov_b64 vcc, s[86:87]
                                        ; implicit-def: $vgpr64
	s_and_saveexec_b64 s[92:93], s[60:61]
	s_cbranch_execz .LBB47_2055
; %bb.2054:                             ;   in Loop: Header=BB47_17 Depth=1
	flat_load_ubyte v0, v[0:1]
	s_waitcnt vmcnt(0) lgkmcnt(0)
	v_cmp_ne_u16_e32 vcc, 0, v0
	v_cndmask_b32_e64 v64, 0, 1.0, vcc
	s_or_b64 vcc, s[86:87], exec
.LBB47_2055:                            ;   in Loop: Header=BB47_17 Depth=1
	s_or_b64 exec, exec, s[92:93]
	s_andn2_b64 s[60:61], s[86:87], exec
	s_and_b64 vcc, vcc, exec
	s_andn2_b64 s[88:89], s[88:89], exec
	s_or_b64 s[84:85], s[84:85], exec
	s_or_b64 s[86:87], s[60:61], vcc
.LBB47_2056:                            ;   in Loop: Header=BB47_17 Depth=1
	s_or_b64 exec, exec, s[90:91]
	s_andn2_b64 s[60:61], s[82:83], exec
	s_and_b64 s[82:83], s[86:87], exec
	s_and_b64 s[88:89], s[88:89], exec
	s_and_b64 vcc, s[84:85], exec
	s_or_b64 s[82:83], s[60:61], s[82:83]
.LBB47_2057:                            ;   in Loop: Header=BB47_17 Depth=1
	s_or_b64 exec, exec, s[80:81]
	s_andn2_b64 s[60:61], s[68:69], exec
	s_and_b64 s[68:69], s[88:89], exec
	s_or_b64 s[68:69], s[60:61], s[68:69]
	s_andn2_b64 s[60:61], s[78:79], exec
	s_and_b64 vcc, vcc, exec
	s_or_b64 s[78:79], s[60:61], vcc
	s_andn2_b64 vcc, s[76:77], exec
	s_and_b64 s[60:61], s[82:83], exec
	s_or_b64 s[76:77], vcc, s[60:61]
.LBB47_2058:                            ;   in Loop: Header=BB47_17 Depth=1
	s_or_b64 exec, exec, s[66:67]
	s_and_b64 s[68:69], s[68:69], exec
	s_and_b64 s[66:67], s[78:79], exec
	s_and_b64 vcc, s[76:77], exec
                                        ; implicit-def: $vgpr0_vgpr1
	s_andn2_saveexec_b64 s[74:75], s[74:75]
	s_cbranch_execz .LBB47_1883
.LBB47_2059:                            ;   in Loop: Header=BB47_17 Depth=1
	v_cmp_gt_i16_sdwa s[60:61], v7, v36 src0_sel:BYTE_0 src1_sel:DWORD
                                        ; implicit-def: $vgpr64
	s_and_saveexec_b64 s[76:77], s[60:61]
	s_xor_b64 s[76:77], exec, s[76:77]
	s_cbranch_execz .LBB47_2081
; %bb.2060:                             ;   in Loop: Header=BB47_17 Depth=1
	v_cmp_gt_i16_sdwa s[60:61], v7, v37 src0_sel:BYTE_0 src1_sel:DWORD
                                        ; implicit-def: $vgpr64
	s_and_saveexec_b64 s[78:79], s[60:61]
	s_xor_b64 s[78:79], exec, s[78:79]
	s_cbranch_execz .LBB47_2070
; %bb.2061:                             ;   in Loop: Header=BB47_17 Depth=1
	;; [unrolled: 6-line block ×4, first 2 shown]
	flat_load_dwordx2 v[0:1], v[0:1]
	s_waitcnt vmcnt(0) lgkmcnt(0)
	v_cvt_f32_f64_e32 v64, v[0:1]
                                        ; implicit-def: $vgpr0_vgpr1
.LBB47_2064:                            ;   in Loop: Header=BB47_17 Depth=1
	s_andn2_saveexec_b64 s[60:61], s[60:61]
	s_cbranch_execz .LBB47_2066
; %bb.2065:                             ;   in Loop: Header=BB47_17 Depth=1
	flat_load_dword v64, v[0:1]
.LBB47_2066:                            ;   in Loop: Header=BB47_17 Depth=1
	s_or_b64 exec, exec, s[60:61]
                                        ; implicit-def: $vgpr0_vgpr1
.LBB47_2067:                            ;   in Loop: Header=BB47_17 Depth=1
	s_andn2_saveexec_b64 s[80:81], s[80:81]
	s_cbranch_execz .LBB47_2069
; %bb.2068:                             ;   in Loop: Header=BB47_17 Depth=1
	flat_load_dword v0, v[0:1]
	s_waitcnt vmcnt(0) lgkmcnt(0)
	v_cvt_f32_f16_e32 v64, v0
.LBB47_2069:                            ;   in Loop: Header=BB47_17 Depth=1
	s_or_b64 exec, exec, s[80:81]
                                        ; implicit-def: $vgpr0_vgpr1
.LBB47_2070:                            ;   in Loop: Header=BB47_17 Depth=1
	s_andn2_saveexec_b64 s[78:79], s[78:79]
	s_cbranch_execz .LBB47_2080
; %bb.2071:                             ;   in Loop: Header=BB47_17 Depth=1
	v_cmp_gt_i16_sdwa s[60:61], v7, v48 src0_sel:BYTE_0 src1_sel:DWORD
                                        ; implicit-def: $vgpr64
	s_and_saveexec_b64 s[80:81], s[60:61]
	s_xor_b64 s[80:81], exec, s[80:81]
	s_cbranch_execz .LBB47_2077
; %bb.2072:                             ;   in Loop: Header=BB47_17 Depth=1
	v_cmp_gt_i16_sdwa s[60:61], v7, v49 src0_sel:BYTE_0 src1_sel:DWORD
                                        ; implicit-def: $vgpr64
	s_and_saveexec_b64 s[82:83], s[60:61]
	s_xor_b64 s[60:61], exec, s[82:83]
	s_cbranch_execz .LBB47_2074
; %bb.2073:                             ;   in Loop: Header=BB47_17 Depth=1
	flat_load_dwordx2 v[0:1], v[0:1]
	s_waitcnt vmcnt(0) lgkmcnt(0)
	v_cvt_f32_f64_e32 v64, v[0:1]
                                        ; implicit-def: $vgpr0_vgpr1
.LBB47_2074:                            ;   in Loop: Header=BB47_17 Depth=1
	s_andn2_saveexec_b64 s[60:61], s[60:61]
	s_cbranch_execz .LBB47_2076
; %bb.2075:                             ;   in Loop: Header=BB47_17 Depth=1
	s_waitcnt vmcnt(0) lgkmcnt(0)
	flat_load_dword v64, v[0:1]
.LBB47_2076:                            ;   in Loop: Header=BB47_17 Depth=1
	s_or_b64 exec, exec, s[60:61]
                                        ; implicit-def: $vgpr0_vgpr1
.LBB47_2077:                            ;   in Loop: Header=BB47_17 Depth=1
	s_andn2_saveexec_b64 s[80:81], s[80:81]
	s_cbranch_execz .LBB47_2079
; %bb.2078:                             ;   in Loop: Header=BB47_17 Depth=1
	flat_load_ushort v0, v[0:1]
	s_waitcnt vmcnt(0) lgkmcnt(0)
	v_cvt_f32_f16_e32 v64, v0
.LBB47_2079:                            ;   in Loop: Header=BB47_17 Depth=1
	s_or_b64 exec, exec, s[80:81]
.LBB47_2080:                            ;   in Loop: Header=BB47_17 Depth=1
	s_or_b64 exec, exec, s[78:79]
                                        ; implicit-def: $vgpr0_vgpr1
.LBB47_2081:                            ;   in Loop: Header=BB47_17 Depth=1
	s_andn2_saveexec_b64 s[76:77], s[76:77]
	s_cbranch_execz .LBB47_2099
; %bb.2082:                             ;   in Loop: Header=BB47_17 Depth=1
	v_cmp_gt_i16_sdwa s[60:61], v7, v50 src0_sel:BYTE_0 src1_sel:DWORD
                                        ; implicit-def: $vgpr64
	s_and_saveexec_b64 s[78:79], s[60:61]
	s_xor_b64 s[78:79], exec, s[78:79]
	s_cbranch_execz .LBB47_2092
; %bb.2083:                             ;   in Loop: Header=BB47_17 Depth=1
	v_cmp_gt_i16_sdwa s[60:61], v7, v51 src0_sel:BYTE_0 src1_sel:DWORD
                                        ; implicit-def: $vgpr64
	s_and_saveexec_b64 s[80:81], s[60:61]
	s_xor_b64 s[80:81], exec, s[80:81]
	;; [unrolled: 6-line block ×3, first 2 shown]
	s_cbranch_execz .LBB47_2086
; %bb.2085:                             ;   in Loop: Header=BB47_17 Depth=1
	flat_load_dwordx2 v[0:1], v[0:1]
	s_waitcnt vmcnt(0) lgkmcnt(0)
	v_xor_b32_e32 v64, v0, v1
	v_ffbh_i32_e32 v55, v1
	v_ashrrev_i32_e32 v64, 31, v64
	v_add_u32_e32 v55, -1, v55
	v_add_u32_e32 v64, 32, v64
	v_min_u32_e32 v55, v55, v64
	s_waitcnt vmcnt(0) expcnt(0) lgkmcnt(0)
	v_swap_b32 v2, v55
	v_lshlrev_b64 v[0:1], v2, v[0:1]
	v_swap_b32 v55, v2
	v_min_u32_e32 v0, 1, v0
	v_or_b32_e32 v0, v1, v0
	v_cvt_f32_i32_e32 v0, v0
	v_sub_u32_e32 v1, 32, v55
	v_ldexp_f32 v64, v0, v1
                                        ; implicit-def: $vgpr0_vgpr1
.LBB47_2086:                            ;   in Loop: Header=BB47_17 Depth=1
	s_andn2_saveexec_b64 s[82:83], s[82:83]
	s_cbranch_execz .LBB47_2088
; %bb.2087:                             ;   in Loop: Header=BB47_17 Depth=1
	flat_load_dword v0, v[0:1]
	s_waitcnt vmcnt(0) lgkmcnt(0)
	v_cvt_f32_i32_e32 v64, v0
.LBB47_2088:                            ;   in Loop: Header=BB47_17 Depth=1
	s_or_b64 exec, exec, s[82:83]
                                        ; implicit-def: $vgpr0_vgpr1
.LBB47_2089:                            ;   in Loop: Header=BB47_17 Depth=1
	s_andn2_saveexec_b64 s[80:81], s[80:81]
	s_cbranch_execz .LBB47_2091
; %bb.2090:                             ;   in Loop: Header=BB47_17 Depth=1
	flat_load_sshort v0, v[0:1]
	s_waitcnt vmcnt(0) lgkmcnt(0)
	v_cvt_f32_i32_e32 v64, v0
.LBB47_2091:                            ;   in Loop: Header=BB47_17 Depth=1
	s_or_b64 exec, exec, s[80:81]
                                        ; implicit-def: $vgpr0_vgpr1
.LBB47_2092:                            ;   in Loop: Header=BB47_17 Depth=1
	s_andn2_saveexec_b64 s[78:79], s[78:79]
	s_cbranch_execz .LBB47_2098
; %bb.2093:                             ;   in Loop: Header=BB47_17 Depth=1
	v_cmp_gt_i16_sdwa s[60:61], v7, v14 src0_sel:BYTE_0 src1_sel:DWORD
                                        ; implicit-def: $vgpr64
	s_and_saveexec_b64 s[80:81], s[60:61]
	s_xor_b64 s[60:61], exec, s[80:81]
	s_cbranch_execz .LBB47_2095
; %bb.2094:                             ;   in Loop: Header=BB47_17 Depth=1
	flat_load_sbyte v0, v[0:1]
	s_waitcnt vmcnt(0) lgkmcnt(0)
	v_cvt_f32_i32_e32 v64, v0
                                        ; implicit-def: $vgpr0_vgpr1
.LBB47_2095:                            ;   in Loop: Header=BB47_17 Depth=1
	s_andn2_saveexec_b64 s[80:81], s[60:61]
	s_cbranch_execz .LBB47_2097
; %bb.2096:                             ;   in Loop: Header=BB47_17 Depth=1
	flat_load_ubyte v0, v[0:1]
	s_waitcnt vmcnt(0) lgkmcnt(0)
	v_cvt_f32_ubyte0_e32 v64, v0
.LBB47_2097:                            ;   in Loop: Header=BB47_17 Depth=1
	s_or_b64 exec, exec, s[80:81]
.LBB47_2098:                            ;   in Loop: Header=BB47_17 Depth=1
	s_or_b64 exec, exec, s[78:79]
.LBB47_2099:                            ;   in Loop: Header=BB47_17 Depth=1
	s_or_b64 exec, exec, s[76:77]
	s_andn2_b64 s[68:69], s[68:69], exec
	s_andn2_b64 s[66:67], s[66:67], exec
	s_or_b64 vcc, vcc, exec
	s_or_b64 exec, exec, s[74:75]
	s_mov_b64 s[76:77], 0
	s_and_saveexec_b64 s[74:75], vcc
	s_cbranch_execz .LBB47_2105
.LBB47_2100:                            ;   in Loop: Header=BB47_17 Depth=1
	v_mul_lo_u32 v0, v54, v10
	v_readlane_b32 s60, v44, 0
	v_add_co_u32_e32 v0, vcc, v4, v0
	v_add_u32_e32 v55, s60, v15
	v_addc_co_u32_e32 v1, vcc, 0, v5, vcc
	v_cmp_gt_i16_sdwa s[60:61], v8, v16 src0_sel:BYTE_0 src1_sel:DWORD
	s_mov_b64 s[80:81], 0
	s_waitcnt vmcnt(0) lgkmcnt(0)
	buffer_store_dword v64, v55, s[0:3], 0 offen offset:76
                                        ; implicit-def: $vcc
                                        ; implicit-def: $sgpr78_sgpr79
                                        ; implicit-def: $vgpr54
	s_and_saveexec_b64 s[76:77], s[60:61]
	s_xor_b64 s[76:77], exec, s[76:77]
	s_cbranch_execnz .LBB47_2127
; %bb.2101:                             ;   in Loop: Header=BB47_17 Depth=1
	s_andn2_saveexec_b64 s[76:77], s[76:77]
	s_cbranch_execnz .LBB47_2186
.LBB47_2102:                            ;   in Loop: Header=BB47_17 Depth=1
	s_or_b64 exec, exec, s[76:77]
	s_mov_b64 s[76:77], 0
	s_and_saveexec_b64 s[82:83], s[80:81]
	s_cbranch_execz .LBB47_2104
.LBB47_2103:                            ;   in Loop: Header=BB47_17 Depth=1
	s_mov_b64 s[76:77], exec
	v_add_u32_e32 v53, 0x200, v53
	s_andn2_b64 s[78:79], s[78:79], exec
	s_andn2_b64 vcc, vcc, exec
	s_waitcnt vmcnt(0) lgkmcnt(0)
	buffer_store_dword v54, v55, s[0:3], 0 offen offset:72
.LBB47_2104:                            ;   in Loop: Header=BB47_17 Depth=1
	s_or_b64 exec, exec, s[82:83]
	s_andn2_b64 s[60:61], s[68:69], exec
	s_and_b64 s[62:63], s[78:79], exec
	s_or_b64 s[68:69], s[60:61], s[62:63]
	s_andn2_b64 s[60:61], s[66:67], exec
	s_and_b64 vcc, vcc, exec
	s_or_b64 s[66:67], s[60:61], vcc
	s_and_b64 s[76:77], s[76:77], exec
.LBB47_2105:                            ;   in Loop: Header=BB47_17 Depth=1
	s_or_b64 exec, exec, s[74:75]
	s_and_b64 vcc, s[68:69], exec
	v_writelane_b32 v44, vcc_lo, 8
	v_writelane_b32 v44, vcc_hi, 9
	s_and_b64 s[62:63], s[66:67], exec
	s_orn2_b64 s[66:67], s[76:77], exec
.LBB47_2106:                            ;   in Loop: Header=BB47_17 Depth=1
	s_or_b64 exec, exec, s[70:71]
	s_mov_b64 vcc, exec
	v_writelane_b32 v44, vcc_lo, 6
	v_writelane_b32 v44, vcc_hi, 7
	s_and_b64 vcc, vcc, s[66:67]
	s_mov_b64 exec, vcc
	s_cbranch_execz .LBB47_7
; %bb.2107:                             ;   in Loop: Header=BB47_17 Depth=1
	v_writelane_b32 v44, s62, 10
	v_cmp_lt_i32_e32 vcc, v53, v6
	s_mov_b64 s[78:79], -1
	s_mov_b64 s[66:67], -1
	v_writelane_b32 v44, s63, 11
                                        ; implicit-def: $sgpr62_sgpr63
                                        ; implicit-def: $sgpr60_sgpr61
                                        ; kill: killed $sgpr60_sgpr61
	s_and_saveexec_b64 s[76:77], vcc
	s_cbranch_execz .LBB47_2333
; %bb.2108:                             ;   in Loop: Header=BB47_17 Depth=1
	v_readlane_b32 vcc_lo, v44, 1
	s_waitcnt vmcnt(0) lgkmcnt(0)
	v_add_u32_e32 v55, vcc_lo, v53
	v_mul_lo_u32 v0, v55, v9
	v_add_co_u32_e32 v0, vcc, v2, v0
	v_addc_co_u32_e32 v1, vcc, 0, v3, vcc
	v_cmp_gt_i16_sdwa s[60:61], v7, v16 src0_sel:BYTE_0 src1_sel:DWORD
	s_mov_b64 vcc, 0
                                        ; implicit-def: $sgpr72_sgpr73
                                        ; implicit-def: $sgpr74_sgpr75
                                        ; implicit-def: $vgpr64
	s_and_saveexec_b64 s[62:63], s[60:61]
	s_xor_b64 s[80:81], exec, s[62:63]
	s_cbranch_execnz .LBB47_2227
; %bb.2109:                             ;   in Loop: Header=BB47_17 Depth=1
	s_andn2_saveexec_b64 s[80:81], s[80:81]
	s_cbranch_execnz .LBB47_2286
.LBB47_2110:                            ;   in Loop: Header=BB47_17 Depth=1
	s_or_b64 exec, exec, s[80:81]
	s_mov_b64 s[66:67], 0
	s_and_saveexec_b64 s[80:81], vcc
	s_cbranch_execnz .LBB47_2327
	s_branch .LBB47_2332
.LBB47_2111:                            ;   in Loop: Header=BB47_17 Depth=1
	s_movk_i32 vcc_lo, 0x80
	v_cmp_eq_u16_e32 vcc, vcc_lo, v0
	s_mov_b64 s[62:63], -1
                                        ; implicit-def: $sgpr68
	s_and_saveexec_b64 s[66:67], vcc
; %bb.2112:                             ;   in Loop: Header=BB47_17 Depth=1
	s_mov_b32 s68, 0x7f800001
	s_xor_b64 s[62:63], exec, -1
; %bb.2113:                             ;   in Loop: Header=BB47_17 Depth=1
	s_or_b64 exec, exec, s[66:67]
	s_and_b64 s[62:63], s[62:63], exec
	s_or_saveexec_b64 s[64:65], s[64:65]
	v_mov_b32_e32 v54, s68
	s_xor_b64 exec, exec, s[64:65]
	s_cbranch_execz .LBB47_1030
.LBB47_2114:                            ;   in Loop: Header=BB47_17 Depth=1
	v_cmp_ne_u16_e32 vcc, 0, v0
	s_andn2_b64 s[62:63], s[62:63], exec
	s_and_b64 vcc, vcc, exec
	v_mov_b32_e32 v54, 0
	s_or_b64 s[62:63], s[62:63], vcc
	s_or_b64 exec, exec, s[64:65]
	s_and_saveexec_b64 s[64:65], s[62:63]
	s_cbranch_execnz .LBB47_1031
	s_branch .LBB47_1032
.LBB47_2115:                            ;   in Loop: Header=BB47_17 Depth=1
	s_movk_i32 vcc_lo, 0x80
	v_cmp_eq_u16_e32 vcc, vcc_lo, v0
	s_mov_b64 s[62:63], -1
                                        ; implicit-def: $sgpr68
	s_and_saveexec_b64 s[66:67], vcc
; %bb.2116:                             ;   in Loop: Header=BB47_17 Depth=1
	s_mov_b32 s68, 0x7f800001
	s_xor_b64 s[62:63], exec, -1
; %bb.2117:                             ;   in Loop: Header=BB47_17 Depth=1
	s_or_b64 exec, exec, s[66:67]
	s_and_b64 s[62:63], s[62:63], exec
	s_or_saveexec_b64 s[64:65], s[64:65]
	v_mov_b32_e32 v64, s68
	s_xor_b64 exec, exec, s[64:65]
	s_cbranch_execz .LBB47_1130
.LBB47_2118:                            ;   in Loop: Header=BB47_17 Depth=1
	v_cmp_ne_u16_e32 vcc, 0, v0
	s_andn2_b64 s[62:63], s[62:63], exec
	s_and_b64 vcc, vcc, exec
	v_mov_b32_e32 v64, 0
	s_or_b64 s[62:63], s[62:63], vcc
	s_or_b64 exec, exec, s[64:65]
	s_and_saveexec_b64 s[64:65], s[62:63]
	s_cbranch_execnz .LBB47_1131
	s_branch .LBB47_1132
.LBB47_2119:                            ;   in Loop: Header=BB47_17 Depth=1
	s_movk_i32 vcc_lo, 0x80
	v_cmp_eq_u16_e32 vcc, vcc_lo, v0
	s_mov_b64 s[66:67], -1
                                        ; implicit-def: $sgpr72
	s_and_saveexec_b64 s[70:71], vcc
; %bb.2120:                             ;   in Loop: Header=BB47_17 Depth=1
	s_mov_b32 s72, 0x7f800001
	s_xor_b64 s[66:67], exec, -1
; %bb.2121:                             ;   in Loop: Header=BB47_17 Depth=1
	s_or_b64 exec, exec, s[70:71]
	s_and_b64 s[66:67], s[66:67], exec
	s_or_saveexec_b64 s[68:69], s[68:69]
	v_mov_b32_e32 v54, s72
	s_xor_b64 exec, exec, s[68:69]
	s_cbranch_execz .LBB47_1246
.LBB47_2122:                            ;   in Loop: Header=BB47_17 Depth=1
	v_cmp_ne_u16_e32 vcc, 0, v0
	s_andn2_b64 s[66:67], s[66:67], exec
	s_and_b64 vcc, vcc, exec
	v_mov_b32_e32 v54, 0
	s_or_b64 s[66:67], s[66:67], vcc
	s_or_b64 exec, exec, s[68:69]
	s_and_saveexec_b64 s[68:69], s[66:67]
	s_cbranch_execnz .LBB47_1247
	s_branch .LBB47_1248
.LBB47_2123:                            ;   in Loop: Header=BB47_17 Depth=1
	s_movk_i32 vcc_lo, 0x80
	v_cmp_eq_u16_e32 vcc, vcc_lo, v0
	s_mov_b64 s[66:67], -1
                                        ; implicit-def: $sgpr72
	s_and_saveexec_b64 s[70:71], vcc
; %bb.2124:                             ;   in Loop: Header=BB47_17 Depth=1
	s_mov_b32 s72, 0x7f800001
	s_xor_b64 s[66:67], exec, -1
; %bb.2125:                             ;   in Loop: Header=BB47_17 Depth=1
	s_or_b64 exec, exec, s[70:71]
	s_and_b64 s[66:67], s[66:67], exec
	s_or_saveexec_b64 s[68:69], s[68:69]
	v_mov_b32_e32 v64, s72
	s_xor_b64 exec, exec, s[68:69]
	s_cbranch_execz .LBB47_1346
.LBB47_2126:                            ;   in Loop: Header=BB47_17 Depth=1
	v_cmp_ne_u16_e32 vcc, 0, v0
	s_andn2_b64 s[66:67], s[66:67], exec
	s_and_b64 vcc, vcc, exec
	v_mov_b32_e32 v64, 0
	s_or_b64 s[66:67], s[66:67], vcc
	s_or_b64 exec, exec, s[68:69]
	s_and_saveexec_b64 s[68:69], s[66:67]
	s_cbranch_execnz .LBB47_1347
	s_branch .LBB47_1348
.LBB47_2127:                            ;   in Loop: Header=BB47_17 Depth=1
	v_cmp_gt_i16_sdwa vcc, v8, v17 src0_sel:BYTE_0 src1_sel:DWORD
                                        ; implicit-def: $sgpr82_sgpr83
                                        ; implicit-def: $sgpr84_sgpr85
                                        ; implicit-def: $vgpr54
	s_and_saveexec_b64 s[60:61], vcc
	s_xor_b64 s[78:79], exec, s[60:61]
	s_cbranch_execz .LBB47_2159
; %bb.2128:                             ;   in Loop: Header=BB47_17 Depth=1
	v_cmp_gt_i16_sdwa vcc, v8, v18 src0_sel:BYTE_0 src1_sel:DWORD
                                        ; implicit-def: $sgpr82_sgpr83
                                        ; implicit-def: $sgpr86_sgpr87
                                        ; implicit-def: $vgpr54
	s_and_saveexec_b64 s[60:61], vcc
	s_xor_b64 s[84:85], exec, s[60:61]
	s_cbranch_execz .LBB47_2144
; %bb.2129:                             ;   in Loop: Header=BB47_17 Depth=1
	v_cmp_gt_i16_sdwa s[60:61], v8, v19 src0_sel:BYTE_0 src1_sel:DWORD
	s_mov_b64 s[88:89], 0
                                        ; implicit-def: $vcc
                                        ; implicit-def: $sgpr86_sgpr87
                                        ; implicit-def: $vgpr54
	s_and_saveexec_b64 s[80:81], s[60:61]
	s_xor_b64 s[80:81], exec, s[80:81]
	s_cbranch_execz .LBB47_2139
; %bb.2130:                             ;   in Loop: Header=BB47_17 Depth=1
	v_cmp_gt_i16_sdwa vcc, v8, v20 src0_sel:BYTE_0 src1_sel:DWORD
                                        ; implicit-def: $sgpr86_sgpr87
                                        ; implicit-def: $sgpr82_sgpr83
                                        ; implicit-def: $vgpr54
	s_and_saveexec_b64 s[60:61], vcc
	s_xor_b64 vcc, exec, s[60:61]
	s_cbranch_execz .LBB47_2134
; %bb.2131:                             ;   in Loop: Header=BB47_17 Depth=1
	v_cmp_eq_u16_sdwa s[60:61], v8, v21 src0_sel:BYTE_0 src1_sel:DWORD
	s_mov_b64 s[82:83], 0
                                        ; implicit-def: $vgpr54
	s_and_saveexec_b64 s[86:87], s[60:61]
	s_cbranch_execz .LBB47_2133
; %bb.2132:                             ;   in Loop: Header=BB47_17 Depth=1
	flat_load_dword v0, v[0:1]
	s_mov_b64 s[88:89], exec
	s_waitcnt vmcnt(0) lgkmcnt(0)
	v_lshlrev_b32_e32 v54, 16, v0
.LBB47_2133:                            ;   in Loop: Header=BB47_17 Depth=1
	s_or_b64 exec, exec, s[86:87]
	s_mov_b64 s[86:87], -1
	s_and_b64 s[88:89], s[88:89], exec
                                        ; implicit-def: $vgpr0_vgpr1
.LBB47_2134:                            ;   in Loop: Header=BB47_17 Depth=1
	s_andn2_saveexec_b64 s[90:91], vcc
	s_cbranch_execz .LBB47_2138
; %bb.2135:                             ;   in Loop: Header=BB47_17 Depth=1
	v_cmp_eq_u16_sdwa s[60:61], v8, v22 src0_sel:BYTE_0 src1_sel:DWORD
	s_mov_b64 vcc, s[88:89]
                                        ; implicit-def: $vgpr54
	s_and_saveexec_b64 s[92:93], s[60:61]
	s_cbranch_execz .LBB47_2137
; %bb.2136:                             ;   in Loop: Header=BB47_17 Depth=1
	flat_load_ubyte v0, v[0:1]
	s_movk_i32 vcc_lo, 0xff
	s_waitcnt vmcnt(0) lgkmcnt(0)
	v_lshlrev_b32_e32 v1, 23, v0
	v_cmp_ne_u32_e32 vcc, vcc_lo, v0
	v_cndmask_b32_e32 v1, v23, v1, vcc
	v_cmp_ne_u32_e32 vcc, 0, v0
	v_cndmask_b32_e32 v54, v24, v1, vcc
	s_or_b64 vcc, s[88:89], exec
.LBB47_2137:                            ;   in Loop: Header=BB47_17 Depth=1
	s_or_b64 exec, exec, s[92:93]
	s_andn2_b64 s[60:61], s[88:89], exec
	s_and_b64 vcc, vcc, exec
	s_or_b64 s[86:87], s[86:87], exec
	s_andn2_b64 s[82:83], s[82:83], exec
	s_or_b64 s[88:89], s[60:61], vcc
.LBB47_2138:                            ;   in Loop: Header=BB47_17 Depth=1
	s_or_b64 exec, exec, s[90:91]
	s_and_b64 s[86:87], s[86:87], exec
	s_and_b64 vcc, s[82:83], exec
	s_and_b64 s[88:89], s[88:89], exec
                                        ; implicit-def: $vgpr0_vgpr1
.LBB47_2139:                            ;   in Loop: Header=BB47_17 Depth=1
	s_andn2_saveexec_b64 s[80:81], s[80:81]
	s_cbranch_execz .LBB47_2143
; %bb.2140:                             ;   in Loop: Header=BB47_17 Depth=1
	v_cmp_eq_u16_sdwa s[60:61], v8, v25 src0_sel:BYTE_0 src1_sel:DWORD
	s_mov_b64 s[90:91], s[88:89]
                                        ; implicit-def: $vgpr54
	s_and_saveexec_b64 s[82:83], s[60:61]
	s_cbranch_execz .LBB47_2142
; %bb.2141:                             ;   in Loop: Header=BB47_17 Depth=1
	flat_load_dwordx2 v[0:1], v[0:1]
	s_or_b64 s[90:91], s[88:89], exec
	s_waitcnt vmcnt(0) lgkmcnt(0)
	v_ffbh_u32_e32 v54, v1
	v_min_u32_e32 v54, 32, v54
	v_lshlrev_b64 v[0:1], v54, v[0:1]
	v_min_u32_e32 v0, 1, v0
	v_or_b32_e32 v0, v1, v0
	v_cvt_f32_u32_e32 v0, v0
	v_sub_u32_e32 v1, 32, v54
	v_ldexp_f32 v54, v0, v1
.LBB47_2142:                            ;   in Loop: Header=BB47_17 Depth=1
	s_or_b64 exec, exec, s[82:83]
	s_andn2_b64 s[60:61], s[88:89], exec
	s_and_b64 s[82:83], s[90:91], exec
	s_or_b64 s[86:87], s[86:87], exec
	s_andn2_b64 vcc, vcc, exec
	s_or_b64 s[88:89], s[60:61], s[82:83]
.LBB47_2143:                            ;   in Loop: Header=BB47_17 Depth=1
	s_or_b64 exec, exec, s[80:81]
	s_and_b64 s[86:87], s[86:87], exec
	s_and_b64 s[82:83], vcc, exec
	s_and_b64 s[80:81], s[88:89], exec
                                        ; implicit-def: $vgpr0_vgpr1
.LBB47_2144:                            ;   in Loop: Header=BB47_17 Depth=1
	s_andn2_saveexec_b64 s[84:85], s[84:85]
	s_cbranch_execz .LBB47_2158
; %bb.2145:                             ;   in Loop: Header=BB47_17 Depth=1
	v_cmp_gt_i16_sdwa vcc, v8, v26 src0_sel:BYTE_0 src1_sel:DWORD
                                        ; implicit-def: $vgpr54
	s_and_saveexec_b64 s[60:61], vcc
	s_xor_b64 vcc, exec, s[60:61]
	s_cbranch_execz .LBB47_2151
; %bb.2146:                             ;   in Loop: Header=BB47_17 Depth=1
	v_cmp_gt_i16_sdwa s[60:61], v8, v27 src0_sel:BYTE_0 src1_sel:DWORD
                                        ; implicit-def: $vgpr54
	s_and_saveexec_b64 s[88:89], s[60:61]
	s_xor_b64 s[60:61], exec, s[88:89]
	s_cbranch_execz .LBB47_2148
; %bb.2147:                             ;   in Loop: Header=BB47_17 Depth=1
	flat_load_dword v0, v[0:1]
	s_waitcnt vmcnt(0) lgkmcnt(0)
	v_cvt_f32_u32_e32 v54, v0
                                        ; implicit-def: $vgpr0_vgpr1
.LBB47_2148:                            ;   in Loop: Header=BB47_17 Depth=1
	s_andn2_saveexec_b64 s[60:61], s[60:61]
	s_cbranch_execz .LBB47_2150
; %bb.2149:                             ;   in Loop: Header=BB47_17 Depth=1
	flat_load_ushort v0, v[0:1]
	s_waitcnt vmcnt(0) lgkmcnt(0)
	v_cvt_f32_u32_e32 v54, v0
.LBB47_2150:                            ;   in Loop: Header=BB47_17 Depth=1
	s_or_b64 exec, exec, s[60:61]
                                        ; implicit-def: $vgpr0_vgpr1
.LBB47_2151:                            ;   in Loop: Header=BB47_17 Depth=1
	s_andn2_saveexec_b64 s[88:89], vcc
	s_cbranch_execz .LBB47_2157
; %bb.2152:                             ;   in Loop: Header=BB47_17 Depth=1
	flat_load_ubyte v0, v[0:1]
	s_movk_i32 vcc_lo, 0x7f
	s_mov_b64 s[90:91], 0
                                        ; implicit-def: $sgpr94
	s_waitcnt vmcnt(0) lgkmcnt(0)
	v_cmp_lt_i16_e32 vcc, vcc_lo, v0
	s_and_saveexec_b64 s[60:61], vcc
	s_xor_b64 s[92:93], exec, s[60:61]
	s_cbranch_execnz .LBB47_3127
; %bb.2153:                             ;   in Loop: Header=BB47_17 Depth=1
	s_or_saveexec_b64 s[92:93], s[92:93]
	v_mov_b32_e32 v54, s94
	s_xor_b64 exec, exec, s[92:93]
	s_cbranch_execnz .LBB47_3130
.LBB47_2154:                            ;   in Loop: Header=BB47_17 Depth=1
	s_or_b64 exec, exec, s[92:93]
	s_and_saveexec_b64 s[92:93], s[90:91]
	s_cbranch_execz .LBB47_2156
.LBB47_2155:                            ;   in Loop: Header=BB47_17 Depth=1
	v_lshlrev_b32_e32 v1, 24, v0
	v_and_b32_e32 v0, 0xffff, v0
	v_and_b32_e32 v54, 7, v0
	v_ffbh_u32_e32 v65, v54
	v_min_u32_e32 v65, 32, v65
	v_subrev_u32_e32 v66, 28, v65
	v_bfe_u32 v64, v0, 3, 4
	v_lshlrev_b32_e32 v0, v66, v0
	v_sub_u32_e32 v65, 29, v65
	v_and_b32_e32 v0, 7, v0
	v_cmp_eq_u32_e32 vcc, 0, v64
	v_cndmask_b32_e32 v64, v64, v65, vcc
	v_cndmask_b32_e32 v0, v54, v0, vcc
	v_lshlrev_b32_e32 v0, 20, v0
	v_and_b32_e32 v1, 0x80000000, v1
	v_lshl_add_u32 v54, v64, 23, v28
	v_or3_b32 v54, v1, v54, v0
.LBB47_2156:                            ;   in Loop: Header=BB47_17 Depth=1
	s_or_b64 exec, exec, s[92:93]
.LBB47_2157:                            ;   in Loop: Header=BB47_17 Depth=1
	s_or_b64 exec, exec, s[88:89]
	s_andn2_b64 s[86:87], s[86:87], exec
	s_andn2_b64 s[82:83], s[82:83], exec
	s_or_b64 s[80:81], s[80:81], exec
.LBB47_2158:                            ;   in Loop: Header=BB47_17 Depth=1
	s_or_b64 exec, exec, s[84:85]
	s_and_b64 s[84:85], s[86:87], exec
	s_and_b64 s[82:83], s[82:83], exec
	s_and_b64 s[80:81], s[80:81], exec
                                        ; implicit-def: $vgpr0_vgpr1
.LBB47_2159:                            ;   in Loop: Header=BB47_17 Depth=1
	s_andn2_saveexec_b64 s[78:79], s[78:79]
	s_cbranch_execz .LBB47_2185
; %bb.2160:                             ;   in Loop: Header=BB47_17 Depth=1
	v_cmp_gt_i16_sdwa vcc, v8, v29 src0_sel:BYTE_0 src1_sel:DWORD
	s_mov_b64 s[88:89], s[80:81]
                                        ; implicit-def: $vgpr54
	s_and_saveexec_b64 s[60:61], vcc
	s_xor_b64 s[86:87], exec, s[60:61]
	s_cbranch_execz .LBB47_2174
; %bb.2161:                             ;   in Loop: Header=BB47_17 Depth=1
	v_cmp_gt_i16_sdwa vcc, v8, v30 src0_sel:BYTE_0 src1_sel:DWORD
                                        ; implicit-def: $vgpr54
	s_and_saveexec_b64 s[60:61], vcc
	s_xor_b64 s[88:89], exec, s[60:61]
	s_cbranch_execz .LBB47_2171
; %bb.2162:                             ;   in Loop: Header=BB47_17 Depth=1
	v_cmp_gt_i16_sdwa vcc, v8, v31 src0_sel:BYTE_0 src1_sel:DWORD
                                        ; implicit-def: $vgpr54
	s_and_saveexec_b64 s[60:61], vcc
	s_xor_b64 s[90:91], exec, s[60:61]
	s_cbranch_execz .LBB47_2168
; %bb.2163:                             ;   in Loop: Header=BB47_17 Depth=1
	flat_load_ubyte v0, v[0:1]
	s_movk_i32 vcc_lo, 0x7f
	s_mov_b64 s[92:93], 0
                                        ; implicit-def: $sgpr96
	s_waitcnt vmcnt(0) lgkmcnt(0)
	v_cmp_lt_i16_e32 vcc, vcc_lo, v0
	s_and_saveexec_b64 s[60:61], vcc
	s_xor_b64 s[94:95], exec, s[60:61]
	s_cbranch_execnz .LBB47_3346
; %bb.2164:                             ;   in Loop: Header=BB47_17 Depth=1
	s_or_saveexec_b64 s[94:95], s[94:95]
	v_mov_b32_e32 v54, s96
	s_xor_b64 exec, exec, s[94:95]
	s_cbranch_execnz .LBB47_3349
.LBB47_2165:                            ;   in Loop: Header=BB47_17 Depth=1
	s_or_b64 exec, exec, s[94:95]
	s_and_saveexec_b64 s[94:95], s[92:93]
	s_cbranch_execz .LBB47_2167
.LBB47_2166:                            ;   in Loop: Header=BB47_17 Depth=1
	v_lshlrev_b32_e32 v1, 24, v0
	v_and_b32_e32 v0, 0xffff, v0
	v_and_b32_e32 v54, 3, v0
	v_ffbh_u32_e32 v65, v54
	v_min_u32_e32 v65, 32, v65
	v_subrev_u32_e32 v66, 29, v65
	v_bfe_u32 v64, v0, 2, 5
	v_lshlrev_b32_e32 v0, v66, v0
	v_sub_u32_e32 v65, 30, v65
	v_and_b32_e32 v0, 3, v0
	v_cmp_eq_u32_e32 vcc, 0, v64
	v_cndmask_b32_e32 v64, v64, v65, vcc
	v_cndmask_b32_e32 v0, v54, v0, vcc
	v_lshlrev_b32_e32 v0, 21, v0
	v_and_b32_e32 v1, 0x80000000, v1
	v_lshl_add_u32 v54, v64, 23, v32
	v_or3_b32 v54, v1, v54, v0
.LBB47_2167:                            ;   in Loop: Header=BB47_17 Depth=1
	s_or_b64 exec, exec, s[94:95]
                                        ; implicit-def: $vgpr0_vgpr1
.LBB47_2168:                            ;   in Loop: Header=BB47_17 Depth=1
	s_andn2_saveexec_b64 s[90:91], s[90:91]
	s_cbranch_execz .LBB47_2170
; %bb.2169:                             ;   in Loop: Header=BB47_17 Depth=1
	flat_load_ubyte v0, v[0:1]
	s_mov_b32 vcc_lo, 0x7f800000
	s_waitcnt vmcnt(0) lgkmcnt(0)
	v_lshlrev_b32_e32 v0, 24, v0
	v_and_b32_e32 v1, 0x7f000000, v0
	v_ffbh_u32_e32 v54, v1
	v_min_u32_e32 v54, 32, v54
	v_sub_u32_e64 v54, v54, 4 clamp
	v_lshlrev_b32_e32 v65, v54, v1
	v_lshlrev_b32_e32 v54, 23, v54
	v_lshrrev_b32_e32 v65, 4, v65
	v_add_u32_e32 v64, 0x1000000, v1
	v_sub_u32_e32 v54, v65, v54
	v_ashrrev_i32_e32 v64, 8, v64
	v_add_u32_e32 v54, 0x3c000000, v54
	v_and_or_b32 v54, v64, vcc_lo, v54
	v_cmp_ne_u32_e32 vcc, 0, v1
	v_cndmask_b32_e32 v1, 0, v54, vcc
	s_brev_b32 vcc_lo, 1
	v_and_or_b32 v54, v0, vcc_lo, v1
.LBB47_2170:                            ;   in Loop: Header=BB47_17 Depth=1
	s_or_b64 exec, exec, s[90:91]
                                        ; implicit-def: $vgpr0_vgpr1
.LBB47_2171:                            ;   in Loop: Header=BB47_17 Depth=1
	s_andn2_saveexec_b64 s[88:89], s[88:89]
	s_cbranch_execz .LBB47_2173
; %bb.2172:                             ;   in Loop: Header=BB47_17 Depth=1
	flat_load_ubyte v0, v[0:1]
	s_movk_i32 vcc_lo, 0x7f00
	s_waitcnt vmcnt(0) lgkmcnt(0)
	v_lshlrev_b16_e32 v1, 8, v0
	v_lshlrev_b32_e32 v0, 25, v0
	v_lshrrev_b32_e32 v54, 4, v0
	v_and_or_b32 v64, v1, vcc_lo, 0.5
	v_or_b32_e32 v54, 0x70000000, v54
	s_brev_b32 vcc_lo, 16
	v_add_f32_e32 v64, -0.5, v64
	v_mul_f32_e32 v54, 0x7800000, v54
	v_cmp_gt_u32_e32 vcc, vcc_lo, v0
	v_cndmask_b32_e32 v0, v54, v64, vcc
	v_bfe_i32 v1, v1, 0, 16
	s_brev_b32 vcc_lo, 1
	v_and_or_b32 v54, v1, vcc_lo, v0
.LBB47_2173:                            ;   in Loop: Header=BB47_17 Depth=1
	s_or_b64 exec, exec, s[88:89]
	s_or_b64 s[88:89], s[80:81], exec
                                        ; implicit-def: $vgpr0_vgpr1
.LBB47_2174:                            ;   in Loop: Header=BB47_17 Depth=1
	s_or_saveexec_b64 s[86:87], s[86:87]
                                        ; implicit-def: $vcc
                                        ; implicit-def: $sgpr94_sgpr95
	s_xor_b64 exec, exec, s[86:87]
	s_cbranch_execz .LBB47_2184
; %bb.2175:                             ;   in Loop: Header=BB47_17 Depth=1
	v_cmp_gt_i16_sdwa vcc, v8, v33 src0_sel:BYTE_0 src1_sel:DWORD
	s_mov_b64 s[92:93], s[88:89]
                                        ; implicit-def: $sgpr94_sgpr95
                                        ; implicit-def: $sgpr90_sgpr91
                                        ; implicit-def: $vgpr54
	s_and_saveexec_b64 s[60:61], vcc
	s_xor_b64 vcc, exec, s[60:61]
	s_cbranch_execz .LBB47_2179
; %bb.2176:                             ;   in Loop: Header=BB47_17 Depth=1
	v_cmp_eq_u16_sdwa s[90:91], v8, v34 src0_sel:BYTE_0 src1_sel:DWORD
	s_mov_b64 s[92:93], s[88:89]
                                        ; implicit-def: $vgpr54
	s_and_saveexec_b64 s[60:61], s[90:91]
	s_cbranch_execz .LBB47_2178
; %bb.2177:                             ;   in Loop: Header=BB47_17 Depth=1
	flat_load_ushort v0, v[0:1]
	s_or_b64 s[92:93], s[88:89], exec
	s_waitcnt vmcnt(0) lgkmcnt(0)
	v_lshlrev_b32_e32 v54, 16, v0
.LBB47_2178:                            ;   in Loop: Header=BB47_17 Depth=1
	s_or_b64 exec, exec, s[60:61]
	s_andn2_b64 s[60:61], s[88:89], exec
	s_and_b64 s[92:93], s[92:93], exec
	s_mov_b64 s[90:91], 0
	s_mov_b64 s[94:95], -1
	s_or_b64 s[92:93], s[60:61], s[92:93]
                                        ; implicit-def: $vgpr0_vgpr1
.LBB47_2179:                            ;   in Loop: Header=BB47_17 Depth=1
	s_andn2_saveexec_b64 s[96:97], vcc
	s_cbranch_execz .LBB47_2183
; %bb.2180:                             ;   in Loop: Header=BB47_17 Depth=1
	v_cmp_eq_u16_sdwa s[62:63], v8, v35 src0_sel:BYTE_0 src1_sel:DWORD
	s_mov_b64 vcc, s[92:93]
                                        ; implicit-def: $vgpr54
	s_and_saveexec_b64 s[60:61], s[62:63]
	s_cbranch_execz .LBB47_2182
; %bb.2181:                             ;   in Loop: Header=BB47_17 Depth=1
	flat_load_ubyte v0, v[0:1]
	s_waitcnt vmcnt(0) lgkmcnt(0)
	v_cmp_ne_u16_e32 vcc, 0, v0
	v_cndmask_b32_e64 v54, 0, 1.0, vcc
	s_or_b64 vcc, s[92:93], exec
.LBB47_2182:                            ;   in Loop: Header=BB47_17 Depth=1
	s_or_b64 exec, exec, s[60:61]
	s_andn2_b64 s[60:61], s[92:93], exec
	s_and_b64 vcc, vcc, exec
	s_or_b64 s[94:95], s[94:95], exec
	s_andn2_b64 s[90:91], s[90:91], exec
	s_or_b64 s[92:93], s[60:61], vcc
.LBB47_2183:                            ;   in Loop: Header=BB47_17 Depth=1
	s_or_b64 exec, exec, s[96:97]
	s_andn2_b64 s[60:61], s[88:89], exec
	s_and_b64 s[62:63], s[92:93], exec
	s_and_b64 s[94:95], s[94:95], exec
	s_and_b64 vcc, s[90:91], exec
	s_or_b64 s[88:89], s[60:61], s[62:63]
.LBB47_2184:                            ;   in Loop: Header=BB47_17 Depth=1
	s_or_b64 exec, exec, s[86:87]
	s_andn2_b64 s[60:61], s[84:85], exec
	s_and_b64 s[84:85], s[94:95], exec
	s_or_b64 s[84:85], s[60:61], s[84:85]
	s_andn2_b64 s[60:61], s[82:83], exec
	s_and_b64 vcc, vcc, exec
	s_or_b64 s[82:83], s[60:61], vcc
	s_andn2_b64 vcc, s[80:81], exec
	s_and_b64 s[60:61], s[88:89], exec
	s_or_b64 s[80:81], vcc, s[60:61]
.LBB47_2185:                            ;   in Loop: Header=BB47_17 Depth=1
	s_or_b64 exec, exec, s[78:79]
	s_and_b64 s[78:79], s[84:85], exec
	s_and_b64 vcc, s[82:83], exec
	s_and_b64 s[80:81], s[80:81], exec
                                        ; implicit-def: $vgpr0_vgpr1
	s_andn2_saveexec_b64 s[76:77], s[76:77]
	s_cbranch_execz .LBB47_2102
.LBB47_2186:                            ;   in Loop: Header=BB47_17 Depth=1
	v_cmp_gt_i16_sdwa s[60:61], v8, v36 src0_sel:BYTE_0 src1_sel:DWORD
                                        ; implicit-def: $vgpr54
	s_and_saveexec_b64 s[62:63], s[60:61]
	s_xor_b64 s[82:83], exec, s[62:63]
	s_cbranch_execz .LBB47_2208
; %bb.2187:                             ;   in Loop: Header=BB47_17 Depth=1
	v_cmp_gt_i16_sdwa s[60:61], v8, v37 src0_sel:BYTE_0 src1_sel:DWORD
                                        ; implicit-def: $vgpr54
	s_and_saveexec_b64 s[62:63], s[60:61]
	s_xor_b64 s[84:85], exec, s[62:63]
	s_cbranch_execz .LBB47_2197
; %bb.2188:                             ;   in Loop: Header=BB47_17 Depth=1
	;; [unrolled: 6-line block ×4, first 2 shown]
	flat_load_dwordx2 v[0:1], v[0:1]
	s_waitcnt vmcnt(0) lgkmcnt(0)
	v_cvt_f32_f64_e32 v54, v[0:1]
                                        ; implicit-def: $vgpr0_vgpr1
.LBB47_2191:                            ;   in Loop: Header=BB47_17 Depth=1
	s_andn2_saveexec_b64 s[60:61], s[60:61]
	s_cbranch_execz .LBB47_2193
; %bb.2192:                             ;   in Loop: Header=BB47_17 Depth=1
	flat_load_dword v54, v[0:1]
.LBB47_2193:                            ;   in Loop: Header=BB47_17 Depth=1
	s_or_b64 exec, exec, s[60:61]
                                        ; implicit-def: $vgpr0_vgpr1
.LBB47_2194:                            ;   in Loop: Header=BB47_17 Depth=1
	s_andn2_saveexec_b64 s[60:61], s[86:87]
	s_cbranch_execz .LBB47_2196
; %bb.2195:                             ;   in Loop: Header=BB47_17 Depth=1
	flat_load_dword v0, v[0:1]
	s_waitcnt vmcnt(0) lgkmcnt(0)
	v_cvt_f32_f16_e32 v54, v0
.LBB47_2196:                            ;   in Loop: Header=BB47_17 Depth=1
	s_or_b64 exec, exec, s[60:61]
                                        ; implicit-def: $vgpr0_vgpr1
.LBB47_2197:                            ;   in Loop: Header=BB47_17 Depth=1
	s_andn2_saveexec_b64 s[84:85], s[84:85]
	s_cbranch_execz .LBB47_2207
; %bb.2198:                             ;   in Loop: Header=BB47_17 Depth=1
	v_cmp_gt_i16_sdwa s[60:61], v8, v48 src0_sel:BYTE_0 src1_sel:DWORD
                                        ; implicit-def: $vgpr54
	s_and_saveexec_b64 s[62:63], s[60:61]
	s_xor_b64 s[86:87], exec, s[62:63]
	s_cbranch_execz .LBB47_2204
; %bb.2199:                             ;   in Loop: Header=BB47_17 Depth=1
	v_cmp_gt_i16_sdwa s[60:61], v8, v49 src0_sel:BYTE_0 src1_sel:DWORD
                                        ; implicit-def: $vgpr54
	s_and_saveexec_b64 s[62:63], s[60:61]
	s_xor_b64 s[60:61], exec, s[62:63]
	s_cbranch_execz .LBB47_2201
; %bb.2200:                             ;   in Loop: Header=BB47_17 Depth=1
	flat_load_dwordx2 v[0:1], v[0:1]
	s_waitcnt vmcnt(0) lgkmcnt(0)
	v_cvt_f32_f64_e32 v54, v[0:1]
                                        ; implicit-def: $vgpr0_vgpr1
.LBB47_2201:                            ;   in Loop: Header=BB47_17 Depth=1
	s_andn2_saveexec_b64 s[60:61], s[60:61]
	s_cbranch_execz .LBB47_2203
; %bb.2202:                             ;   in Loop: Header=BB47_17 Depth=1
	s_waitcnt vmcnt(0) lgkmcnt(0)
	flat_load_dword v54, v[0:1]
.LBB47_2203:                            ;   in Loop: Header=BB47_17 Depth=1
	s_or_b64 exec, exec, s[60:61]
                                        ; implicit-def: $vgpr0_vgpr1
.LBB47_2204:                            ;   in Loop: Header=BB47_17 Depth=1
	s_andn2_saveexec_b64 s[60:61], s[86:87]
	s_cbranch_execz .LBB47_2206
; %bb.2205:                             ;   in Loop: Header=BB47_17 Depth=1
	flat_load_ushort v0, v[0:1]
	s_waitcnt vmcnt(0) lgkmcnt(0)
	v_cvt_f32_f16_e32 v54, v0
.LBB47_2206:                            ;   in Loop: Header=BB47_17 Depth=1
	s_or_b64 exec, exec, s[60:61]
.LBB47_2207:                            ;   in Loop: Header=BB47_17 Depth=1
	s_or_b64 exec, exec, s[84:85]
                                        ; implicit-def: $vgpr0_vgpr1
.LBB47_2208:                            ;   in Loop: Header=BB47_17 Depth=1
	s_andn2_saveexec_b64 s[82:83], s[82:83]
	s_cbranch_execz .LBB47_2226
; %bb.2209:                             ;   in Loop: Header=BB47_17 Depth=1
	v_cmp_gt_i16_sdwa s[60:61], v8, v50 src0_sel:BYTE_0 src1_sel:DWORD
                                        ; implicit-def: $vgpr54
	s_and_saveexec_b64 s[62:63], s[60:61]
	s_xor_b64 s[84:85], exec, s[62:63]
	s_cbranch_execz .LBB47_2219
; %bb.2210:                             ;   in Loop: Header=BB47_17 Depth=1
	v_cmp_gt_i16_sdwa s[60:61], v8, v51 src0_sel:BYTE_0 src1_sel:DWORD
                                        ; implicit-def: $vgpr54
	s_and_saveexec_b64 s[62:63], s[60:61]
	s_xor_b64 s[86:87], exec, s[62:63]
	;; [unrolled: 6-line block ×3, first 2 shown]
	s_cbranch_execz .LBB47_2213
; %bb.2212:                             ;   in Loop: Header=BB47_17 Depth=1
	flat_load_dwordx2 v[0:1], v[0:1]
	s_waitcnt vmcnt(0) lgkmcnt(0)
	v_xor_b32_e32 v64, v0, v1
	v_ffbh_i32_e32 v54, v1
	v_ashrrev_i32_e32 v64, 31, v64
	v_add_u32_e32 v54, -1, v54
	v_add_u32_e32 v64, 32, v64
	v_min_u32_e32 v54, v54, v64
	v_lshlrev_b64 v[0:1], v54, v[0:1]
	v_min_u32_e32 v0, 1, v0
	v_or_b32_e32 v0, v1, v0
	v_cvt_f32_i32_e32 v0, v0
	v_sub_u32_e32 v1, 32, v54
	v_ldexp_f32 v54, v0, v1
                                        ; implicit-def: $vgpr0_vgpr1
.LBB47_2213:                            ;   in Loop: Header=BB47_17 Depth=1
	s_andn2_saveexec_b64 s[60:61], s[88:89]
	s_cbranch_execz .LBB47_2215
; %bb.2214:                             ;   in Loop: Header=BB47_17 Depth=1
	flat_load_dword v0, v[0:1]
	s_waitcnt vmcnt(0) lgkmcnt(0)
	v_cvt_f32_i32_e32 v54, v0
.LBB47_2215:                            ;   in Loop: Header=BB47_17 Depth=1
	s_or_b64 exec, exec, s[60:61]
                                        ; implicit-def: $vgpr0_vgpr1
.LBB47_2216:                            ;   in Loop: Header=BB47_17 Depth=1
	s_andn2_saveexec_b64 s[60:61], s[86:87]
	s_cbranch_execz .LBB47_2218
; %bb.2217:                             ;   in Loop: Header=BB47_17 Depth=1
	flat_load_sshort v0, v[0:1]
	s_waitcnt vmcnt(0) lgkmcnt(0)
	v_cvt_f32_i32_e32 v54, v0
.LBB47_2218:                            ;   in Loop: Header=BB47_17 Depth=1
	s_or_b64 exec, exec, s[60:61]
                                        ; implicit-def: $vgpr0_vgpr1
.LBB47_2219:                            ;   in Loop: Header=BB47_17 Depth=1
	s_andn2_saveexec_b64 s[84:85], s[84:85]
	s_cbranch_execz .LBB47_2225
; %bb.2220:                             ;   in Loop: Header=BB47_17 Depth=1
	v_cmp_gt_i16_sdwa s[60:61], v8, v14 src0_sel:BYTE_0 src1_sel:DWORD
                                        ; implicit-def: $vgpr54
	s_and_saveexec_b64 s[62:63], s[60:61]
	s_xor_b64 s[60:61], exec, s[62:63]
	s_cbranch_execz .LBB47_2222
; %bb.2221:                             ;   in Loop: Header=BB47_17 Depth=1
	flat_load_sbyte v0, v[0:1]
	s_waitcnt vmcnt(0) lgkmcnt(0)
	v_cvt_f32_i32_e32 v54, v0
                                        ; implicit-def: $vgpr0_vgpr1
.LBB47_2222:                            ;   in Loop: Header=BB47_17 Depth=1
	s_andn2_saveexec_b64 s[60:61], s[60:61]
	s_cbranch_execz .LBB47_2224
; %bb.2223:                             ;   in Loop: Header=BB47_17 Depth=1
	flat_load_ubyte v0, v[0:1]
	s_waitcnt vmcnt(0) lgkmcnt(0)
	v_cvt_f32_ubyte0_e32 v54, v0
.LBB47_2224:                            ;   in Loop: Header=BB47_17 Depth=1
	s_or_b64 exec, exec, s[60:61]
.LBB47_2225:                            ;   in Loop: Header=BB47_17 Depth=1
	s_or_b64 exec, exec, s[84:85]
.LBB47_2226:                            ;   in Loop: Header=BB47_17 Depth=1
	s_or_b64 exec, exec, s[82:83]
	s_andn2_b64 s[78:79], s[78:79], exec
	s_andn2_b64 vcc, vcc, exec
	s_or_b64 s[80:81], s[80:81], exec
	s_or_b64 exec, exec, s[76:77]
	s_mov_b64 s[76:77], 0
	s_and_saveexec_b64 s[82:83], s[80:81]
	s_cbranch_execnz .LBB47_2103
	s_branch .LBB47_2104
.LBB47_2227:                            ;   in Loop: Header=BB47_17 Depth=1
	v_cmp_gt_i16_sdwa vcc, v7, v17 src0_sel:BYTE_0 src1_sel:DWORD
	s_mov_b64 s[82:83], 0
                                        ; implicit-def: $sgpr84_sgpr85
                                        ; implicit-def: $sgpr74_sgpr75
                                        ; implicit-def: $vgpr64
	s_and_saveexec_b64 s[60:61], vcc
	s_xor_b64 s[72:73], exec, s[60:61]
	s_cbranch_execz .LBB47_2259
; %bb.2228:                             ;   in Loop: Header=BB47_17 Depth=1
	v_cmp_gt_i16_sdwa vcc, v7, v18 src0_sel:BYTE_0 src1_sel:DWORD
                                        ; implicit-def: $sgpr84_sgpr85
                                        ; implicit-def: $sgpr86_sgpr87
                                        ; implicit-def: $vgpr64
	s_and_saveexec_b64 s[60:61], vcc
	s_xor_b64 s[74:75], exec, s[60:61]
	s_cbranch_execz .LBB47_2244
; %bb.2229:                             ;   in Loop: Header=BB47_17 Depth=1
	v_cmp_gt_i16_sdwa s[60:61], v7, v19 src0_sel:BYTE_0 src1_sel:DWORD
	s_mov_b64 s[88:89], 0
                                        ; implicit-def: $vcc
                                        ; implicit-def: $sgpr84_sgpr85
                                        ; implicit-def: $vgpr64
	s_and_saveexec_b64 s[62:63], s[60:61]
	s_xor_b64 s[82:83], exec, s[62:63]
	s_cbranch_execz .LBB47_2239
; %bb.2230:                             ;   in Loop: Header=BB47_17 Depth=1
	v_cmp_gt_i16_sdwa vcc, v7, v20 src0_sel:BYTE_0 src1_sel:DWORD
	s_mov_b64 s[86:87], 0
                                        ; implicit-def: $sgpr84_sgpr85
                                        ; implicit-def: $sgpr88_sgpr89
                                        ; implicit-def: $vgpr64
	s_and_saveexec_b64 s[60:61], vcc
	s_xor_b64 vcc, exec, s[60:61]
	s_cbranch_execz .LBB47_2234
; %bb.2231:                             ;   in Loop: Header=BB47_17 Depth=1
	v_cmp_eq_u16_sdwa s[62:63], v7, v21 src0_sel:BYTE_0 src1_sel:DWORD
	s_mov_b64 s[84:85], 0
	s_mov_b64 s[66:67], 0
                                        ; implicit-def: $vgpr64
	s_and_saveexec_b64 s[60:61], s[62:63]
	s_cbranch_execz .LBB47_2233
; %bb.2232:                             ;   in Loop: Header=BB47_17 Depth=1
	flat_load_dword v0, v[0:1]
	s_mov_b64 s[66:67], exec
	s_waitcnt vmcnt(0) lgkmcnt(0)
	v_lshlrev_b32_e32 v64, 16, v0
.LBB47_2233:                            ;   in Loop: Header=BB47_17 Depth=1
	s_or_b64 exec, exec, s[60:61]
	s_mov_b64 s[88:89], -1
	s_and_b64 s[86:87], s[66:67], exec
                                        ; implicit-def: $vgpr0_vgpr1
.LBB47_2234:                            ;   in Loop: Header=BB47_17 Depth=1
	s_andn2_saveexec_b64 s[66:67], vcc
	s_cbranch_execz .LBB47_2238
; %bb.2235:                             ;   in Loop: Header=BB47_17 Depth=1
	v_cmp_eq_u16_sdwa s[60:61], v7, v22 src0_sel:BYTE_0 src1_sel:DWORD
	s_mov_b64 vcc, s[86:87]
                                        ; implicit-def: $vgpr64
	s_and_saveexec_b64 s[68:69], s[60:61]
	s_cbranch_execz .LBB47_2237
; %bb.2236:                             ;   in Loop: Header=BB47_17 Depth=1
	flat_load_ubyte v0, v[0:1]
	s_movk_i32 vcc_lo, 0xff
	s_waitcnt vmcnt(0) lgkmcnt(0)
	v_lshlrev_b32_e32 v1, 23, v0
	v_cmp_ne_u32_e32 vcc, vcc_lo, v0
	v_cndmask_b32_e32 v1, v23, v1, vcc
	v_cmp_ne_u32_e32 vcc, 0, v0
	v_cndmask_b32_e32 v64, v24, v1, vcc
	s_or_b64 vcc, s[86:87], exec
.LBB47_2237:                            ;   in Loop: Header=BB47_17 Depth=1
	s_or_b64 exec, exec, s[68:69]
	s_andn2_b64 s[60:61], s[86:87], exec
	s_and_b64 vcc, vcc, exec
	s_andn2_b64 s[84:85], s[84:85], exec
	s_or_b64 s[88:89], s[88:89], exec
	s_or_b64 s[86:87], s[60:61], vcc
.LBB47_2238:                            ;   in Loop: Header=BB47_17 Depth=1
	s_or_b64 exec, exec, s[66:67]
	s_and_b64 s[84:85], s[84:85], exec
	s_and_b64 vcc, s[88:89], exec
	s_and_b64 s[88:89], s[86:87], exec
                                        ; implicit-def: $vgpr0_vgpr1
.LBB47_2239:                            ;   in Loop: Header=BB47_17 Depth=1
	s_andn2_saveexec_b64 s[66:67], s[82:83]
	s_cbranch_execz .LBB47_2243
; %bb.2240:                             ;   in Loop: Header=BB47_17 Depth=1
	v_cmp_eq_u16_sdwa s[60:61], v7, v25 src0_sel:BYTE_0 src1_sel:DWORD
	s_mov_b64 s[70:71], s[88:89]
                                        ; implicit-def: $vgpr64
	s_and_saveexec_b64 s[68:69], s[60:61]
	s_cbranch_execz .LBB47_2242
; %bb.2241:                             ;   in Loop: Header=BB47_17 Depth=1
	flat_load_dwordx2 v[0:1], v[0:1]
	s_or_b64 s[70:71], s[88:89], exec
	s_waitcnt vmcnt(0) lgkmcnt(0)
	v_ffbh_u32_e32 v54, v1
	v_min_u32_e32 v54, 32, v54
	v_lshlrev_b64 v[0:1], v54, v[0:1]
	v_min_u32_e32 v0, 1, v0
	v_or_b32_e32 v0, v1, v0
	v_cvt_f32_u32_e32 v0, v0
	v_sub_u32_e32 v1, 32, v54
	v_ldexp_f32 v64, v0, v1
.LBB47_2242:                            ;   in Loop: Header=BB47_17 Depth=1
	s_or_b64 exec, exec, s[68:69]
	s_andn2_b64 s[60:61], s[88:89], exec
	s_and_b64 s[62:63], s[70:71], exec
	s_andn2_b64 s[84:85], s[84:85], exec
	s_or_b64 vcc, vcc, exec
	s_or_b64 s[88:89], s[60:61], s[62:63]
.LBB47_2243:                            ;   in Loop: Header=BB47_17 Depth=1
	s_or_b64 exec, exec, s[66:67]
	s_and_b64 s[86:87], s[84:85], exec
	s_and_b64 s[84:85], vcc, exec
	s_and_b64 s[82:83], s[88:89], exec
                                        ; implicit-def: $vgpr0_vgpr1
.LBB47_2244:                            ;   in Loop: Header=BB47_17 Depth=1
	s_andn2_saveexec_b64 s[74:75], s[74:75]
	s_cbranch_execz .LBB47_2258
; %bb.2245:                             ;   in Loop: Header=BB47_17 Depth=1
	v_cmp_gt_i16_sdwa vcc, v7, v26 src0_sel:BYTE_0 src1_sel:DWORD
                                        ; implicit-def: $vgpr64
	s_and_saveexec_b64 s[60:61], vcc
	s_xor_b64 vcc, exec, s[60:61]
	s_cbranch_execz .LBB47_2251
; %bb.2246:                             ;   in Loop: Header=BB47_17 Depth=1
	v_cmp_gt_i16_sdwa s[60:61], v7, v27 src0_sel:BYTE_0 src1_sel:DWORD
                                        ; implicit-def: $vgpr64
	s_and_saveexec_b64 s[62:63], s[60:61]
	s_xor_b64 s[60:61], exec, s[62:63]
	s_cbranch_execz .LBB47_2248
; %bb.2247:                             ;   in Loop: Header=BB47_17 Depth=1
	flat_load_dword v0, v[0:1]
	s_waitcnt vmcnt(0) lgkmcnt(0)
	v_cvt_f32_u32_e32 v64, v0
                                        ; implicit-def: $vgpr0_vgpr1
.LBB47_2248:                            ;   in Loop: Header=BB47_17 Depth=1
	s_andn2_saveexec_b64 s[60:61], s[60:61]
	s_cbranch_execz .LBB47_2250
; %bb.2249:                             ;   in Loop: Header=BB47_17 Depth=1
	flat_load_ushort v0, v[0:1]
	s_waitcnt vmcnt(0) lgkmcnt(0)
	v_cvt_f32_u32_e32 v64, v0
.LBB47_2250:                            ;   in Loop: Header=BB47_17 Depth=1
	s_or_b64 exec, exec, s[60:61]
                                        ; implicit-def: $vgpr0_vgpr1
.LBB47_2251:                            ;   in Loop: Header=BB47_17 Depth=1
	s_andn2_saveexec_b64 s[88:89], vcc
	s_cbranch_execz .LBB47_2257
; %bb.2252:                             ;   in Loop: Header=BB47_17 Depth=1
	flat_load_ubyte v0, v[0:1]
	s_movk_i32 vcc_lo, 0x7f
	s_mov_b64 s[66:67], 0
                                        ; implicit-def: $sgpr70
	s_waitcnt vmcnt(0) lgkmcnt(0)
	v_cmp_lt_i16_e32 vcc, vcc_lo, v0
	s_and_saveexec_b64 s[60:61], vcc
	s_xor_b64 s[68:69], exec, s[60:61]
	s_cbranch_execnz .LBB47_3131
; %bb.2253:                             ;   in Loop: Header=BB47_17 Depth=1
	s_or_saveexec_b64 s[68:69], s[68:69]
	v_mov_b32_e32 v64, s70
	s_xor_b64 exec, exec, s[68:69]
	s_cbranch_execnz .LBB47_3134
.LBB47_2254:                            ;   in Loop: Header=BB47_17 Depth=1
	s_or_b64 exec, exec, s[68:69]
	s_and_saveexec_b64 s[68:69], s[66:67]
	s_cbranch_execz .LBB47_2256
.LBB47_2255:                            ;   in Loop: Header=BB47_17 Depth=1
	v_lshlrev_b32_e32 v1, 24, v0
	v_and_b32_e32 v0, 0xffff, v0
	v_and_b32_e32 v54, 7, v0
	v_ffbh_u32_e32 v65, v54
	v_min_u32_e32 v65, 32, v65
	v_subrev_u32_e32 v66, 28, v65
	v_bfe_u32 v64, v0, 3, 4
	v_lshlrev_b32_e32 v0, v66, v0
	v_sub_u32_e32 v65, 29, v65
	v_and_b32_e32 v0, 7, v0
	v_cmp_eq_u32_e32 vcc, 0, v64
	v_cndmask_b32_e32 v64, v64, v65, vcc
	v_cndmask_b32_e32 v0, v54, v0, vcc
	v_lshlrev_b32_e32 v0, 20, v0
	v_and_b32_e32 v1, 0x80000000, v1
	v_lshl_add_u32 v54, v64, 23, v28
	v_or3_b32 v64, v1, v54, v0
.LBB47_2256:                            ;   in Loop: Header=BB47_17 Depth=1
	s_or_b64 exec, exec, s[68:69]
.LBB47_2257:                            ;   in Loop: Header=BB47_17 Depth=1
	s_or_b64 exec, exec, s[88:89]
	s_andn2_b64 s[86:87], s[86:87], exec
	s_andn2_b64 s[84:85], s[84:85], exec
	s_or_b64 s[82:83], s[82:83], exec
.LBB47_2258:                            ;   in Loop: Header=BB47_17 Depth=1
	s_or_b64 exec, exec, s[74:75]
	s_and_b64 s[74:75], s[86:87], exec
	s_and_b64 s[84:85], s[84:85], exec
	;; [unrolled: 1-line block ×3, first 2 shown]
                                        ; implicit-def: $vgpr0_vgpr1
.LBB47_2259:                            ;   in Loop: Header=BB47_17 Depth=1
	s_andn2_saveexec_b64 s[72:73], s[72:73]
	s_cbranch_execz .LBB47_2285
; %bb.2260:                             ;   in Loop: Header=BB47_17 Depth=1
	v_cmp_gt_i16_sdwa vcc, v7, v29 src0_sel:BYTE_0 src1_sel:DWORD
	s_mov_b64 s[88:89], s[82:83]
                                        ; implicit-def: $vgpr64
	s_and_saveexec_b64 s[60:61], vcc
	s_xor_b64 s[86:87], exec, s[60:61]
	s_cbranch_execz .LBB47_2274
; %bb.2261:                             ;   in Loop: Header=BB47_17 Depth=1
	v_cmp_gt_i16_sdwa vcc, v7, v30 src0_sel:BYTE_0 src1_sel:DWORD
                                        ; implicit-def: $vgpr64
	s_and_saveexec_b64 s[60:61], vcc
	s_xor_b64 s[88:89], exec, s[60:61]
	s_cbranch_execz .LBB47_2271
; %bb.2262:                             ;   in Loop: Header=BB47_17 Depth=1
	v_cmp_gt_i16_sdwa vcc, v7, v31 src0_sel:BYTE_0 src1_sel:DWORD
                                        ; implicit-def: $vgpr64
	s_and_saveexec_b64 s[60:61], vcc
	s_xor_b64 s[90:91], exec, s[60:61]
	s_cbranch_execz .LBB47_2268
; %bb.2263:                             ;   in Loop: Header=BB47_17 Depth=1
	flat_load_ubyte v0, v[0:1]
	s_movk_i32 vcc_lo, 0x7f
	s_mov_b64 s[66:67], 0
                                        ; implicit-def: $sgpr70
	s_waitcnt vmcnt(0) lgkmcnt(0)
	v_cmp_lt_i16_e32 vcc, vcc_lo, v0
	s_and_saveexec_b64 s[60:61], vcc
	s_xor_b64 s[68:69], exec, s[60:61]
	s_cbranch_execnz .LBB47_3350
; %bb.2264:                             ;   in Loop: Header=BB47_17 Depth=1
	s_or_saveexec_b64 s[68:69], s[68:69]
	v_mov_b32_e32 v64, s70
	s_xor_b64 exec, exec, s[68:69]
	s_cbranch_execnz .LBB47_3353
.LBB47_2265:                            ;   in Loop: Header=BB47_17 Depth=1
	s_or_b64 exec, exec, s[68:69]
	s_and_saveexec_b64 s[68:69], s[66:67]
	s_cbranch_execz .LBB47_2267
.LBB47_2266:                            ;   in Loop: Header=BB47_17 Depth=1
	v_lshlrev_b32_e32 v1, 24, v0
	v_and_b32_e32 v0, 0xffff, v0
	v_and_b32_e32 v54, 3, v0
	v_ffbh_u32_e32 v65, v54
	v_min_u32_e32 v65, 32, v65
	v_subrev_u32_e32 v66, 29, v65
	v_bfe_u32 v64, v0, 2, 5
	v_lshlrev_b32_e32 v0, v66, v0
	v_sub_u32_e32 v65, 30, v65
	v_and_b32_e32 v0, 3, v0
	v_cmp_eq_u32_e32 vcc, 0, v64
	v_cndmask_b32_e32 v64, v64, v65, vcc
	v_cndmask_b32_e32 v0, v54, v0, vcc
	v_lshlrev_b32_e32 v0, 21, v0
	v_and_b32_e32 v1, 0x80000000, v1
	v_lshl_add_u32 v54, v64, 23, v32
	v_or3_b32 v64, v1, v54, v0
.LBB47_2267:                            ;   in Loop: Header=BB47_17 Depth=1
	s_or_b64 exec, exec, s[68:69]
                                        ; implicit-def: $vgpr0_vgpr1
.LBB47_2268:                            ;   in Loop: Header=BB47_17 Depth=1
	s_andn2_saveexec_b64 s[66:67], s[90:91]
	s_cbranch_execz .LBB47_2270
; %bb.2269:                             ;   in Loop: Header=BB47_17 Depth=1
	flat_load_ubyte v0, v[0:1]
	s_mov_b32 vcc_lo, 0x7f800000
	s_waitcnt vmcnt(0) lgkmcnt(0)
	v_lshlrev_b32_e32 v0, 24, v0
	v_and_b32_e32 v1, 0x7f000000, v0
	v_ffbh_u32_e32 v54, v1
	v_min_u32_e32 v54, 32, v54
	v_sub_u32_e64 v54, v54, 4 clamp
	v_lshlrev_b32_e32 v65, v54, v1
	v_lshlrev_b32_e32 v54, 23, v54
	v_lshrrev_b32_e32 v65, 4, v65
	v_add_u32_e32 v64, 0x1000000, v1
	v_sub_u32_e32 v54, v65, v54
	v_ashrrev_i32_e32 v64, 8, v64
	v_add_u32_e32 v54, 0x3c000000, v54
	v_and_or_b32 v54, v64, vcc_lo, v54
	v_cmp_ne_u32_e32 vcc, 0, v1
	v_cndmask_b32_e32 v1, 0, v54, vcc
	s_brev_b32 vcc_lo, 1
	v_and_or_b32 v64, v0, vcc_lo, v1
.LBB47_2270:                            ;   in Loop: Header=BB47_17 Depth=1
	s_or_b64 exec, exec, s[66:67]
                                        ; implicit-def: $vgpr0_vgpr1
.LBB47_2271:                            ;   in Loop: Header=BB47_17 Depth=1
	s_andn2_saveexec_b64 s[66:67], s[88:89]
	s_cbranch_execz .LBB47_2273
; %bb.2272:                             ;   in Loop: Header=BB47_17 Depth=1
	flat_load_ubyte v0, v[0:1]
	s_movk_i32 vcc_lo, 0x7f00
	s_waitcnt vmcnt(0) lgkmcnt(0)
	v_lshlrev_b16_e32 v1, 8, v0
	v_lshlrev_b32_e32 v0, 25, v0
	v_lshrrev_b32_e32 v54, 4, v0
	v_and_or_b32 v64, v1, vcc_lo, 0.5
	v_or_b32_e32 v54, 0x70000000, v54
	s_brev_b32 vcc_lo, 16
	v_add_f32_e32 v64, -0.5, v64
	v_mul_f32_e32 v54, 0x7800000, v54
	v_cmp_gt_u32_e32 vcc, vcc_lo, v0
	v_cndmask_b32_e32 v0, v54, v64, vcc
	v_bfe_i32 v1, v1, 0, 16
	s_brev_b32 vcc_lo, 1
	v_and_or_b32 v64, v1, vcc_lo, v0
.LBB47_2273:                            ;   in Loop: Header=BB47_17 Depth=1
	s_or_b64 exec, exec, s[66:67]
	s_or_b64 s[88:89], s[82:83], exec
                                        ; implicit-def: $vgpr0_vgpr1
.LBB47_2274:                            ;   in Loop: Header=BB47_17 Depth=1
	s_or_saveexec_b64 s[86:87], s[86:87]
                                        ; implicit-def: $vcc
                                        ; implicit-def: $sgpr66_sgpr67
	s_xor_b64 exec, exec, s[86:87]
	s_cbranch_execz .LBB47_2284
; %bb.2275:                             ;   in Loop: Header=BB47_17 Depth=1
	v_cmp_gt_i16_sdwa vcc, v7, v33 src0_sel:BYTE_0 src1_sel:DWORD
	s_mov_b64 s[92:93], s[88:89]
                                        ; implicit-def: $sgpr66_sgpr67
                                        ; implicit-def: $sgpr90_sgpr91
                                        ; implicit-def: $vgpr64
	s_and_saveexec_b64 s[60:61], vcc
	s_xor_b64 vcc, exec, s[60:61]
	s_cbranch_execz .LBB47_2279
; %bb.2276:                             ;   in Loop: Header=BB47_17 Depth=1
	v_cmp_eq_u16_sdwa s[62:63], v7, v34 src0_sel:BYTE_0 src1_sel:DWORD
	s_mov_b64 s[68:69], s[88:89]
                                        ; implicit-def: $vgpr64
	s_and_saveexec_b64 s[60:61], s[62:63]
	s_cbranch_execz .LBB47_2278
; %bb.2277:                             ;   in Loop: Header=BB47_17 Depth=1
	flat_load_ushort v0, v[0:1]
	s_or_b64 s[68:69], s[88:89], exec
	s_waitcnt vmcnt(0) lgkmcnt(0)
	v_lshlrev_b32_e32 v64, 16, v0
.LBB47_2278:                            ;   in Loop: Header=BB47_17 Depth=1
	s_or_b64 exec, exec, s[60:61]
	s_andn2_b64 s[60:61], s[88:89], exec
	s_and_b64 s[62:63], s[68:69], exec
	s_mov_b64 s[90:91], -1
	s_mov_b64 s[66:67], 0
	s_or_b64 s[92:93], s[60:61], s[62:63]
                                        ; implicit-def: $vgpr0_vgpr1
.LBB47_2279:                            ;   in Loop: Header=BB47_17 Depth=1
	s_andn2_saveexec_b64 s[68:69], vcc
	s_cbranch_execz .LBB47_2283
; %bb.2280:                             ;   in Loop: Header=BB47_17 Depth=1
	v_cmp_eq_u16_sdwa s[62:63], v7, v35 src0_sel:BYTE_0 src1_sel:DWORD
	s_mov_b64 vcc, s[92:93]
                                        ; implicit-def: $vgpr64
	s_and_saveexec_b64 s[60:61], s[62:63]
	s_cbranch_execz .LBB47_2282
; %bb.2281:                             ;   in Loop: Header=BB47_17 Depth=1
	flat_load_ubyte v0, v[0:1]
	s_waitcnt vmcnt(0) lgkmcnt(0)
	v_cmp_ne_u16_e32 vcc, 0, v0
	v_cndmask_b32_e64 v64, 0, 1.0, vcc
	s_or_b64 vcc, s[92:93], exec
.LBB47_2282:                            ;   in Loop: Header=BB47_17 Depth=1
	s_or_b64 exec, exec, s[60:61]
	s_andn2_b64 s[60:61], s[92:93], exec
	s_and_b64 vcc, vcc, exec
	s_andn2_b64 s[66:67], s[66:67], exec
	s_or_b64 s[90:91], s[90:91], exec
	s_or_b64 s[92:93], s[60:61], vcc
.LBB47_2283:                            ;   in Loop: Header=BB47_17 Depth=1
	s_or_b64 exec, exec, s[68:69]
	s_andn2_b64 s[60:61], s[88:89], exec
	s_and_b64 s[62:63], s[92:93], exec
	s_and_b64 s[66:67], s[66:67], exec
	s_and_b64 vcc, s[90:91], exec
	s_or_b64 s[88:89], s[60:61], s[62:63]
.LBB47_2284:                            ;   in Loop: Header=BB47_17 Depth=1
	s_or_b64 exec, exec, s[86:87]
	s_andn2_b64 s[60:61], s[74:75], exec
	s_and_b64 s[62:63], s[66:67], exec
	s_or_b64 s[74:75], s[60:61], s[62:63]
	s_andn2_b64 s[60:61], s[84:85], exec
	s_and_b64 vcc, vcc, exec
	s_or_b64 s[84:85], s[60:61], vcc
	s_andn2_b64 vcc, s[82:83], exec
	s_and_b64 s[60:61], s[88:89], exec
	s_or_b64 s[82:83], vcc, s[60:61]
.LBB47_2285:                            ;   in Loop: Header=BB47_17 Depth=1
	s_or_b64 exec, exec, s[72:73]
	s_and_b64 s[74:75], s[74:75], exec
	s_and_b64 s[72:73], s[84:85], exec
	s_and_b64 vcc, s[82:83], exec
                                        ; implicit-def: $vgpr0_vgpr1
	s_andn2_saveexec_b64 s[80:81], s[80:81]
	s_cbranch_execz .LBB47_2110
.LBB47_2286:                            ;   in Loop: Header=BB47_17 Depth=1
	v_cmp_gt_i16_sdwa s[60:61], v7, v36 src0_sel:BYTE_0 src1_sel:DWORD
                                        ; implicit-def: $vgpr64
	s_and_saveexec_b64 s[62:63], s[60:61]
	s_xor_b64 s[82:83], exec, s[62:63]
	s_cbranch_execz .LBB47_2308
; %bb.2287:                             ;   in Loop: Header=BB47_17 Depth=1
	v_cmp_gt_i16_sdwa s[60:61], v7, v37 src0_sel:BYTE_0 src1_sel:DWORD
                                        ; implicit-def: $vgpr64
	s_and_saveexec_b64 s[62:63], s[60:61]
	s_xor_b64 s[66:67], exec, s[62:63]
	s_cbranch_execz .LBB47_2297
; %bb.2288:                             ;   in Loop: Header=BB47_17 Depth=1
	;; [unrolled: 6-line block ×4, first 2 shown]
	flat_load_dwordx2 v[0:1], v[0:1]
	s_waitcnt vmcnt(0) lgkmcnt(0)
	v_cvt_f32_f64_e32 v64, v[0:1]
                                        ; implicit-def: $vgpr0_vgpr1
.LBB47_2291:                            ;   in Loop: Header=BB47_17 Depth=1
	s_andn2_saveexec_b64 s[60:61], s[60:61]
	s_cbranch_execz .LBB47_2293
; %bb.2292:                             ;   in Loop: Header=BB47_17 Depth=1
	s_waitcnt vmcnt(0) lgkmcnt(0)
	flat_load_dword v64, v[0:1]
.LBB47_2293:                            ;   in Loop: Header=BB47_17 Depth=1
	s_or_b64 exec, exec, s[60:61]
                                        ; implicit-def: $vgpr0_vgpr1
.LBB47_2294:                            ;   in Loop: Header=BB47_17 Depth=1
	s_andn2_saveexec_b64 s[60:61], s[68:69]
	s_cbranch_execz .LBB47_2296
; %bb.2295:                             ;   in Loop: Header=BB47_17 Depth=1
	flat_load_dword v0, v[0:1]
	s_waitcnt vmcnt(0) lgkmcnt(0)
	v_cvt_f32_f16_e32 v64, v0
.LBB47_2296:                            ;   in Loop: Header=BB47_17 Depth=1
	s_or_b64 exec, exec, s[60:61]
                                        ; implicit-def: $vgpr0_vgpr1
.LBB47_2297:                            ;   in Loop: Header=BB47_17 Depth=1
	s_andn2_saveexec_b64 s[66:67], s[66:67]
	s_cbranch_execz .LBB47_2307
; %bb.2298:                             ;   in Loop: Header=BB47_17 Depth=1
	v_cmp_gt_i16_sdwa s[60:61], v7, v48 src0_sel:BYTE_0 src1_sel:DWORD
                                        ; implicit-def: $vgpr64
	s_and_saveexec_b64 s[62:63], s[60:61]
	s_xor_b64 s[68:69], exec, s[62:63]
	s_cbranch_execz .LBB47_2304
; %bb.2299:                             ;   in Loop: Header=BB47_17 Depth=1
	v_cmp_gt_i16_sdwa s[60:61], v7, v49 src0_sel:BYTE_0 src1_sel:DWORD
                                        ; implicit-def: $vgpr64
	s_and_saveexec_b64 s[62:63], s[60:61]
	s_xor_b64 s[60:61], exec, s[62:63]
	s_cbranch_execz .LBB47_2301
; %bb.2300:                             ;   in Loop: Header=BB47_17 Depth=1
	flat_load_dwordx2 v[0:1], v[0:1]
	s_waitcnt vmcnt(0) lgkmcnt(0)
	v_cvt_f32_f64_e32 v64, v[0:1]
                                        ; implicit-def: $vgpr0_vgpr1
.LBB47_2301:                            ;   in Loop: Header=BB47_17 Depth=1
	s_andn2_saveexec_b64 s[60:61], s[60:61]
	s_cbranch_execz .LBB47_2303
; %bb.2302:                             ;   in Loop: Header=BB47_17 Depth=1
	s_waitcnt vmcnt(0) lgkmcnt(0)
	flat_load_dword v64, v[0:1]
.LBB47_2303:                            ;   in Loop: Header=BB47_17 Depth=1
	s_or_b64 exec, exec, s[60:61]
                                        ; implicit-def: $vgpr0_vgpr1
.LBB47_2304:                            ;   in Loop: Header=BB47_17 Depth=1
	s_andn2_saveexec_b64 s[60:61], s[68:69]
	s_cbranch_execz .LBB47_2306
; %bb.2305:                             ;   in Loop: Header=BB47_17 Depth=1
	flat_load_ushort v0, v[0:1]
	s_waitcnt vmcnt(0) lgkmcnt(0)
	v_cvt_f32_f16_e32 v64, v0
.LBB47_2306:                            ;   in Loop: Header=BB47_17 Depth=1
	s_or_b64 exec, exec, s[60:61]
.LBB47_2307:                            ;   in Loop: Header=BB47_17 Depth=1
	s_or_b64 exec, exec, s[66:67]
                                        ; implicit-def: $vgpr0_vgpr1
.LBB47_2308:                            ;   in Loop: Header=BB47_17 Depth=1
	s_andn2_saveexec_b64 s[82:83], s[82:83]
	s_cbranch_execz .LBB47_2326
; %bb.2309:                             ;   in Loop: Header=BB47_17 Depth=1
	v_cmp_gt_i16_sdwa s[60:61], v7, v50 src0_sel:BYTE_0 src1_sel:DWORD
                                        ; implicit-def: $vgpr64
	s_and_saveexec_b64 s[62:63], s[60:61]
	s_xor_b64 s[84:85], exec, s[62:63]
	s_cbranch_execz .LBB47_2319
; %bb.2310:                             ;   in Loop: Header=BB47_17 Depth=1
	v_cmp_gt_i16_sdwa s[60:61], v7, v51 src0_sel:BYTE_0 src1_sel:DWORD
                                        ; implicit-def: $vgpr64
	s_and_saveexec_b64 s[62:63], s[60:61]
	s_xor_b64 s[66:67], exec, s[62:63]
	s_cbranch_execz .LBB47_2316
; %bb.2311:                             ;   in Loop: Header=BB47_17 Depth=1
	v_cmp_gt_i16_sdwa s[60:61], v7, v52 src0_sel:BYTE_0 src1_sel:DWORD
                                        ; implicit-def: $vgpr64
	s_and_saveexec_b64 s[62:63], s[60:61]
	s_xor_b64 s[68:69], exec, s[62:63]
	s_cbranch_execz .LBB47_2313
; %bb.2312:                             ;   in Loop: Header=BB47_17 Depth=1
	flat_load_dwordx2 v[0:1], v[0:1]
	s_waitcnt vmcnt(0) lgkmcnt(0)
	v_xor_b32_e32 v64, v0, v1
	v_ffbh_i32_e32 v54, v1
	v_ashrrev_i32_e32 v64, 31, v64
	v_add_u32_e32 v54, -1, v54
	v_add_u32_e32 v64, 32, v64
	v_min_u32_e32 v54, v54, v64
	v_lshlrev_b64 v[0:1], v54, v[0:1]
	v_min_u32_e32 v0, 1, v0
	v_or_b32_e32 v0, v1, v0
	v_cvt_f32_i32_e32 v0, v0
	v_sub_u32_e32 v1, 32, v54
	v_ldexp_f32 v64, v0, v1
                                        ; implicit-def: $vgpr0_vgpr1
.LBB47_2313:                            ;   in Loop: Header=BB47_17 Depth=1
	s_andn2_saveexec_b64 s[60:61], s[68:69]
	s_cbranch_execz .LBB47_2315
; %bb.2314:                             ;   in Loop: Header=BB47_17 Depth=1
	flat_load_dword v0, v[0:1]
	s_waitcnt vmcnt(0) lgkmcnt(0)
	v_cvt_f32_i32_e32 v64, v0
.LBB47_2315:                            ;   in Loop: Header=BB47_17 Depth=1
	s_or_b64 exec, exec, s[60:61]
                                        ; implicit-def: $vgpr0_vgpr1
.LBB47_2316:                            ;   in Loop: Header=BB47_17 Depth=1
	s_andn2_saveexec_b64 s[60:61], s[66:67]
	s_cbranch_execz .LBB47_2318
; %bb.2317:                             ;   in Loop: Header=BB47_17 Depth=1
	flat_load_sshort v0, v[0:1]
	s_waitcnt vmcnt(0) lgkmcnt(0)
	v_cvt_f32_i32_e32 v64, v0
.LBB47_2318:                            ;   in Loop: Header=BB47_17 Depth=1
	s_or_b64 exec, exec, s[60:61]
                                        ; implicit-def: $vgpr0_vgpr1
.LBB47_2319:                            ;   in Loop: Header=BB47_17 Depth=1
	s_andn2_saveexec_b64 s[66:67], s[84:85]
	s_cbranch_execz .LBB47_2325
; %bb.2320:                             ;   in Loop: Header=BB47_17 Depth=1
	v_cmp_gt_i16_sdwa s[60:61], v7, v14 src0_sel:BYTE_0 src1_sel:DWORD
                                        ; implicit-def: $vgpr64
	s_and_saveexec_b64 s[62:63], s[60:61]
	s_xor_b64 s[60:61], exec, s[62:63]
	s_cbranch_execz .LBB47_2322
; %bb.2321:                             ;   in Loop: Header=BB47_17 Depth=1
	flat_load_sbyte v0, v[0:1]
	s_waitcnt vmcnt(0) lgkmcnt(0)
	v_cvt_f32_i32_e32 v64, v0
                                        ; implicit-def: $vgpr0_vgpr1
.LBB47_2322:                            ;   in Loop: Header=BB47_17 Depth=1
	s_andn2_saveexec_b64 s[60:61], s[60:61]
	s_cbranch_execz .LBB47_2324
; %bb.2323:                             ;   in Loop: Header=BB47_17 Depth=1
	flat_load_ubyte v0, v[0:1]
	s_waitcnt vmcnt(0) lgkmcnt(0)
	v_cvt_f32_ubyte0_e32 v64, v0
.LBB47_2324:                            ;   in Loop: Header=BB47_17 Depth=1
	s_or_b64 exec, exec, s[60:61]
.LBB47_2325:                            ;   in Loop: Header=BB47_17 Depth=1
	s_or_b64 exec, exec, s[66:67]
.LBB47_2326:                            ;   in Loop: Header=BB47_17 Depth=1
	s_or_b64 exec, exec, s[82:83]
	s_andn2_b64 s[74:75], s[74:75], exec
	s_andn2_b64 s[72:73], s[72:73], exec
	s_or_b64 vcc, vcc, exec
	s_or_b64 exec, exec, s[80:81]
	s_mov_b64 s[66:67], 0
	s_and_saveexec_b64 s[80:81], vcc
	s_cbranch_execz .LBB47_2332
.LBB47_2327:                            ;   in Loop: Header=BB47_17 Depth=1
	v_mul_lo_u32 v0, v55, v10
	v_readlane_b32 s60, v44, 0
	v_add_co_u32_e32 v0, vcc, v4, v0
	s_waitcnt vmcnt(0) lgkmcnt(0)
	v_add_u32_e32 v54, s60, v15
	v_addc_co_u32_e32 v1, vcc, 0, v5, vcc
	v_cmp_gt_i16_sdwa s[60:61], v8, v16 src0_sel:BYTE_0 src1_sel:DWORD
	s_mov_b64 s[86:87], 0
	buffer_store_dword v64, v54, s[0:3], 0 offen offset:84
                                        ; implicit-def: $vcc
                                        ; implicit-def: $sgpr84_sgpr85
                                        ; implicit-def: $vgpr55
	s_and_saveexec_b64 s[62:63], s[60:61]
	s_xor_b64 s[82:83], exec, s[62:63]
	s_cbranch_execnz .LBB47_2354
; %bb.2328:                             ;   in Loop: Header=BB47_17 Depth=1
	s_andn2_saveexec_b64 s[82:83], s[82:83]
	s_cbranch_execnz .LBB47_2413
.LBB47_2329:                            ;   in Loop: Header=BB47_17 Depth=1
	s_or_b64 exec, exec, s[82:83]
	s_mov_b64 s[66:67], 0
	s_and_saveexec_b64 s[68:69], s[86:87]
	s_cbranch_execz .LBB47_2331
.LBB47_2330:                            ;   in Loop: Header=BB47_17 Depth=1
	s_mov_b64 s[66:67], exec
	v_add_u32_e32 v53, 0x200, v53
	s_andn2_b64 s[84:85], s[84:85], exec
	s_andn2_b64 vcc, vcc, exec
	s_waitcnt vmcnt(0) lgkmcnt(0)
	buffer_store_dword v55, v54, s[0:3], 0 offen offset:80
.LBB47_2331:                            ;   in Loop: Header=BB47_17 Depth=1
	s_or_b64 exec, exec, s[68:69]
	s_andn2_b64 s[60:61], s[74:75], exec
	s_and_b64 s[62:63], s[84:85], exec
	s_or_b64 s[74:75], s[60:61], s[62:63]
	s_andn2_b64 s[60:61], s[72:73], exec
	s_and_b64 vcc, vcc, exec
	s_or_b64 s[72:73], s[60:61], vcc
	s_and_b64 s[66:67], s[66:67], exec
.LBB47_2332:                            ;   in Loop: Header=BB47_17 Depth=1
	s_or_b64 exec, exec, s[80:81]
	s_and_b64 vcc, s[74:75], exec
	v_writelane_b32 v44, vcc_lo, 14
	v_writelane_b32 v44, vcc_hi, 15
	s_and_b64 s[62:63], s[72:73], exec
	s_orn2_b64 s[66:67], s[66:67], exec
.LBB47_2333:                            ;   in Loop: Header=BB47_17 Depth=1
	s_or_b64 exec, exec, s[76:77]
	s_mov_b64 vcc, exec
	v_writelane_b32 v44, vcc_lo, 12
	v_writelane_b32 v44, vcc_hi, 13
	s_and_b64 vcc, vcc, s[66:67]
	s_mov_b64 exec, vcc
	s_cbranch_execz .LBB47_6
; %bb.2334:                             ;   in Loop: Header=BB47_17 Depth=1
	v_writelane_b32 v44, s62, 16
	v_cmp_lt_i32_e32 vcc, v53, v6
	s_mov_b64 s[84:85], -1
	s_mov_b64 s[66:67], -1
	v_writelane_b32 v44, s63, 17
                                        ; implicit-def: $sgpr62_sgpr63
                                        ; implicit-def: $sgpr60_sgpr61
                                        ; kill: killed $sgpr60_sgpr61
	s_and_saveexec_b64 s[82:83], vcc
	s_cbranch_execz .LBB47_2560
; %bb.2335:                             ;   in Loop: Header=BB47_17 Depth=1
	v_readlane_b32 vcc_lo, v44, 1
	s_waitcnt vmcnt(0) lgkmcnt(0)
	v_add_u32_e32 v55, vcc_lo, v53
	v_mul_lo_u32 v0, v55, v9
	v_add_co_u32_e32 v0, vcc, v2, v0
	v_addc_co_u32_e32 v1, vcc, 0, v3, vcc
	v_cmp_gt_i16_sdwa s[60:61], v7, v16 src0_sel:BYTE_0 src1_sel:DWORD
	s_mov_b64 vcc, 0
                                        ; implicit-def: $sgpr78_sgpr79
                                        ; implicit-def: $sgpr80_sgpr81
                                        ; implicit-def: $vgpr64
	s_and_saveexec_b64 s[62:63], s[60:61]
	s_xor_b64 s[86:87], exec, s[62:63]
	s_cbranch_execnz .LBB47_2454
; %bb.2336:                             ;   in Loop: Header=BB47_17 Depth=1
	s_andn2_saveexec_b64 s[86:87], s[86:87]
	s_cbranch_execnz .LBB47_2513
.LBB47_2337:                            ;   in Loop: Header=BB47_17 Depth=1
	s_or_b64 exec, exec, s[86:87]
	s_mov_b64 s[66:67], 0
	s_and_saveexec_b64 s[86:87], vcc
	s_cbranch_execnz .LBB47_2554
	s_branch .LBB47_2559
.LBB47_2338:                            ;   in Loop: Header=BB47_17 Depth=1
	s_movk_i32 vcc_lo, 0x80
	v_cmp_eq_u16_e32 vcc, vcc_lo, v0
	s_mov_b64 s[68:69], -1
                                        ; implicit-def: $sgpr74
	s_and_saveexec_b64 s[72:73], vcc
; %bb.2339:                             ;   in Loop: Header=BB47_17 Depth=1
	s_mov_b32 s74, 0x7f800001
	s_xor_b64 s[68:69], exec, -1
; %bb.2340:                             ;   in Loop: Header=BB47_17 Depth=1
	s_or_b64 exec, exec, s[72:73]
	s_and_b64 s[68:69], s[68:69], exec
	s_or_saveexec_b64 s[70:71], s[70:71]
	v_mov_b32_e32 v54, s74
	s_xor_b64 exec, exec, s[70:71]
	s_cbranch_execz .LBB47_1257
.LBB47_2341:                            ;   in Loop: Header=BB47_17 Depth=1
	v_cmp_ne_u16_e32 vcc, 0, v0
	s_andn2_b64 s[68:69], s[68:69], exec
	s_and_b64 vcc, vcc, exec
	v_mov_b32_e32 v54, 0
	s_or_b64 s[68:69], s[68:69], vcc
	s_or_b64 exec, exec, s[70:71]
	s_and_saveexec_b64 s[70:71], s[68:69]
	s_cbranch_execnz .LBB47_1258
	s_branch .LBB47_1259
.LBB47_2342:                            ;   in Loop: Header=BB47_17 Depth=1
	s_movk_i32 vcc_lo, 0x80
	v_cmp_eq_u16_e32 vcc, vcc_lo, v0
	s_mov_b64 s[68:69], -1
                                        ; implicit-def: $sgpr74
	s_and_saveexec_b64 s[72:73], vcc
; %bb.2343:                             ;   in Loop: Header=BB47_17 Depth=1
	s_mov_b32 s74, 0x7f800001
	s_xor_b64 s[68:69], exec, -1
; %bb.2344:                             ;   in Loop: Header=BB47_17 Depth=1
	s_or_b64 exec, exec, s[72:73]
	s_and_b64 s[68:69], s[68:69], exec
	s_or_saveexec_b64 s[70:71], s[70:71]
	v_mov_b32_e32 v64, s74
	s_xor_b64 exec, exec, s[70:71]
	s_cbranch_execz .LBB47_1357
.LBB47_2345:                            ;   in Loop: Header=BB47_17 Depth=1
	v_cmp_ne_u16_e32 vcc, 0, v0
	s_andn2_b64 s[68:69], s[68:69], exec
	s_and_b64 vcc, vcc, exec
	v_mov_b32_e32 v64, 0
	s_or_b64 s[68:69], s[68:69], vcc
	s_or_b64 exec, exec, s[70:71]
	s_and_saveexec_b64 s[70:71], s[68:69]
	s_cbranch_execnz .LBB47_1358
	s_branch .LBB47_1359
.LBB47_2346:                            ;   in Loop: Header=BB47_17 Depth=1
	s_movk_i32 vcc_lo, 0x80
	v_cmp_eq_u16_e32 vcc, vcc_lo, v0
	s_mov_b64 s[72:73], -1
                                        ; implicit-def: $sgpr78
	s_and_saveexec_b64 s[76:77], vcc
; %bb.2347:                             ;   in Loop: Header=BB47_17 Depth=1
	s_mov_b32 s78, 0x7f800001
	s_xor_b64 s[72:73], exec, -1
; %bb.2348:                             ;   in Loop: Header=BB47_17 Depth=1
	s_or_b64 exec, exec, s[76:77]
	s_and_b64 s[72:73], s[72:73], exec
	s_or_saveexec_b64 s[74:75], s[74:75]
	v_mov_b32_e32 v54, s78
	s_xor_b64 exec, exec, s[74:75]
	s_cbranch_execz .LBB47_1473
.LBB47_2349:                            ;   in Loop: Header=BB47_17 Depth=1
	v_cmp_ne_u16_e32 vcc, 0, v0
	s_andn2_b64 s[72:73], s[72:73], exec
	s_and_b64 vcc, vcc, exec
	v_mov_b32_e32 v54, 0
	s_or_b64 s[72:73], s[72:73], vcc
	s_or_b64 exec, exec, s[74:75]
	s_and_saveexec_b64 s[74:75], s[72:73]
	s_cbranch_execnz .LBB47_1474
	s_branch .LBB47_1475
.LBB47_2350:                            ;   in Loop: Header=BB47_17 Depth=1
	s_movk_i32 vcc_lo, 0x80
	v_cmp_eq_u16_e32 vcc, vcc_lo, v0
	s_mov_b64 s[72:73], -1
                                        ; implicit-def: $sgpr78
	s_and_saveexec_b64 s[76:77], vcc
; %bb.2351:                             ;   in Loop: Header=BB47_17 Depth=1
	s_mov_b32 s78, 0x7f800001
	s_xor_b64 s[72:73], exec, -1
; %bb.2352:                             ;   in Loop: Header=BB47_17 Depth=1
	s_or_b64 exec, exec, s[76:77]
	s_and_b64 s[72:73], s[72:73], exec
	s_or_saveexec_b64 s[74:75], s[74:75]
	v_mov_b32_e32 v64, s78
	s_xor_b64 exec, exec, s[74:75]
	s_cbranch_execz .LBB47_1573
.LBB47_2353:                            ;   in Loop: Header=BB47_17 Depth=1
	v_cmp_ne_u16_e32 vcc, 0, v0
	s_andn2_b64 s[72:73], s[72:73], exec
	s_and_b64 vcc, vcc, exec
	v_mov_b32_e32 v64, 0
	s_or_b64 s[72:73], s[72:73], vcc
	s_or_b64 exec, exec, s[74:75]
	s_and_saveexec_b64 s[74:75], s[72:73]
	s_cbranch_execnz .LBB47_1574
	s_branch .LBB47_1575
.LBB47_2354:                            ;   in Loop: Header=BB47_17 Depth=1
	v_cmp_gt_i16_sdwa vcc, v8, v17 src0_sel:BYTE_0 src1_sel:DWORD
                                        ; implicit-def: $sgpr88_sgpr89
                                        ; implicit-def: $sgpr90_sgpr91
                                        ; implicit-def: $vgpr55
	s_and_saveexec_b64 s[60:61], vcc
	s_xor_b64 s[84:85], exec, s[60:61]
	s_cbranch_execz .LBB47_2386
; %bb.2355:                             ;   in Loop: Header=BB47_17 Depth=1
	v_cmp_gt_i16_sdwa vcc, v8, v18 src0_sel:BYTE_0 src1_sel:DWORD
                                        ; implicit-def: $sgpr92_sgpr93
                                        ; implicit-def: $sgpr90_sgpr91
                                        ; implicit-def: $vgpr55
	s_and_saveexec_b64 s[60:61], vcc
	s_xor_b64 s[88:89], exec, s[60:61]
	s_cbranch_execz .LBB47_2371
; %bb.2356:                             ;   in Loop: Header=BB47_17 Depth=1
	v_cmp_gt_i16_sdwa s[60:61], v8, v19 src0_sel:BYTE_0 src1_sel:DWORD
	s_mov_b64 s[94:95], 0
                                        ; implicit-def: $vcc
                                        ; implicit-def: $sgpr96_sgpr97
                                        ; implicit-def: $vgpr55
	s_and_saveexec_b64 s[62:63], s[60:61]
	s_xor_b64 s[86:87], exec, s[62:63]
	s_cbranch_execz .LBB47_2366
; %bb.2357:                             ;   in Loop: Header=BB47_17 Depth=1
	v_cmp_gt_i16_sdwa vcc, v8, v20 src0_sel:BYTE_0 src1_sel:DWORD
	s_mov_b64 s[92:93], 0
                                        ; implicit-def: $sgpr94_sgpr95
                                        ; implicit-def: $sgpr90_sgpr91
                                        ; implicit-def: $vgpr55
	s_and_saveexec_b64 s[60:61], vcc
	s_xor_b64 vcc, exec, s[60:61]
	s_cbranch_execz .LBB47_2361
; %bb.2358:                             ;   in Loop: Header=BB47_17 Depth=1
	v_cmp_eq_u16_sdwa s[62:63], v8, v21 src0_sel:BYTE_0 src1_sel:DWORD
	s_mov_b64 s[90:91], 0
                                        ; implicit-def: $vgpr55
	s_and_saveexec_b64 s[60:61], s[62:63]
	s_cbranch_execz .LBB47_2360
; %bb.2359:                             ;   in Loop: Header=BB47_17 Depth=1
	flat_load_dword v0, v[0:1]
	s_mov_b64 s[66:67], exec
	s_waitcnt vmcnt(0) lgkmcnt(0)
	v_lshlrev_b32_e32 v55, 16, v0
.LBB47_2360:                            ;   in Loop: Header=BB47_17 Depth=1
	s_or_b64 exec, exec, s[60:61]
	s_mov_b64 s[94:95], -1
	s_and_b64 s[92:93], s[66:67], exec
                                        ; implicit-def: $vgpr0_vgpr1
.LBB47_2361:                            ;   in Loop: Header=BB47_17 Depth=1
	s_andn2_saveexec_b64 s[66:67], vcc
	s_cbranch_execz .LBB47_2365
; %bb.2362:                             ;   in Loop: Header=BB47_17 Depth=1
	v_cmp_eq_u16_sdwa s[60:61], v8, v22 src0_sel:BYTE_0 src1_sel:DWORD
	s_mov_b64 vcc, s[92:93]
                                        ; implicit-def: $vgpr55
	s_and_saveexec_b64 s[68:69], s[60:61]
	s_cbranch_execz .LBB47_2364
; %bb.2363:                             ;   in Loop: Header=BB47_17 Depth=1
	flat_load_ubyte v0, v[0:1]
	s_movk_i32 vcc_lo, 0xff
	s_waitcnt vmcnt(0) lgkmcnt(0)
	v_lshlrev_b32_e32 v1, 23, v0
	v_cmp_ne_u32_e32 vcc, vcc_lo, v0
	v_cndmask_b32_e32 v1, v23, v1, vcc
	v_cmp_ne_u32_e32 vcc, 0, v0
	v_cndmask_b32_e32 v55, v24, v1, vcc
	s_or_b64 vcc, s[92:93], exec
.LBB47_2364:                            ;   in Loop: Header=BB47_17 Depth=1
	s_or_b64 exec, exec, s[68:69]
	s_andn2_b64 s[60:61], s[92:93], exec
	s_and_b64 vcc, vcc, exec
	s_or_b64 s[94:95], s[94:95], exec
	s_andn2_b64 s[90:91], s[90:91], exec
	s_or_b64 s[92:93], s[60:61], vcc
.LBB47_2365:                            ;   in Loop: Header=BB47_17 Depth=1
	s_or_b64 exec, exec, s[66:67]
	s_and_b64 s[96:97], s[94:95], exec
	s_and_b64 vcc, s[90:91], exec
	s_and_b64 s[94:95], s[92:93], exec
                                        ; implicit-def: $vgpr0_vgpr1
.LBB47_2366:                            ;   in Loop: Header=BB47_17 Depth=1
	s_andn2_saveexec_b64 s[66:67], s[86:87]
	s_cbranch_execz .LBB47_2370
; %bb.2367:                             ;   in Loop: Header=BB47_17 Depth=1
	v_cmp_eq_u16_sdwa s[60:61], v8, v25 src0_sel:BYTE_0 src1_sel:DWORD
	s_mov_b64 s[70:71], s[94:95]
                                        ; implicit-def: $vgpr55
	s_and_saveexec_b64 s[68:69], s[60:61]
	s_cbranch_execz .LBB47_2369
; %bb.2368:                             ;   in Loop: Header=BB47_17 Depth=1
	flat_load_dwordx2 v[0:1], v[0:1]
	s_or_b64 s[70:71], s[94:95], exec
	s_waitcnt vmcnt(0) lgkmcnt(0)
	v_ffbh_u32_e32 v55, v1
	v_min_u32_e32 v55, 32, v55
	s_waitcnt vmcnt(0) expcnt(0) lgkmcnt(0)
	v_swap_b32 v2, v55
	v_lshlrev_b64 v[0:1], v2, v[0:1]
	v_swap_b32 v55, v2
	v_min_u32_e32 v0, 1, v0
	v_or_b32_e32 v0, v1, v0
	v_cvt_f32_u32_e32 v0, v0
	v_sub_u32_e32 v1, 32, v55
	v_ldexp_f32 v55, v0, v1
.LBB47_2369:                            ;   in Loop: Header=BB47_17 Depth=1
	s_or_b64 exec, exec, s[68:69]
	s_andn2_b64 s[60:61], s[94:95], exec
	s_and_b64 s[62:63], s[70:71], exec
	s_or_b64 s[96:97], s[96:97], exec
	s_andn2_b64 vcc, vcc, exec
	s_or_b64 s[94:95], s[60:61], s[62:63]
.LBB47_2370:                            ;   in Loop: Header=BB47_17 Depth=1
	s_or_b64 exec, exec, s[66:67]
	s_and_b64 s[90:91], s[96:97], exec
	s_and_b64 s[92:93], vcc, exec
	s_and_b64 s[86:87], s[94:95], exec
                                        ; implicit-def: $vgpr0_vgpr1
.LBB47_2371:                            ;   in Loop: Header=BB47_17 Depth=1
	s_andn2_saveexec_b64 s[88:89], s[88:89]
	s_cbranch_execz .LBB47_2385
; %bb.2372:                             ;   in Loop: Header=BB47_17 Depth=1
	v_cmp_gt_i16_sdwa vcc, v8, v26 src0_sel:BYTE_0 src1_sel:DWORD
                                        ; implicit-def: $vgpr55
	s_and_saveexec_b64 s[60:61], vcc
	s_xor_b64 vcc, exec, s[60:61]
	s_cbranch_execz .LBB47_2378
; %bb.2373:                             ;   in Loop: Header=BB47_17 Depth=1
	v_cmp_gt_i16_sdwa s[60:61], v8, v27 src0_sel:BYTE_0 src1_sel:DWORD
                                        ; implicit-def: $vgpr55
	s_and_saveexec_b64 s[62:63], s[60:61]
	s_xor_b64 s[60:61], exec, s[62:63]
	s_cbranch_execz .LBB47_2375
; %bb.2374:                             ;   in Loop: Header=BB47_17 Depth=1
	flat_load_dword v0, v[0:1]
	s_waitcnt vmcnt(0) lgkmcnt(0)
	v_cvt_f32_u32_e32 v55, v0
                                        ; implicit-def: $vgpr0_vgpr1
.LBB47_2375:                            ;   in Loop: Header=BB47_17 Depth=1
	s_andn2_saveexec_b64 s[60:61], s[60:61]
	s_cbranch_execz .LBB47_2377
; %bb.2376:                             ;   in Loop: Header=BB47_17 Depth=1
	flat_load_ushort v0, v[0:1]
	s_waitcnt vmcnt(0) lgkmcnt(0)
	v_cvt_f32_u32_e32 v55, v0
.LBB47_2377:                            ;   in Loop: Header=BB47_17 Depth=1
	s_or_b64 exec, exec, s[60:61]
                                        ; implicit-def: $vgpr0_vgpr1
.LBB47_2378:                            ;   in Loop: Header=BB47_17 Depth=1
	s_andn2_saveexec_b64 s[94:95], vcc
	s_cbranch_execz .LBB47_2384
; %bb.2379:                             ;   in Loop: Header=BB47_17 Depth=1
	flat_load_ubyte v0, v[0:1]
	s_movk_i32 vcc_lo, 0x7f
	s_mov_b64 s[66:67], 0
                                        ; implicit-def: $sgpr70
	s_waitcnt vmcnt(0) lgkmcnt(0)
	v_cmp_lt_i16_e32 vcc, vcc_lo, v0
	s_and_saveexec_b64 s[60:61], vcc
	s_xor_b64 s[68:69], exec, s[60:61]
	s_cbranch_execnz .LBB47_3354
; %bb.2380:                             ;   in Loop: Header=BB47_17 Depth=1
	s_or_saveexec_b64 s[68:69], s[68:69]
	v_mov_b32_e32 v55, s70
	s_xor_b64 exec, exec, s[68:69]
	s_cbranch_execnz .LBB47_3357
.LBB47_2381:                            ;   in Loop: Header=BB47_17 Depth=1
	s_or_b64 exec, exec, s[68:69]
	s_and_saveexec_b64 s[68:69], s[66:67]
	s_cbranch_execz .LBB47_2383
.LBB47_2382:                            ;   in Loop: Header=BB47_17 Depth=1
	v_lshlrev_b32_e32 v1, 24, v0
	v_and_b32_e32 v0, 0xffff, v0
	v_and_b32_e32 v55, 7, v0
	v_ffbh_u32_e32 v65, v55
	v_min_u32_e32 v65, 32, v65
	v_subrev_u32_e32 v66, 28, v65
	v_bfe_u32 v64, v0, 3, 4
	v_lshlrev_b32_e32 v0, v66, v0
	v_sub_u32_e32 v65, 29, v65
	v_and_b32_e32 v0, 7, v0
	v_cmp_eq_u32_e32 vcc, 0, v64
	v_cndmask_b32_e32 v64, v64, v65, vcc
	v_cndmask_b32_e32 v0, v55, v0, vcc
	v_lshlrev_b32_e32 v0, 20, v0
	v_and_b32_e32 v1, 0x80000000, v1
	v_lshl_add_u32 v55, v64, 23, v28
	v_or3_b32 v55, v1, v55, v0
.LBB47_2383:                            ;   in Loop: Header=BB47_17 Depth=1
	s_or_b64 exec, exec, s[68:69]
.LBB47_2384:                            ;   in Loop: Header=BB47_17 Depth=1
	s_or_b64 exec, exec, s[94:95]
	s_andn2_b64 s[90:91], s[90:91], exec
	s_andn2_b64 s[92:93], s[92:93], exec
	s_or_b64 s[86:87], s[86:87], exec
.LBB47_2385:                            ;   in Loop: Header=BB47_17 Depth=1
	s_or_b64 exec, exec, s[88:89]
	s_and_b64 s[90:91], s[90:91], exec
	s_and_b64 s[88:89], s[92:93], exec
	;; [unrolled: 1-line block ×3, first 2 shown]
                                        ; implicit-def: $vgpr0_vgpr1
.LBB47_2386:                            ;   in Loop: Header=BB47_17 Depth=1
	s_andn2_saveexec_b64 s[84:85], s[84:85]
	s_cbranch_execz .LBB47_2412
; %bb.2387:                             ;   in Loop: Header=BB47_17 Depth=1
	v_cmp_gt_i16_sdwa vcc, v8, v29 src0_sel:BYTE_0 src1_sel:DWORD
	s_mov_b64 s[94:95], s[86:87]
                                        ; implicit-def: $vgpr55
	s_and_saveexec_b64 s[60:61], vcc
	s_xor_b64 s[92:93], exec, s[60:61]
	s_cbranch_execz .LBB47_2401
; %bb.2388:                             ;   in Loop: Header=BB47_17 Depth=1
	v_cmp_gt_i16_sdwa vcc, v8, v30 src0_sel:BYTE_0 src1_sel:DWORD
                                        ; implicit-def: $vgpr55
	s_and_saveexec_b64 s[60:61], vcc
	s_xor_b64 s[94:95], exec, s[60:61]
	s_cbranch_execz .LBB47_2398
; %bb.2389:                             ;   in Loop: Header=BB47_17 Depth=1
	v_cmp_gt_i16_sdwa vcc, v8, v31 src0_sel:BYTE_0 src1_sel:DWORD
                                        ; implicit-def: $vgpr55
	s_and_saveexec_b64 s[60:61], vcc
	s_xor_b64 s[96:97], exec, s[60:61]
	s_cbranch_execz .LBB47_2395
; %bb.2390:                             ;   in Loop: Header=BB47_17 Depth=1
	flat_load_ubyte v0, v[0:1]
	s_movk_i32 vcc_lo, 0x7f
	s_mov_b64 s[66:67], 0
                                        ; implicit-def: $sgpr70
	s_waitcnt vmcnt(0) lgkmcnt(0)
	v_cmp_lt_i16_e32 vcc, vcc_lo, v0
	s_and_saveexec_b64 s[60:61], vcc
	s_xor_b64 s[68:69], exec, s[60:61]
	s_cbranch_execnz .LBB47_3470
; %bb.2391:                             ;   in Loop: Header=BB47_17 Depth=1
	s_or_saveexec_b64 s[68:69], s[68:69]
	v_mov_b32_e32 v55, s70
	s_xor_b64 exec, exec, s[68:69]
	s_cbranch_execnz .LBB47_3473
.LBB47_2392:                            ;   in Loop: Header=BB47_17 Depth=1
	s_or_b64 exec, exec, s[68:69]
	s_and_saveexec_b64 s[68:69], s[66:67]
	s_cbranch_execz .LBB47_2394
.LBB47_2393:                            ;   in Loop: Header=BB47_17 Depth=1
	v_lshlrev_b32_e32 v1, 24, v0
	v_and_b32_e32 v0, 0xffff, v0
	v_and_b32_e32 v55, 3, v0
	v_ffbh_u32_e32 v65, v55
	v_min_u32_e32 v65, 32, v65
	v_subrev_u32_e32 v66, 29, v65
	v_bfe_u32 v64, v0, 2, 5
	v_lshlrev_b32_e32 v0, v66, v0
	v_sub_u32_e32 v65, 30, v65
	v_and_b32_e32 v0, 3, v0
	v_cmp_eq_u32_e32 vcc, 0, v64
	v_cndmask_b32_e32 v64, v64, v65, vcc
	v_cndmask_b32_e32 v0, v55, v0, vcc
	v_lshlrev_b32_e32 v0, 21, v0
	v_and_b32_e32 v1, 0x80000000, v1
	v_lshl_add_u32 v55, v64, 23, v32
	v_or3_b32 v55, v1, v55, v0
.LBB47_2394:                            ;   in Loop: Header=BB47_17 Depth=1
	s_or_b64 exec, exec, s[68:69]
                                        ; implicit-def: $vgpr0_vgpr1
.LBB47_2395:                            ;   in Loop: Header=BB47_17 Depth=1
	s_andn2_saveexec_b64 s[66:67], s[96:97]
	s_cbranch_execz .LBB47_2397
; %bb.2396:                             ;   in Loop: Header=BB47_17 Depth=1
	flat_load_ubyte v0, v[0:1]
	s_mov_b32 vcc_lo, 0x7f800000
	s_waitcnt vmcnt(0) lgkmcnt(0)
	v_lshlrev_b32_e32 v0, 24, v0
	v_and_b32_e32 v1, 0x7f000000, v0
	v_ffbh_u32_e32 v55, v1
	v_min_u32_e32 v55, 32, v55
	v_sub_u32_e64 v55, v55, 4 clamp
	v_lshlrev_b32_e32 v65, v55, v1
	v_lshlrev_b32_e32 v55, 23, v55
	v_lshrrev_b32_e32 v65, 4, v65
	v_add_u32_e32 v64, 0x1000000, v1
	v_sub_u32_e32 v55, v65, v55
	v_ashrrev_i32_e32 v64, 8, v64
	v_add_u32_e32 v55, 0x3c000000, v55
	v_and_or_b32 v55, v64, vcc_lo, v55
	v_cmp_ne_u32_e32 vcc, 0, v1
	v_cndmask_b32_e32 v1, 0, v55, vcc
	s_brev_b32 vcc_lo, 1
	v_and_or_b32 v55, v0, vcc_lo, v1
.LBB47_2397:                            ;   in Loop: Header=BB47_17 Depth=1
	s_or_b64 exec, exec, s[66:67]
                                        ; implicit-def: $vgpr0_vgpr1
.LBB47_2398:                            ;   in Loop: Header=BB47_17 Depth=1
	s_andn2_saveexec_b64 s[66:67], s[94:95]
	s_cbranch_execz .LBB47_2400
; %bb.2399:                             ;   in Loop: Header=BB47_17 Depth=1
	flat_load_ubyte v0, v[0:1]
	s_movk_i32 vcc_lo, 0x7f00
	s_waitcnt vmcnt(0) lgkmcnt(0)
	v_lshlrev_b16_e32 v1, 8, v0
	v_lshlrev_b32_e32 v0, 25, v0
	v_lshrrev_b32_e32 v55, 4, v0
	v_and_or_b32 v64, v1, vcc_lo, 0.5
	v_or_b32_e32 v55, 0x70000000, v55
	s_brev_b32 vcc_lo, 16
	v_add_f32_e32 v64, -0.5, v64
	v_mul_f32_e32 v55, 0x7800000, v55
	v_cmp_gt_u32_e32 vcc, vcc_lo, v0
	v_cndmask_b32_e32 v0, v55, v64, vcc
	v_bfe_i32 v1, v1, 0, 16
	s_brev_b32 vcc_lo, 1
	v_and_or_b32 v55, v1, vcc_lo, v0
.LBB47_2400:                            ;   in Loop: Header=BB47_17 Depth=1
	s_or_b64 exec, exec, s[66:67]
	s_or_b64 s[94:95], s[86:87], exec
                                        ; implicit-def: $vgpr0_vgpr1
.LBB47_2401:                            ;   in Loop: Header=BB47_17 Depth=1
	s_or_saveexec_b64 s[92:93], s[92:93]
                                        ; implicit-def: $vcc
                                        ; implicit-def: $sgpr68_sgpr69
	s_xor_b64 exec, exec, s[92:93]
	s_cbranch_execz .LBB47_2411
; %bb.2402:                             ;   in Loop: Header=BB47_17 Depth=1
	v_cmp_gt_i16_sdwa vcc, v8, v33 src0_sel:BYTE_0 src1_sel:DWORD
	s_mov_b64 s[66:67], s[94:95]
                                        ; implicit-def: $sgpr68_sgpr69
                                        ; implicit-def: $sgpr96_sgpr97
                                        ; implicit-def: $vgpr55
	s_and_saveexec_b64 s[60:61], vcc
	s_xor_b64 vcc, exec, s[60:61]
	s_cbranch_execz .LBB47_2406
; %bb.2403:                             ;   in Loop: Header=BB47_17 Depth=1
	v_cmp_eq_u16_sdwa s[62:63], v8, v34 src0_sel:BYTE_0 src1_sel:DWORD
	s_mov_b64 s[66:67], s[94:95]
                                        ; implicit-def: $vgpr55
	s_and_saveexec_b64 s[60:61], s[62:63]
	s_cbranch_execz .LBB47_2405
; %bb.2404:                             ;   in Loop: Header=BB47_17 Depth=1
	flat_load_ushort v0, v[0:1]
	s_or_b64 s[66:67], s[94:95], exec
	s_waitcnt vmcnt(0) lgkmcnt(0)
	v_lshlrev_b32_e32 v55, 16, v0
.LBB47_2405:                            ;   in Loop: Header=BB47_17 Depth=1
	s_or_b64 exec, exec, s[60:61]
	s_andn2_b64 s[60:61], s[94:95], exec
	s_and_b64 s[62:63], s[66:67], exec
	s_mov_b64 s[96:97], 0
	s_mov_b64 s[68:69], -1
	s_or_b64 s[66:67], s[60:61], s[62:63]
                                        ; implicit-def: $vgpr0_vgpr1
.LBB47_2406:                            ;   in Loop: Header=BB47_17 Depth=1
	s_andn2_saveexec_b64 s[70:71], vcc
	s_cbranch_execz .LBB47_2410
; %bb.2407:                             ;   in Loop: Header=BB47_17 Depth=1
	v_cmp_eq_u16_sdwa s[62:63], v8, v35 src0_sel:BYTE_0 src1_sel:DWORD
	s_mov_b64 vcc, s[66:67]
                                        ; implicit-def: $vgpr55
	s_and_saveexec_b64 s[60:61], s[62:63]
	s_cbranch_execz .LBB47_2409
; %bb.2408:                             ;   in Loop: Header=BB47_17 Depth=1
	flat_load_ubyte v0, v[0:1]
	s_waitcnt vmcnt(0) lgkmcnt(0)
	v_cmp_ne_u16_e32 vcc, 0, v0
	v_cndmask_b32_e64 v55, 0, 1.0, vcc
	s_or_b64 vcc, s[66:67], exec
.LBB47_2409:                            ;   in Loop: Header=BB47_17 Depth=1
	s_or_b64 exec, exec, s[60:61]
	s_andn2_b64 s[60:61], s[66:67], exec
	s_and_b64 vcc, vcc, exec
	s_or_b64 s[68:69], s[68:69], exec
	s_andn2_b64 s[96:97], s[96:97], exec
	s_or_b64 s[66:67], s[60:61], vcc
.LBB47_2410:                            ;   in Loop: Header=BB47_17 Depth=1
	s_or_b64 exec, exec, s[70:71]
	s_andn2_b64 s[60:61], s[94:95], exec
	s_and_b64 s[62:63], s[66:67], exec
	s_and_b64 s[68:69], s[68:69], exec
	s_and_b64 vcc, s[96:97], exec
	s_or_b64 s[94:95], s[60:61], s[62:63]
.LBB47_2411:                            ;   in Loop: Header=BB47_17 Depth=1
	s_or_b64 exec, exec, s[92:93]
	s_andn2_b64 s[60:61], s[90:91], exec
	s_and_b64 s[62:63], s[68:69], exec
	s_or_b64 s[90:91], s[60:61], s[62:63]
	s_andn2_b64 s[60:61], s[88:89], exec
	s_and_b64 vcc, vcc, exec
	s_or_b64 s[88:89], s[60:61], vcc
	s_andn2_b64 vcc, s[86:87], exec
	s_and_b64 s[60:61], s[94:95], exec
	s_or_b64 s[86:87], vcc, s[60:61]
.LBB47_2412:                            ;   in Loop: Header=BB47_17 Depth=1
	s_or_b64 exec, exec, s[84:85]
	s_and_b64 s[84:85], s[90:91], exec
	s_and_b64 vcc, s[88:89], exec
	s_and_b64 s[86:87], s[86:87], exec
                                        ; implicit-def: $vgpr0_vgpr1
	s_andn2_saveexec_b64 s[82:83], s[82:83]
	s_cbranch_execz .LBB47_2329
.LBB47_2413:                            ;   in Loop: Header=BB47_17 Depth=1
	v_cmp_gt_i16_sdwa s[60:61], v8, v36 src0_sel:BYTE_0 src1_sel:DWORD
                                        ; implicit-def: $vgpr55
	s_and_saveexec_b64 s[62:63], s[60:61]
	s_xor_b64 s[88:89], exec, s[62:63]
	s_cbranch_execz .LBB47_2435
; %bb.2414:                             ;   in Loop: Header=BB47_17 Depth=1
	v_cmp_gt_i16_sdwa s[60:61], v8, v37 src0_sel:BYTE_0 src1_sel:DWORD
                                        ; implicit-def: $vgpr55
	s_and_saveexec_b64 s[62:63], s[60:61]
	s_xor_b64 s[66:67], exec, s[62:63]
	s_cbranch_execz .LBB47_2424
; %bb.2415:                             ;   in Loop: Header=BB47_17 Depth=1
	;; [unrolled: 6-line block ×4, first 2 shown]
	flat_load_dwordx2 v[0:1], v[0:1]
	s_waitcnt vmcnt(0) lgkmcnt(0)
	v_cvt_f32_f64_e32 v55, v[0:1]
                                        ; implicit-def: $vgpr0_vgpr1
.LBB47_2418:                            ;   in Loop: Header=BB47_17 Depth=1
	s_andn2_saveexec_b64 s[60:61], s[60:61]
	s_cbranch_execz .LBB47_2420
; %bb.2419:                             ;   in Loop: Header=BB47_17 Depth=1
	flat_load_dword v55, v[0:1]
.LBB47_2420:                            ;   in Loop: Header=BB47_17 Depth=1
	s_or_b64 exec, exec, s[60:61]
                                        ; implicit-def: $vgpr0_vgpr1
.LBB47_2421:                            ;   in Loop: Header=BB47_17 Depth=1
	s_andn2_saveexec_b64 s[60:61], s[68:69]
	s_cbranch_execz .LBB47_2423
; %bb.2422:                             ;   in Loop: Header=BB47_17 Depth=1
	flat_load_dword v0, v[0:1]
	s_waitcnt vmcnt(0) lgkmcnt(0)
	v_cvt_f32_f16_e32 v55, v0
.LBB47_2423:                            ;   in Loop: Header=BB47_17 Depth=1
	s_or_b64 exec, exec, s[60:61]
                                        ; implicit-def: $vgpr0_vgpr1
.LBB47_2424:                            ;   in Loop: Header=BB47_17 Depth=1
	s_andn2_saveexec_b64 s[66:67], s[66:67]
	s_cbranch_execz .LBB47_2434
; %bb.2425:                             ;   in Loop: Header=BB47_17 Depth=1
	v_cmp_gt_i16_sdwa s[60:61], v8, v48 src0_sel:BYTE_0 src1_sel:DWORD
                                        ; implicit-def: $vgpr55
	s_and_saveexec_b64 s[62:63], s[60:61]
	s_xor_b64 s[68:69], exec, s[62:63]
	s_cbranch_execz .LBB47_2431
; %bb.2426:                             ;   in Loop: Header=BB47_17 Depth=1
	v_cmp_gt_i16_sdwa s[60:61], v8, v49 src0_sel:BYTE_0 src1_sel:DWORD
                                        ; implicit-def: $vgpr55
	s_and_saveexec_b64 s[62:63], s[60:61]
	s_xor_b64 s[60:61], exec, s[62:63]
	s_cbranch_execz .LBB47_2428
; %bb.2427:                             ;   in Loop: Header=BB47_17 Depth=1
	flat_load_dwordx2 v[0:1], v[0:1]
	s_waitcnt vmcnt(0) lgkmcnt(0)
	v_cvt_f32_f64_e32 v55, v[0:1]
                                        ; implicit-def: $vgpr0_vgpr1
.LBB47_2428:                            ;   in Loop: Header=BB47_17 Depth=1
	s_andn2_saveexec_b64 s[60:61], s[60:61]
	s_cbranch_execz .LBB47_2430
; %bb.2429:                             ;   in Loop: Header=BB47_17 Depth=1
	s_waitcnt vmcnt(0) lgkmcnt(0)
	flat_load_dword v55, v[0:1]
.LBB47_2430:                            ;   in Loop: Header=BB47_17 Depth=1
	s_or_b64 exec, exec, s[60:61]
                                        ; implicit-def: $vgpr0_vgpr1
.LBB47_2431:                            ;   in Loop: Header=BB47_17 Depth=1
	s_andn2_saveexec_b64 s[60:61], s[68:69]
	s_cbranch_execz .LBB47_2433
; %bb.2432:                             ;   in Loop: Header=BB47_17 Depth=1
	flat_load_ushort v0, v[0:1]
	s_waitcnt vmcnt(0) lgkmcnt(0)
	v_cvt_f32_f16_e32 v55, v0
.LBB47_2433:                            ;   in Loop: Header=BB47_17 Depth=1
	s_or_b64 exec, exec, s[60:61]
.LBB47_2434:                            ;   in Loop: Header=BB47_17 Depth=1
	s_or_b64 exec, exec, s[66:67]
                                        ; implicit-def: $vgpr0_vgpr1
.LBB47_2435:                            ;   in Loop: Header=BB47_17 Depth=1
	s_andn2_saveexec_b64 s[88:89], s[88:89]
	s_cbranch_execz .LBB47_2453
; %bb.2436:                             ;   in Loop: Header=BB47_17 Depth=1
	v_cmp_gt_i16_sdwa s[60:61], v8, v50 src0_sel:BYTE_0 src1_sel:DWORD
                                        ; implicit-def: $vgpr55
	s_and_saveexec_b64 s[62:63], s[60:61]
	s_xor_b64 s[90:91], exec, s[62:63]
	s_cbranch_execz .LBB47_2446
; %bb.2437:                             ;   in Loop: Header=BB47_17 Depth=1
	v_cmp_gt_i16_sdwa s[60:61], v8, v51 src0_sel:BYTE_0 src1_sel:DWORD
                                        ; implicit-def: $vgpr55
	s_and_saveexec_b64 s[62:63], s[60:61]
	s_xor_b64 s[66:67], exec, s[62:63]
	s_cbranch_execz .LBB47_2443
; %bb.2438:                             ;   in Loop: Header=BB47_17 Depth=1
	v_cmp_gt_i16_sdwa s[60:61], v8, v52 src0_sel:BYTE_0 src1_sel:DWORD
                                        ; implicit-def: $vgpr55
	s_and_saveexec_b64 s[62:63], s[60:61]
	s_xor_b64 s[68:69], exec, s[62:63]
	s_cbranch_execz .LBB47_2440
; %bb.2439:                             ;   in Loop: Header=BB47_17 Depth=1
	flat_load_dwordx2 v[0:1], v[0:1]
	s_waitcnt vmcnt(0) lgkmcnt(0)
	v_xor_b32_e32 v64, v0, v1
	v_ffbh_i32_e32 v55, v1
	v_ashrrev_i32_e32 v64, 31, v64
	v_add_u32_e32 v55, -1, v55
	v_add_u32_e32 v64, 32, v64
	v_min_u32_e32 v55, v55, v64
	s_waitcnt vmcnt(0) expcnt(0) lgkmcnt(0)
	v_swap_b32 v2, v55
	v_lshlrev_b64 v[0:1], v2, v[0:1]
	v_swap_b32 v55, v2
	v_min_u32_e32 v0, 1, v0
	v_or_b32_e32 v0, v1, v0
	v_cvt_f32_i32_e32 v0, v0
	v_sub_u32_e32 v1, 32, v55
	v_ldexp_f32 v55, v0, v1
                                        ; implicit-def: $vgpr0_vgpr1
.LBB47_2440:                            ;   in Loop: Header=BB47_17 Depth=1
	s_andn2_saveexec_b64 s[60:61], s[68:69]
	s_cbranch_execz .LBB47_2442
; %bb.2441:                             ;   in Loop: Header=BB47_17 Depth=1
	flat_load_dword v0, v[0:1]
	s_waitcnt vmcnt(0) lgkmcnt(0)
	v_cvt_f32_i32_e32 v55, v0
.LBB47_2442:                            ;   in Loop: Header=BB47_17 Depth=1
	s_or_b64 exec, exec, s[60:61]
                                        ; implicit-def: $vgpr0_vgpr1
.LBB47_2443:                            ;   in Loop: Header=BB47_17 Depth=1
	s_andn2_saveexec_b64 s[60:61], s[66:67]
	s_cbranch_execz .LBB47_2445
; %bb.2444:                             ;   in Loop: Header=BB47_17 Depth=1
	flat_load_sshort v0, v[0:1]
	s_waitcnt vmcnt(0) lgkmcnt(0)
	v_cvt_f32_i32_e32 v55, v0
.LBB47_2445:                            ;   in Loop: Header=BB47_17 Depth=1
	s_or_b64 exec, exec, s[60:61]
                                        ; implicit-def: $vgpr0_vgpr1
.LBB47_2446:                            ;   in Loop: Header=BB47_17 Depth=1
	s_andn2_saveexec_b64 s[66:67], s[90:91]
	s_cbranch_execz .LBB47_2452
; %bb.2447:                             ;   in Loop: Header=BB47_17 Depth=1
	v_cmp_gt_i16_sdwa s[60:61], v8, v14 src0_sel:BYTE_0 src1_sel:DWORD
                                        ; implicit-def: $vgpr55
	s_and_saveexec_b64 s[62:63], s[60:61]
	s_xor_b64 s[60:61], exec, s[62:63]
	s_cbranch_execz .LBB47_2449
; %bb.2448:                             ;   in Loop: Header=BB47_17 Depth=1
	flat_load_sbyte v0, v[0:1]
	s_waitcnt vmcnt(0) lgkmcnt(0)
	v_cvt_f32_i32_e32 v55, v0
                                        ; implicit-def: $vgpr0_vgpr1
.LBB47_2449:                            ;   in Loop: Header=BB47_17 Depth=1
	s_andn2_saveexec_b64 s[60:61], s[60:61]
	s_cbranch_execz .LBB47_2451
; %bb.2450:                             ;   in Loop: Header=BB47_17 Depth=1
	flat_load_ubyte v0, v[0:1]
	s_waitcnt vmcnt(0) lgkmcnt(0)
	v_cvt_f32_ubyte0_e32 v55, v0
.LBB47_2451:                            ;   in Loop: Header=BB47_17 Depth=1
	s_or_b64 exec, exec, s[60:61]
.LBB47_2452:                            ;   in Loop: Header=BB47_17 Depth=1
	s_or_b64 exec, exec, s[66:67]
.LBB47_2453:                            ;   in Loop: Header=BB47_17 Depth=1
	s_or_b64 exec, exec, s[88:89]
	s_andn2_b64 s[84:85], s[84:85], exec
	s_andn2_b64 vcc, vcc, exec
	s_or_b64 s[86:87], s[86:87], exec
	s_or_b64 exec, exec, s[82:83]
	s_mov_b64 s[66:67], 0
	s_and_saveexec_b64 s[68:69], s[86:87]
	s_cbranch_execnz .LBB47_2330
	s_branch .LBB47_2331
.LBB47_2454:                            ;   in Loop: Header=BB47_17 Depth=1
	v_cmp_gt_i16_sdwa vcc, v7, v17 src0_sel:BYTE_0 src1_sel:DWORD
	s_mov_b64 s[88:89], 0
                                        ; implicit-def: $sgpr90_sgpr91
                                        ; implicit-def: $sgpr80_sgpr81
                                        ; implicit-def: $vgpr64
	s_and_saveexec_b64 s[60:61], vcc
	s_xor_b64 s[78:79], exec, s[60:61]
	s_cbranch_execz .LBB47_2486
; %bb.2455:                             ;   in Loop: Header=BB47_17 Depth=1
	v_cmp_gt_i16_sdwa vcc, v7, v18 src0_sel:BYTE_0 src1_sel:DWORD
                                        ; implicit-def: $sgpr90_sgpr91
                                        ; implicit-def: $sgpr72_sgpr73
                                        ; implicit-def: $vgpr64
	s_and_saveexec_b64 s[60:61], vcc
	s_xor_b64 s[80:81], exec, s[60:61]
	s_cbranch_execz .LBB47_2471
; %bb.2456:                             ;   in Loop: Header=BB47_17 Depth=1
	v_cmp_gt_i16_sdwa s[60:61], v7, v19 src0_sel:BYTE_0 src1_sel:DWORD
	s_mov_b64 s[74:75], 0
                                        ; implicit-def: $vcc
                                        ; implicit-def: $sgpr90_sgpr91
                                        ; implicit-def: $vgpr64
	s_and_saveexec_b64 s[62:63], s[60:61]
	s_xor_b64 s[72:73], exec, s[62:63]
	s_cbranch_execz .LBB47_2466
; %bb.2457:                             ;   in Loop: Header=BB47_17 Depth=1
	v_cmp_gt_i16_sdwa vcc, v7, v20 src0_sel:BYTE_0 src1_sel:DWORD
                                        ; implicit-def: $sgpr74_sgpr75
                                        ; implicit-def: $sgpr92_sgpr93
                                        ; implicit-def: $vgpr64
	s_and_saveexec_b64 s[60:61], vcc
	s_xor_b64 vcc, exec, s[60:61]
	s_cbranch_execz .LBB47_2461
; %bb.2458:                             ;   in Loop: Header=BB47_17 Depth=1
	v_cmp_eq_u16_sdwa s[62:63], v7, v21 src0_sel:BYTE_0 src1_sel:DWORD
	s_mov_b64 s[74:75], 0
	s_mov_b64 s[66:67], 0
                                        ; implicit-def: $vgpr64
	s_and_saveexec_b64 s[60:61], s[62:63]
	s_cbranch_execz .LBB47_2460
; %bb.2459:                             ;   in Loop: Header=BB47_17 Depth=1
	flat_load_dword v0, v[0:1]
	s_mov_b64 s[66:67], exec
	s_waitcnt vmcnt(0) lgkmcnt(0)
	v_lshlrev_b32_e32 v64, 16, v0
.LBB47_2460:                            ;   in Loop: Header=BB47_17 Depth=1
	s_or_b64 exec, exec, s[60:61]
	s_mov_b64 s[92:93], -1
	s_and_b64 s[88:89], s[66:67], exec
                                        ; implicit-def: $vgpr0_vgpr1
.LBB47_2461:                            ;   in Loop: Header=BB47_17 Depth=1
	s_andn2_saveexec_b64 s[66:67], vcc
	s_cbranch_execz .LBB47_2465
; %bb.2462:                             ;   in Loop: Header=BB47_17 Depth=1
	v_cmp_eq_u16_sdwa s[60:61], v7, v22 src0_sel:BYTE_0 src1_sel:DWORD
	s_mov_b64 vcc, s[88:89]
                                        ; implicit-def: $vgpr64
	s_and_saveexec_b64 s[68:69], s[60:61]
	s_cbranch_execz .LBB47_2464
; %bb.2463:                             ;   in Loop: Header=BB47_17 Depth=1
	flat_load_ubyte v0, v[0:1]
	s_movk_i32 vcc_lo, 0xff
	s_waitcnt vmcnt(0) lgkmcnt(0)
	v_lshlrev_b32_e32 v1, 23, v0
	v_cmp_ne_u32_e32 vcc, vcc_lo, v0
	v_cndmask_b32_e32 v1, v23, v1, vcc
	v_cmp_ne_u32_e32 vcc, 0, v0
	v_cndmask_b32_e32 v64, v24, v1, vcc
	s_or_b64 vcc, s[88:89], exec
.LBB47_2464:                            ;   in Loop: Header=BB47_17 Depth=1
	s_or_b64 exec, exec, s[68:69]
	s_andn2_b64 s[60:61], s[88:89], exec
	s_and_b64 vcc, vcc, exec
	s_andn2_b64 s[74:75], s[74:75], exec
	s_or_b64 s[92:93], s[92:93], exec
	s_or_b64 s[88:89], s[60:61], vcc
.LBB47_2465:                            ;   in Loop: Header=BB47_17 Depth=1
	s_or_b64 exec, exec, s[66:67]
	s_and_b64 s[90:91], s[74:75], exec
	s_and_b64 vcc, s[92:93], exec
	s_and_b64 s[74:75], s[88:89], exec
                                        ; implicit-def: $vgpr0_vgpr1
.LBB47_2466:                            ;   in Loop: Header=BB47_17 Depth=1
	s_andn2_saveexec_b64 s[66:67], s[72:73]
	s_cbranch_execz .LBB47_2470
; %bb.2467:                             ;   in Loop: Header=BB47_17 Depth=1
	v_cmp_eq_u16_sdwa s[60:61], v7, v25 src0_sel:BYTE_0 src1_sel:DWORD
	s_mov_b64 s[70:71], s[74:75]
                                        ; implicit-def: $vgpr64
	s_and_saveexec_b64 s[68:69], s[60:61]
	s_cbranch_execz .LBB47_2469
; %bb.2468:                             ;   in Loop: Header=BB47_17 Depth=1
	flat_load_dwordx2 v[0:1], v[0:1]
	s_or_b64 s[70:71], s[74:75], exec
	s_waitcnt vmcnt(0) lgkmcnt(0)
	v_ffbh_u32_e32 v54, v1
	v_min_u32_e32 v54, 32, v54
	v_lshlrev_b64 v[0:1], v54, v[0:1]
	v_min_u32_e32 v0, 1, v0
	v_or_b32_e32 v0, v1, v0
	v_cvt_f32_u32_e32 v0, v0
	v_sub_u32_e32 v1, 32, v54
	v_ldexp_f32 v64, v0, v1
.LBB47_2469:                            ;   in Loop: Header=BB47_17 Depth=1
	s_or_b64 exec, exec, s[68:69]
	s_andn2_b64 s[60:61], s[74:75], exec
	s_and_b64 s[62:63], s[70:71], exec
	s_andn2_b64 s[90:91], s[90:91], exec
	s_or_b64 vcc, vcc, exec
	s_or_b64 s[74:75], s[60:61], s[62:63]
.LBB47_2470:                            ;   in Loop: Header=BB47_17 Depth=1
	s_or_b64 exec, exec, s[66:67]
	s_and_b64 s[72:73], s[90:91], exec
	s_and_b64 s[90:91], vcc, exec
	s_and_b64 s[88:89], s[74:75], exec
                                        ; implicit-def: $vgpr0_vgpr1
.LBB47_2471:                            ;   in Loop: Header=BB47_17 Depth=1
	s_andn2_saveexec_b64 s[80:81], s[80:81]
	s_cbranch_execz .LBB47_2485
; %bb.2472:                             ;   in Loop: Header=BB47_17 Depth=1
	v_cmp_gt_i16_sdwa vcc, v7, v26 src0_sel:BYTE_0 src1_sel:DWORD
                                        ; implicit-def: $vgpr64
	s_and_saveexec_b64 s[60:61], vcc
	s_xor_b64 vcc, exec, s[60:61]
	s_cbranch_execz .LBB47_2478
; %bb.2473:                             ;   in Loop: Header=BB47_17 Depth=1
	v_cmp_gt_i16_sdwa s[60:61], v7, v27 src0_sel:BYTE_0 src1_sel:DWORD
                                        ; implicit-def: $vgpr64
	s_and_saveexec_b64 s[62:63], s[60:61]
	s_xor_b64 s[60:61], exec, s[62:63]
	s_cbranch_execz .LBB47_2475
; %bb.2474:                             ;   in Loop: Header=BB47_17 Depth=1
	flat_load_dword v0, v[0:1]
	s_waitcnt vmcnt(0) lgkmcnt(0)
	v_cvt_f32_u32_e32 v64, v0
                                        ; implicit-def: $vgpr0_vgpr1
.LBB47_2475:                            ;   in Loop: Header=BB47_17 Depth=1
	s_andn2_saveexec_b64 s[60:61], s[60:61]
	s_cbranch_execz .LBB47_2477
; %bb.2476:                             ;   in Loop: Header=BB47_17 Depth=1
	flat_load_ushort v0, v[0:1]
	s_waitcnt vmcnt(0) lgkmcnt(0)
	v_cvt_f32_u32_e32 v64, v0
.LBB47_2477:                            ;   in Loop: Header=BB47_17 Depth=1
	s_or_b64 exec, exec, s[60:61]
                                        ; implicit-def: $vgpr0_vgpr1
.LBB47_2478:                            ;   in Loop: Header=BB47_17 Depth=1
	s_andn2_saveexec_b64 s[74:75], vcc
	s_cbranch_execz .LBB47_2484
; %bb.2479:                             ;   in Loop: Header=BB47_17 Depth=1
	flat_load_ubyte v0, v[0:1]
	s_movk_i32 vcc_lo, 0x7f
	s_mov_b64 s[66:67], 0
                                        ; implicit-def: $sgpr70
	s_waitcnt vmcnt(0) lgkmcnt(0)
	v_cmp_lt_i16_e32 vcc, vcc_lo, v0
	s_and_saveexec_b64 s[60:61], vcc
	s_xor_b64 s[68:69], exec, s[60:61]
	s_cbranch_execnz .LBB47_3358
; %bb.2480:                             ;   in Loop: Header=BB47_17 Depth=1
	s_or_saveexec_b64 s[68:69], s[68:69]
	v_mov_b32_e32 v64, s70
	s_xor_b64 exec, exec, s[68:69]
	s_cbranch_execnz .LBB47_3361
.LBB47_2481:                            ;   in Loop: Header=BB47_17 Depth=1
	s_or_b64 exec, exec, s[68:69]
	s_and_saveexec_b64 s[68:69], s[66:67]
	s_cbranch_execz .LBB47_2483
.LBB47_2482:                            ;   in Loop: Header=BB47_17 Depth=1
	v_lshlrev_b32_e32 v1, 24, v0
	v_and_b32_e32 v0, 0xffff, v0
	v_and_b32_e32 v54, 7, v0
	v_ffbh_u32_e32 v65, v54
	v_min_u32_e32 v65, 32, v65
	v_subrev_u32_e32 v66, 28, v65
	v_bfe_u32 v64, v0, 3, 4
	v_lshlrev_b32_e32 v0, v66, v0
	v_sub_u32_e32 v65, 29, v65
	v_and_b32_e32 v0, 7, v0
	v_cmp_eq_u32_e32 vcc, 0, v64
	v_cndmask_b32_e32 v64, v64, v65, vcc
	v_cndmask_b32_e32 v0, v54, v0, vcc
	v_lshlrev_b32_e32 v0, 20, v0
	v_and_b32_e32 v1, 0x80000000, v1
	v_lshl_add_u32 v54, v64, 23, v28
	v_or3_b32 v64, v1, v54, v0
.LBB47_2483:                            ;   in Loop: Header=BB47_17 Depth=1
	s_or_b64 exec, exec, s[68:69]
.LBB47_2484:                            ;   in Loop: Header=BB47_17 Depth=1
	s_or_b64 exec, exec, s[74:75]
	s_andn2_b64 s[72:73], s[72:73], exec
	s_andn2_b64 s[90:91], s[90:91], exec
	s_or_b64 s[88:89], s[88:89], exec
.LBB47_2485:                            ;   in Loop: Header=BB47_17 Depth=1
	s_or_b64 exec, exec, s[80:81]
	s_and_b64 s[80:81], s[72:73], exec
	s_and_b64 s[90:91], s[90:91], exec
	;; [unrolled: 1-line block ×3, first 2 shown]
                                        ; implicit-def: $vgpr0_vgpr1
.LBB47_2486:                            ;   in Loop: Header=BB47_17 Depth=1
	s_andn2_saveexec_b64 s[78:79], s[78:79]
	s_cbranch_execz .LBB47_2512
; %bb.2487:                             ;   in Loop: Header=BB47_17 Depth=1
	v_cmp_gt_i16_sdwa vcc, v7, v29 src0_sel:BYTE_0 src1_sel:DWORD
	s_mov_b64 s[92:93], s[88:89]
                                        ; implicit-def: $vgpr64
	s_and_saveexec_b64 s[60:61], vcc
	s_xor_b64 s[72:73], exec, s[60:61]
	s_cbranch_execz .LBB47_2501
; %bb.2488:                             ;   in Loop: Header=BB47_17 Depth=1
	v_cmp_gt_i16_sdwa vcc, v7, v30 src0_sel:BYTE_0 src1_sel:DWORD
                                        ; implicit-def: $vgpr64
	s_and_saveexec_b64 s[60:61], vcc
	s_xor_b64 s[92:93], exec, s[60:61]
	s_cbranch_execz .LBB47_2498
; %bb.2489:                             ;   in Loop: Header=BB47_17 Depth=1
	v_cmp_gt_i16_sdwa vcc, v7, v31 src0_sel:BYTE_0 src1_sel:DWORD
                                        ; implicit-def: $vgpr64
	s_and_saveexec_b64 s[60:61], vcc
	s_xor_b64 s[74:75], exec, s[60:61]
	s_cbranch_execz .LBB47_2495
; %bb.2490:                             ;   in Loop: Header=BB47_17 Depth=1
	flat_load_ubyte v0, v[0:1]
	s_movk_i32 vcc_lo, 0x7f
	s_mov_b64 s[66:67], 0
                                        ; implicit-def: $sgpr70
	s_waitcnt vmcnt(0) lgkmcnt(0)
	v_cmp_lt_i16_e32 vcc, vcc_lo, v0
	s_and_saveexec_b64 s[60:61], vcc
	s_xor_b64 s[68:69], exec, s[60:61]
	s_cbranch_execnz .LBB47_3474
; %bb.2491:                             ;   in Loop: Header=BB47_17 Depth=1
	s_or_saveexec_b64 s[68:69], s[68:69]
	v_mov_b32_e32 v64, s70
	s_xor_b64 exec, exec, s[68:69]
	s_cbranch_execnz .LBB47_3477
.LBB47_2492:                            ;   in Loop: Header=BB47_17 Depth=1
	s_or_b64 exec, exec, s[68:69]
	s_and_saveexec_b64 s[68:69], s[66:67]
	s_cbranch_execz .LBB47_2494
.LBB47_2493:                            ;   in Loop: Header=BB47_17 Depth=1
	v_lshlrev_b32_e32 v1, 24, v0
	v_and_b32_e32 v0, 0xffff, v0
	v_and_b32_e32 v54, 3, v0
	v_ffbh_u32_e32 v65, v54
	v_min_u32_e32 v65, 32, v65
	v_subrev_u32_e32 v66, 29, v65
	v_bfe_u32 v64, v0, 2, 5
	v_lshlrev_b32_e32 v0, v66, v0
	v_sub_u32_e32 v65, 30, v65
	v_and_b32_e32 v0, 3, v0
	v_cmp_eq_u32_e32 vcc, 0, v64
	v_cndmask_b32_e32 v64, v64, v65, vcc
	v_cndmask_b32_e32 v0, v54, v0, vcc
	v_lshlrev_b32_e32 v0, 21, v0
	v_and_b32_e32 v1, 0x80000000, v1
	v_lshl_add_u32 v54, v64, 23, v32
	v_or3_b32 v64, v1, v54, v0
.LBB47_2494:                            ;   in Loop: Header=BB47_17 Depth=1
	s_or_b64 exec, exec, s[68:69]
                                        ; implicit-def: $vgpr0_vgpr1
.LBB47_2495:                            ;   in Loop: Header=BB47_17 Depth=1
	s_andn2_saveexec_b64 s[66:67], s[74:75]
	s_cbranch_execz .LBB47_2497
; %bb.2496:                             ;   in Loop: Header=BB47_17 Depth=1
	flat_load_ubyte v0, v[0:1]
	s_mov_b32 vcc_lo, 0x7f800000
	s_waitcnt vmcnt(0) lgkmcnt(0)
	v_lshlrev_b32_e32 v0, 24, v0
	v_and_b32_e32 v1, 0x7f000000, v0
	v_ffbh_u32_e32 v54, v1
	v_min_u32_e32 v54, 32, v54
	v_sub_u32_e64 v54, v54, 4 clamp
	v_lshlrev_b32_e32 v65, v54, v1
	v_lshlrev_b32_e32 v54, 23, v54
	v_lshrrev_b32_e32 v65, 4, v65
	v_add_u32_e32 v64, 0x1000000, v1
	v_sub_u32_e32 v54, v65, v54
	v_ashrrev_i32_e32 v64, 8, v64
	v_add_u32_e32 v54, 0x3c000000, v54
	v_and_or_b32 v54, v64, vcc_lo, v54
	v_cmp_ne_u32_e32 vcc, 0, v1
	v_cndmask_b32_e32 v1, 0, v54, vcc
	s_brev_b32 vcc_lo, 1
	v_and_or_b32 v64, v0, vcc_lo, v1
.LBB47_2497:                            ;   in Loop: Header=BB47_17 Depth=1
	s_or_b64 exec, exec, s[66:67]
                                        ; implicit-def: $vgpr0_vgpr1
.LBB47_2498:                            ;   in Loop: Header=BB47_17 Depth=1
	s_andn2_saveexec_b64 s[66:67], s[92:93]
	s_cbranch_execz .LBB47_2500
; %bb.2499:                             ;   in Loop: Header=BB47_17 Depth=1
	flat_load_ubyte v0, v[0:1]
	s_movk_i32 vcc_lo, 0x7f00
	s_waitcnt vmcnt(0) lgkmcnt(0)
	v_lshlrev_b16_e32 v1, 8, v0
	v_lshlrev_b32_e32 v0, 25, v0
	v_lshrrev_b32_e32 v54, 4, v0
	v_and_or_b32 v64, v1, vcc_lo, 0.5
	v_or_b32_e32 v54, 0x70000000, v54
	s_brev_b32 vcc_lo, 16
	v_add_f32_e32 v64, -0.5, v64
	v_mul_f32_e32 v54, 0x7800000, v54
	v_cmp_gt_u32_e32 vcc, vcc_lo, v0
	v_cndmask_b32_e32 v0, v54, v64, vcc
	v_bfe_i32 v1, v1, 0, 16
	s_brev_b32 vcc_lo, 1
	v_and_or_b32 v64, v1, vcc_lo, v0
.LBB47_2500:                            ;   in Loop: Header=BB47_17 Depth=1
	s_or_b64 exec, exec, s[66:67]
	s_or_b64 s[92:93], s[88:89], exec
                                        ; implicit-def: $vgpr0_vgpr1
.LBB47_2501:                            ;   in Loop: Header=BB47_17 Depth=1
	s_or_saveexec_b64 s[72:73], s[72:73]
                                        ; implicit-def: $vcc
                                        ; implicit-def: $sgpr68_sgpr69
	s_xor_b64 exec, exec, s[72:73]
	s_cbranch_execz .LBB47_2511
; %bb.2502:                             ;   in Loop: Header=BB47_17 Depth=1
	v_cmp_gt_i16_sdwa vcc, v7, v33 src0_sel:BYTE_0 src1_sel:DWORD
	s_mov_b64 s[66:67], s[92:93]
                                        ; implicit-def: $sgpr68_sgpr69
                                        ; implicit-def: $sgpr74_sgpr75
                                        ; implicit-def: $vgpr64
	s_and_saveexec_b64 s[60:61], vcc
	s_xor_b64 vcc, exec, s[60:61]
	s_cbranch_execz .LBB47_2506
; %bb.2503:                             ;   in Loop: Header=BB47_17 Depth=1
	v_cmp_eq_u16_sdwa s[62:63], v7, v34 src0_sel:BYTE_0 src1_sel:DWORD
	s_mov_b64 s[66:67], s[92:93]
                                        ; implicit-def: $vgpr64
	s_and_saveexec_b64 s[60:61], s[62:63]
	s_cbranch_execz .LBB47_2505
; %bb.2504:                             ;   in Loop: Header=BB47_17 Depth=1
	flat_load_ushort v0, v[0:1]
	s_or_b64 s[66:67], s[92:93], exec
	s_waitcnt vmcnt(0) lgkmcnt(0)
	v_lshlrev_b32_e32 v64, 16, v0
.LBB47_2505:                            ;   in Loop: Header=BB47_17 Depth=1
	s_or_b64 exec, exec, s[60:61]
	s_andn2_b64 s[60:61], s[92:93], exec
	s_and_b64 s[62:63], s[66:67], exec
	s_mov_b64 s[74:75], -1
	s_mov_b64 s[68:69], 0
	s_or_b64 s[66:67], s[60:61], s[62:63]
                                        ; implicit-def: $vgpr0_vgpr1
.LBB47_2506:                            ;   in Loop: Header=BB47_17 Depth=1
	s_andn2_saveexec_b64 s[70:71], vcc
	s_cbranch_execz .LBB47_2510
; %bb.2507:                             ;   in Loop: Header=BB47_17 Depth=1
	v_cmp_eq_u16_sdwa s[62:63], v7, v35 src0_sel:BYTE_0 src1_sel:DWORD
	s_mov_b64 vcc, s[66:67]
                                        ; implicit-def: $vgpr64
	s_and_saveexec_b64 s[60:61], s[62:63]
	s_cbranch_execz .LBB47_2509
; %bb.2508:                             ;   in Loop: Header=BB47_17 Depth=1
	flat_load_ubyte v0, v[0:1]
	s_waitcnt vmcnt(0) lgkmcnt(0)
	v_cmp_ne_u16_e32 vcc, 0, v0
	v_cndmask_b32_e64 v64, 0, 1.0, vcc
	s_or_b64 vcc, s[66:67], exec
.LBB47_2509:                            ;   in Loop: Header=BB47_17 Depth=1
	s_or_b64 exec, exec, s[60:61]
	s_andn2_b64 s[60:61], s[66:67], exec
	s_and_b64 vcc, vcc, exec
	s_andn2_b64 s[68:69], s[68:69], exec
	s_or_b64 s[74:75], s[74:75], exec
	s_or_b64 s[66:67], s[60:61], vcc
.LBB47_2510:                            ;   in Loop: Header=BB47_17 Depth=1
	s_or_b64 exec, exec, s[70:71]
	s_andn2_b64 s[60:61], s[92:93], exec
	s_and_b64 s[62:63], s[66:67], exec
	s_and_b64 s[68:69], s[68:69], exec
	s_and_b64 vcc, s[74:75], exec
	s_or_b64 s[92:93], s[60:61], s[62:63]
.LBB47_2511:                            ;   in Loop: Header=BB47_17 Depth=1
	s_or_b64 exec, exec, s[72:73]
	s_andn2_b64 s[60:61], s[80:81], exec
	s_and_b64 s[62:63], s[68:69], exec
	s_or_b64 s[80:81], s[60:61], s[62:63]
	s_andn2_b64 s[60:61], s[90:91], exec
	s_and_b64 vcc, vcc, exec
	s_or_b64 s[90:91], s[60:61], vcc
	s_andn2_b64 vcc, s[88:89], exec
	s_and_b64 s[60:61], s[92:93], exec
	s_or_b64 s[88:89], vcc, s[60:61]
.LBB47_2512:                            ;   in Loop: Header=BB47_17 Depth=1
	s_or_b64 exec, exec, s[78:79]
	s_and_b64 s[80:81], s[80:81], exec
	s_and_b64 s[78:79], s[90:91], exec
	s_and_b64 vcc, s[88:89], exec
                                        ; implicit-def: $vgpr0_vgpr1
	s_andn2_saveexec_b64 s[86:87], s[86:87]
	s_cbranch_execz .LBB47_2337
.LBB47_2513:                            ;   in Loop: Header=BB47_17 Depth=1
	v_cmp_gt_i16_sdwa s[60:61], v7, v36 src0_sel:BYTE_0 src1_sel:DWORD
                                        ; implicit-def: $vgpr64
	s_and_saveexec_b64 s[62:63], s[60:61]
	s_xor_b64 s[72:73], exec, s[62:63]
	s_cbranch_execz .LBB47_2535
; %bb.2514:                             ;   in Loop: Header=BB47_17 Depth=1
	v_cmp_gt_i16_sdwa s[60:61], v7, v37 src0_sel:BYTE_0 src1_sel:DWORD
                                        ; implicit-def: $vgpr64
	s_and_saveexec_b64 s[62:63], s[60:61]
	s_xor_b64 s[66:67], exec, s[62:63]
	s_cbranch_execz .LBB47_2524
; %bb.2515:                             ;   in Loop: Header=BB47_17 Depth=1
	;; [unrolled: 6-line block ×4, first 2 shown]
	flat_load_dwordx2 v[0:1], v[0:1]
	s_waitcnt vmcnt(0) lgkmcnt(0)
	v_cvt_f32_f64_e32 v64, v[0:1]
                                        ; implicit-def: $vgpr0_vgpr1
.LBB47_2518:                            ;   in Loop: Header=BB47_17 Depth=1
	s_andn2_saveexec_b64 s[60:61], s[60:61]
	s_cbranch_execz .LBB47_2520
; %bb.2519:                             ;   in Loop: Header=BB47_17 Depth=1
	flat_load_dword v64, v[0:1]
.LBB47_2520:                            ;   in Loop: Header=BB47_17 Depth=1
	s_or_b64 exec, exec, s[60:61]
                                        ; implicit-def: $vgpr0_vgpr1
.LBB47_2521:                            ;   in Loop: Header=BB47_17 Depth=1
	s_andn2_saveexec_b64 s[60:61], s[68:69]
	s_cbranch_execz .LBB47_2523
; %bb.2522:                             ;   in Loop: Header=BB47_17 Depth=1
	flat_load_dword v0, v[0:1]
	s_waitcnt vmcnt(0) lgkmcnt(0)
	v_cvt_f32_f16_e32 v64, v0
.LBB47_2523:                            ;   in Loop: Header=BB47_17 Depth=1
	s_or_b64 exec, exec, s[60:61]
                                        ; implicit-def: $vgpr0_vgpr1
.LBB47_2524:                            ;   in Loop: Header=BB47_17 Depth=1
	s_andn2_saveexec_b64 s[66:67], s[66:67]
	s_cbranch_execz .LBB47_2534
; %bb.2525:                             ;   in Loop: Header=BB47_17 Depth=1
	v_cmp_gt_i16_sdwa s[60:61], v7, v48 src0_sel:BYTE_0 src1_sel:DWORD
                                        ; implicit-def: $vgpr64
	s_and_saveexec_b64 s[62:63], s[60:61]
	s_xor_b64 s[68:69], exec, s[62:63]
	s_cbranch_execz .LBB47_2531
; %bb.2526:                             ;   in Loop: Header=BB47_17 Depth=1
	v_cmp_gt_i16_sdwa s[60:61], v7, v49 src0_sel:BYTE_0 src1_sel:DWORD
                                        ; implicit-def: $vgpr64
	s_and_saveexec_b64 s[62:63], s[60:61]
	s_xor_b64 s[60:61], exec, s[62:63]
	s_cbranch_execz .LBB47_2528
; %bb.2527:                             ;   in Loop: Header=BB47_17 Depth=1
	flat_load_dwordx2 v[0:1], v[0:1]
	s_waitcnt vmcnt(0) lgkmcnt(0)
	v_cvt_f32_f64_e32 v64, v[0:1]
                                        ; implicit-def: $vgpr0_vgpr1
.LBB47_2528:                            ;   in Loop: Header=BB47_17 Depth=1
	s_andn2_saveexec_b64 s[60:61], s[60:61]
	s_cbranch_execz .LBB47_2530
; %bb.2529:                             ;   in Loop: Header=BB47_17 Depth=1
	s_waitcnt vmcnt(0) lgkmcnt(0)
	flat_load_dword v64, v[0:1]
.LBB47_2530:                            ;   in Loop: Header=BB47_17 Depth=1
	s_or_b64 exec, exec, s[60:61]
                                        ; implicit-def: $vgpr0_vgpr1
.LBB47_2531:                            ;   in Loop: Header=BB47_17 Depth=1
	s_andn2_saveexec_b64 s[60:61], s[68:69]
	s_cbranch_execz .LBB47_2533
; %bb.2532:                             ;   in Loop: Header=BB47_17 Depth=1
	flat_load_ushort v0, v[0:1]
	s_waitcnt vmcnt(0) lgkmcnt(0)
	v_cvt_f32_f16_e32 v64, v0
.LBB47_2533:                            ;   in Loop: Header=BB47_17 Depth=1
	s_or_b64 exec, exec, s[60:61]
.LBB47_2534:                            ;   in Loop: Header=BB47_17 Depth=1
	s_or_b64 exec, exec, s[66:67]
                                        ; implicit-def: $vgpr0_vgpr1
.LBB47_2535:                            ;   in Loop: Header=BB47_17 Depth=1
	s_andn2_saveexec_b64 s[72:73], s[72:73]
	s_cbranch_execz .LBB47_2553
; %bb.2536:                             ;   in Loop: Header=BB47_17 Depth=1
	v_cmp_gt_i16_sdwa s[60:61], v7, v50 src0_sel:BYTE_0 src1_sel:DWORD
                                        ; implicit-def: $vgpr64
	s_and_saveexec_b64 s[62:63], s[60:61]
	s_xor_b64 s[74:75], exec, s[62:63]
	s_cbranch_execz .LBB47_2546
; %bb.2537:                             ;   in Loop: Header=BB47_17 Depth=1
	v_cmp_gt_i16_sdwa s[60:61], v7, v51 src0_sel:BYTE_0 src1_sel:DWORD
                                        ; implicit-def: $vgpr64
	s_and_saveexec_b64 s[62:63], s[60:61]
	s_xor_b64 s[66:67], exec, s[62:63]
	;; [unrolled: 6-line block ×3, first 2 shown]
	s_cbranch_execz .LBB47_2540
; %bb.2539:                             ;   in Loop: Header=BB47_17 Depth=1
	flat_load_dwordx2 v[0:1], v[0:1]
	s_waitcnt vmcnt(0) lgkmcnt(0)
	v_xor_b32_e32 v64, v0, v1
	v_ffbh_i32_e32 v54, v1
	v_ashrrev_i32_e32 v64, 31, v64
	v_add_u32_e32 v54, -1, v54
	v_add_u32_e32 v64, 32, v64
	v_min_u32_e32 v54, v54, v64
	v_lshlrev_b64 v[0:1], v54, v[0:1]
	v_min_u32_e32 v0, 1, v0
	v_or_b32_e32 v0, v1, v0
	v_cvt_f32_i32_e32 v0, v0
	v_sub_u32_e32 v1, 32, v54
	v_ldexp_f32 v64, v0, v1
                                        ; implicit-def: $vgpr0_vgpr1
.LBB47_2540:                            ;   in Loop: Header=BB47_17 Depth=1
	s_andn2_saveexec_b64 s[60:61], s[68:69]
	s_cbranch_execz .LBB47_2542
; %bb.2541:                             ;   in Loop: Header=BB47_17 Depth=1
	flat_load_dword v0, v[0:1]
	s_waitcnt vmcnt(0) lgkmcnt(0)
	v_cvt_f32_i32_e32 v64, v0
.LBB47_2542:                            ;   in Loop: Header=BB47_17 Depth=1
	s_or_b64 exec, exec, s[60:61]
                                        ; implicit-def: $vgpr0_vgpr1
.LBB47_2543:                            ;   in Loop: Header=BB47_17 Depth=1
	s_andn2_saveexec_b64 s[60:61], s[66:67]
	s_cbranch_execz .LBB47_2545
; %bb.2544:                             ;   in Loop: Header=BB47_17 Depth=1
	flat_load_sshort v0, v[0:1]
	s_waitcnt vmcnt(0) lgkmcnt(0)
	v_cvt_f32_i32_e32 v64, v0
.LBB47_2545:                            ;   in Loop: Header=BB47_17 Depth=1
	s_or_b64 exec, exec, s[60:61]
                                        ; implicit-def: $vgpr0_vgpr1
.LBB47_2546:                            ;   in Loop: Header=BB47_17 Depth=1
	s_andn2_saveexec_b64 s[66:67], s[74:75]
	s_cbranch_execz .LBB47_2552
; %bb.2547:                             ;   in Loop: Header=BB47_17 Depth=1
	v_cmp_gt_i16_sdwa s[60:61], v7, v14 src0_sel:BYTE_0 src1_sel:DWORD
                                        ; implicit-def: $vgpr64
	s_and_saveexec_b64 s[62:63], s[60:61]
	s_xor_b64 s[60:61], exec, s[62:63]
	s_cbranch_execz .LBB47_2549
; %bb.2548:                             ;   in Loop: Header=BB47_17 Depth=1
	flat_load_sbyte v0, v[0:1]
	s_waitcnt vmcnt(0) lgkmcnt(0)
	v_cvt_f32_i32_e32 v64, v0
                                        ; implicit-def: $vgpr0_vgpr1
.LBB47_2549:                            ;   in Loop: Header=BB47_17 Depth=1
	s_andn2_saveexec_b64 s[60:61], s[60:61]
	s_cbranch_execz .LBB47_2551
; %bb.2550:                             ;   in Loop: Header=BB47_17 Depth=1
	flat_load_ubyte v0, v[0:1]
	s_waitcnt vmcnt(0) lgkmcnt(0)
	v_cvt_f32_ubyte0_e32 v64, v0
.LBB47_2551:                            ;   in Loop: Header=BB47_17 Depth=1
	s_or_b64 exec, exec, s[60:61]
.LBB47_2552:                            ;   in Loop: Header=BB47_17 Depth=1
	s_or_b64 exec, exec, s[66:67]
.LBB47_2553:                            ;   in Loop: Header=BB47_17 Depth=1
	s_or_b64 exec, exec, s[72:73]
	s_andn2_b64 s[80:81], s[80:81], exec
	s_andn2_b64 s[78:79], s[78:79], exec
	s_or_b64 vcc, vcc, exec
	s_or_b64 exec, exec, s[86:87]
	s_mov_b64 s[66:67], 0
	s_and_saveexec_b64 s[86:87], vcc
	s_cbranch_execz .LBB47_2559
.LBB47_2554:                            ;   in Loop: Header=BB47_17 Depth=1
	v_mul_lo_u32 v0, v55, v10
	v_readlane_b32 s60, v44, 0
	v_add_co_u32_e32 v0, vcc, v4, v0
	v_add_u32_e32 v54, s60, v15
	v_addc_co_u32_e32 v1, vcc, 0, v5, vcc
	v_cmp_gt_i16_sdwa s[60:61], v8, v16 src0_sel:BYTE_0 src1_sel:DWORD
	s_mov_b64 s[92:93], 0
	s_waitcnt vmcnt(0) lgkmcnt(0)
	buffer_store_dword v64, v54, s[0:3], 0 offen offset:92
                                        ; implicit-def: $vcc
                                        ; implicit-def: $sgpr90_sgpr91
                                        ; implicit-def: $vgpr55
	s_and_saveexec_b64 s[62:63], s[60:61]
	s_xor_b64 s[88:89], exec, s[62:63]
	s_cbranch_execnz .LBB47_2581
; %bb.2555:                             ;   in Loop: Header=BB47_17 Depth=1
	s_andn2_saveexec_b64 s[88:89], s[88:89]
	s_cbranch_execnz .LBB47_2640
.LBB47_2556:                            ;   in Loop: Header=BB47_17 Depth=1
	s_or_b64 exec, exec, s[88:89]
	s_mov_b64 s[66:67], 0
	s_and_saveexec_b64 s[68:69], s[92:93]
	s_cbranch_execz .LBB47_2558
.LBB47_2557:                            ;   in Loop: Header=BB47_17 Depth=1
	s_mov_b64 s[66:67], exec
	v_add_u32_e32 v53, 0x200, v53
	s_andn2_b64 s[90:91], s[90:91], exec
	s_andn2_b64 vcc, vcc, exec
	s_waitcnt vmcnt(0) lgkmcnt(0)
	buffer_store_dword v55, v54, s[0:3], 0 offen offset:88
.LBB47_2558:                            ;   in Loop: Header=BB47_17 Depth=1
	s_or_b64 exec, exec, s[68:69]
	s_andn2_b64 s[60:61], s[80:81], exec
	s_and_b64 s[62:63], s[90:91], exec
	s_or_b64 s[80:81], s[60:61], s[62:63]
	s_andn2_b64 s[60:61], s[78:79], exec
	s_and_b64 vcc, vcc, exec
	s_or_b64 s[78:79], s[60:61], vcc
	s_and_b64 s[66:67], s[66:67], exec
.LBB47_2559:                            ;   in Loop: Header=BB47_17 Depth=1
	s_or_b64 exec, exec, s[86:87]
	s_and_b64 vcc, s[80:81], exec
	v_writelane_b32 v44, vcc_lo, 18
	v_writelane_b32 v44, vcc_hi, 19
	s_and_b64 s[62:63], s[78:79], exec
	s_orn2_b64 s[66:67], s[66:67], exec
.LBB47_2560:                            ;   in Loop: Header=BB47_17 Depth=1
	s_or_b64 exec, exec, s[82:83]
	s_and_saveexec_b64 s[82:83], s[66:67]
	s_cbranch_execz .LBB47_5
; %bb.2561:                             ;   in Loop: Header=BB47_17 Depth=1
	v_writelane_b32 v44, s62, 20
	v_cmp_lt_i32_e32 vcc, v53, v6
	s_mov_b64 s[90:91], -1
	s_mov_b64 s[66:67], -1
	v_writelane_b32 v44, s63, 21
                                        ; implicit-def: $sgpr62_sgpr63
                                        ; implicit-def: $sgpr60_sgpr61
                                        ; kill: killed $sgpr60_sgpr61
	s_and_saveexec_b64 s[88:89], vcc
	s_cbranch_execz .LBB47_2887
; %bb.2562:                             ;   in Loop: Header=BB47_17 Depth=1
	v_readlane_b32 vcc_lo, v44, 1
	s_waitcnt vmcnt(0) lgkmcnt(0)
	v_add_u32_e32 v55, vcc_lo, v53
	v_mul_lo_u32 v0, v55, v9
	v_add_co_u32_e32 v0, vcc, v2, v0
	v_addc_co_u32_e32 v1, vcc, 0, v3, vcc
	v_cmp_gt_i16_sdwa s[60:61], v7, v16 src0_sel:BYTE_0 src1_sel:DWORD
	s_mov_b64 vcc, 0
                                        ; implicit-def: $sgpr84_sgpr85
                                        ; implicit-def: $sgpr86_sgpr87
                                        ; implicit-def: $vgpr64
	s_and_saveexec_b64 s[62:63], s[60:61]
	s_xor_b64 s[92:93], exec, s[62:63]
	s_cbranch_execnz .LBB47_2681
; %bb.2563:                             ;   in Loop: Header=BB47_17 Depth=1
	s_andn2_saveexec_b64 s[78:79], s[92:93]
	s_cbranch_execnz .LBB47_2740
.LBB47_2564:                            ;   in Loop: Header=BB47_17 Depth=1
	s_or_b64 exec, exec, s[78:79]
	s_mov_b64 s[66:67], 0
	s_and_saveexec_b64 s[92:93], vcc
	s_cbranch_execnz .LBB47_2781
	s_branch .LBB47_2886
.LBB47_2565:                            ;   in Loop: Header=BB47_17 Depth=1
	s_movk_i32 vcc_lo, 0x80
	v_cmp_eq_u16_e32 vcc, vcc_lo, v0
	s_mov_b64 s[74:75], -1
                                        ; implicit-def: $sgpr80
	s_and_saveexec_b64 s[78:79], vcc
; %bb.2566:                             ;   in Loop: Header=BB47_17 Depth=1
	s_mov_b32 s80, 0x7f800001
	s_xor_b64 s[74:75], exec, -1
; %bb.2567:                             ;   in Loop: Header=BB47_17 Depth=1
	s_or_b64 exec, exec, s[78:79]
	s_and_b64 s[74:75], s[74:75], exec
	s_or_saveexec_b64 s[76:77], s[76:77]
	v_mov_b32_e32 v54, s80
	s_xor_b64 exec, exec, s[76:77]
	s_cbranch_execz .LBB47_1484
.LBB47_2568:                            ;   in Loop: Header=BB47_17 Depth=1
	v_cmp_ne_u16_e32 vcc, 0, v0
	s_andn2_b64 s[74:75], s[74:75], exec
	s_and_b64 vcc, vcc, exec
	v_mov_b32_e32 v54, 0
	s_or_b64 s[74:75], s[74:75], vcc
	s_or_b64 exec, exec, s[76:77]
	s_and_saveexec_b64 s[76:77], s[74:75]
	s_cbranch_execnz .LBB47_1485
	s_branch .LBB47_1486
.LBB47_2569:                            ;   in Loop: Header=BB47_17 Depth=1
	s_movk_i32 vcc_lo, 0x80
	v_cmp_eq_u16_e32 vcc, vcc_lo, v0
	s_mov_b64 s[74:75], -1
                                        ; implicit-def: $sgpr80
	s_and_saveexec_b64 s[78:79], vcc
; %bb.2570:                             ;   in Loop: Header=BB47_17 Depth=1
	s_mov_b32 s80, 0x7f800001
	s_xor_b64 s[74:75], exec, -1
; %bb.2571:                             ;   in Loop: Header=BB47_17 Depth=1
	s_or_b64 exec, exec, s[78:79]
	s_and_b64 s[74:75], s[74:75], exec
	s_or_saveexec_b64 s[76:77], s[76:77]
	v_mov_b32_e32 v64, s80
	s_xor_b64 exec, exec, s[76:77]
	s_cbranch_execz .LBB47_1584
.LBB47_2572:                            ;   in Loop: Header=BB47_17 Depth=1
	v_cmp_ne_u16_e32 vcc, 0, v0
	s_andn2_b64 s[74:75], s[74:75], exec
	s_and_b64 vcc, vcc, exec
	v_mov_b32_e32 v64, 0
	s_or_b64 s[74:75], s[74:75], vcc
	s_or_b64 exec, exec, s[76:77]
	s_and_saveexec_b64 s[76:77], s[74:75]
	s_cbranch_execnz .LBB47_1585
	s_branch .LBB47_1586
.LBB47_2573:                            ;   in Loop: Header=BB47_17 Depth=1
	s_movk_i32 vcc_lo, 0x80
	v_cmp_eq_u16_e32 vcc, vcc_lo, v0
	s_mov_b64 s[78:79], -1
                                        ; implicit-def: $sgpr84
	s_and_saveexec_b64 s[82:83], vcc
; %bb.2574:                             ;   in Loop: Header=BB47_17 Depth=1
	s_mov_b32 s84, 0x7f800001
	s_xor_b64 s[78:79], exec, -1
; %bb.2575:                             ;   in Loop: Header=BB47_17 Depth=1
	s_or_b64 exec, exec, s[82:83]
	s_and_b64 s[78:79], s[78:79], exec
	s_or_saveexec_b64 s[80:81], s[80:81]
	v_mov_b32_e32 v54, s84
	s_xor_b64 exec, exec, s[80:81]
	s_cbranch_execz .LBB47_1700
.LBB47_2576:                            ;   in Loop: Header=BB47_17 Depth=1
	v_cmp_ne_u16_e32 vcc, 0, v0
	s_andn2_b64 s[78:79], s[78:79], exec
	s_and_b64 vcc, vcc, exec
	v_mov_b32_e32 v54, 0
	s_or_b64 s[78:79], s[78:79], vcc
	s_or_b64 exec, exec, s[80:81]
	s_and_saveexec_b64 s[80:81], s[78:79]
	s_cbranch_execnz .LBB47_1701
	s_branch .LBB47_1702
.LBB47_2577:                            ;   in Loop: Header=BB47_17 Depth=1
	s_movk_i32 vcc_lo, 0x80
	v_cmp_eq_u16_e32 vcc, vcc_lo, v0
	s_mov_b64 s[78:79], -1
                                        ; implicit-def: $sgpr84
	s_and_saveexec_b64 s[82:83], vcc
; %bb.2578:                             ;   in Loop: Header=BB47_17 Depth=1
	s_mov_b32 s84, 0x7f800001
	s_xor_b64 s[78:79], exec, -1
; %bb.2579:                             ;   in Loop: Header=BB47_17 Depth=1
	s_or_b64 exec, exec, s[82:83]
	s_and_b64 s[78:79], s[78:79], exec
	s_or_saveexec_b64 s[80:81], s[80:81]
	v_mov_b32_e32 v64, s84
	s_xor_b64 exec, exec, s[80:81]
	s_cbranch_execz .LBB47_1800
.LBB47_2580:                            ;   in Loop: Header=BB47_17 Depth=1
	v_cmp_ne_u16_e32 vcc, 0, v0
	s_andn2_b64 s[78:79], s[78:79], exec
	s_and_b64 vcc, vcc, exec
	v_mov_b32_e32 v64, 0
	s_or_b64 s[78:79], s[78:79], vcc
	s_or_b64 exec, exec, s[80:81]
	s_and_saveexec_b64 s[80:81], s[78:79]
	s_cbranch_execnz .LBB47_1801
	s_branch .LBB47_1802
.LBB47_2581:                            ;   in Loop: Header=BB47_17 Depth=1
	v_cmp_gt_i16_sdwa vcc, v8, v17 src0_sel:BYTE_0 src1_sel:DWORD
	s_mov_b64 s[74:75], 0
                                        ; implicit-def: $sgpr94_sgpr95
                                        ; implicit-def: $sgpr96_sgpr97
                                        ; implicit-def: $vgpr55
	s_and_saveexec_b64 s[60:61], vcc
	s_xor_b64 s[90:91], exec, s[60:61]
	s_cbranch_execz .LBB47_2613
; %bb.2582:                             ;   in Loop: Header=BB47_17 Depth=1
	v_cmp_gt_i16_sdwa vcc, v8, v18 src0_sel:BYTE_0 src1_sel:DWORD
                                        ; implicit-def: $sgpr72_sgpr73
                                        ; implicit-def: $sgpr96_sgpr97
                                        ; implicit-def: $vgpr55
	s_and_saveexec_b64 s[60:61], vcc
	s_xor_b64 s[94:95], exec, s[60:61]
	s_cbranch_execz .LBB47_2598
; %bb.2583:                             ;   in Loop: Header=BB47_17 Depth=1
	v_cmp_gt_i16_sdwa s[60:61], v8, v19 src0_sel:BYTE_0 src1_sel:DWORD
                                        ; implicit-def: $vcc
                                        ; implicit-def: $sgpr96_sgpr97
                                        ; implicit-def: $vgpr55
	s_and_saveexec_b64 s[62:63], s[60:61]
	s_xor_b64 s[72:73], exec, s[62:63]
	s_cbranch_execz .LBB47_2593
; %bb.2584:                             ;   in Loop: Header=BB47_17 Depth=1
	v_cmp_gt_i16_sdwa vcc, v8, v20 src0_sel:BYTE_0 src1_sel:DWORD
                                        ; implicit-def: $sgpr96_sgpr97
                                        ; implicit-def: $sgpr74_sgpr75
                                        ; implicit-def: $vgpr55
	s_and_saveexec_b64 s[60:61], vcc
	s_xor_b64 vcc, exec, s[60:61]
	s_cbranch_execz .LBB47_2588
; %bb.2585:                             ;   in Loop: Header=BB47_17 Depth=1
	v_cmp_eq_u16_sdwa s[62:63], v8, v21 src0_sel:BYTE_0 src1_sel:DWORD
	s_mov_b64 s[74:75], 0
                                        ; implicit-def: $vgpr55
	s_and_saveexec_b64 s[60:61], s[62:63]
	s_cbranch_execz .LBB47_2587
; %bb.2586:                             ;   in Loop: Header=BB47_17 Depth=1
	flat_load_dword v0, v[0:1]
	s_mov_b64 s[66:67], exec
	s_waitcnt vmcnt(0) lgkmcnt(0)
	v_lshlrev_b32_e32 v55, 16, v0
.LBB47_2587:                            ;   in Loop: Header=BB47_17 Depth=1
	s_or_b64 exec, exec, s[60:61]
	s_mov_b64 s[96:97], -1
	s_and_b64 s[92:93], s[66:67], exec
                                        ; implicit-def: $vgpr0_vgpr1
.LBB47_2588:                            ;   in Loop: Header=BB47_17 Depth=1
	s_andn2_saveexec_b64 s[66:67], vcc
	s_cbranch_execz .LBB47_2592
; %bb.2589:                             ;   in Loop: Header=BB47_17 Depth=1
	v_cmp_eq_u16_sdwa s[60:61], v8, v22 src0_sel:BYTE_0 src1_sel:DWORD
	s_mov_b64 vcc, s[92:93]
                                        ; implicit-def: $vgpr55
	s_and_saveexec_b64 s[68:69], s[60:61]
	s_cbranch_execz .LBB47_2591
; %bb.2590:                             ;   in Loop: Header=BB47_17 Depth=1
	flat_load_ubyte v0, v[0:1]
	s_movk_i32 vcc_lo, 0xff
	s_waitcnt vmcnt(0) lgkmcnt(0)
	v_lshlrev_b32_e32 v1, 23, v0
	v_cmp_ne_u32_e32 vcc, vcc_lo, v0
	v_cndmask_b32_e32 v1, v23, v1, vcc
	v_cmp_ne_u32_e32 vcc, 0, v0
	v_cndmask_b32_e32 v55, v24, v1, vcc
	s_or_b64 vcc, s[92:93], exec
.LBB47_2591:                            ;   in Loop: Header=BB47_17 Depth=1
	s_or_b64 exec, exec, s[68:69]
	s_andn2_b64 s[60:61], s[92:93], exec
	s_and_b64 vcc, vcc, exec
	s_or_b64 s[96:97], s[96:97], exec
	s_andn2_b64 s[74:75], s[74:75], exec
	s_or_b64 s[92:93], s[60:61], vcc
.LBB47_2592:                            ;   in Loop: Header=BB47_17 Depth=1
	s_or_b64 exec, exec, s[66:67]
	s_and_b64 s[96:97], s[96:97], exec
	s_and_b64 vcc, s[74:75], exec
	s_and_b64 s[74:75], s[92:93], exec
                                        ; implicit-def: $vgpr0_vgpr1
.LBB47_2593:                            ;   in Loop: Header=BB47_17 Depth=1
	s_andn2_saveexec_b64 s[66:67], s[72:73]
	s_cbranch_execz .LBB47_2597
; %bb.2594:                             ;   in Loop: Header=BB47_17 Depth=1
	v_cmp_eq_u16_sdwa s[60:61], v8, v25 src0_sel:BYTE_0 src1_sel:DWORD
	s_mov_b64 s[70:71], s[74:75]
                                        ; implicit-def: $vgpr55
	s_and_saveexec_b64 s[68:69], s[60:61]
	s_cbranch_execz .LBB47_2596
; %bb.2595:                             ;   in Loop: Header=BB47_17 Depth=1
	flat_load_dwordx2 v[0:1], v[0:1]
	s_or_b64 s[70:71], s[74:75], exec
	s_waitcnt vmcnt(0) lgkmcnt(0)
	v_ffbh_u32_e32 v55, v1
	v_min_u32_e32 v55, 32, v55
	s_waitcnt vmcnt(0) expcnt(0) lgkmcnt(0)
	v_swap_b32 v2, v55
	v_lshlrev_b64 v[0:1], v2, v[0:1]
	v_swap_b32 v55, v2
	v_min_u32_e32 v0, 1, v0
	v_or_b32_e32 v0, v1, v0
	v_cvt_f32_u32_e32 v0, v0
	v_sub_u32_e32 v1, 32, v55
	v_ldexp_f32 v55, v0, v1
.LBB47_2596:                            ;   in Loop: Header=BB47_17 Depth=1
	s_or_b64 exec, exec, s[68:69]
	s_andn2_b64 s[60:61], s[74:75], exec
	s_and_b64 s[62:63], s[70:71], exec
	s_or_b64 s[96:97], s[96:97], exec
	s_andn2_b64 vcc, vcc, exec
	s_or_b64 s[74:75], s[60:61], s[62:63]
.LBB47_2597:                            ;   in Loop: Header=BB47_17 Depth=1
	s_or_b64 exec, exec, s[66:67]
	s_and_b64 s[96:97], s[96:97], exec
	s_and_b64 s[72:73], vcc, exec
	s_and_b64 s[92:93], s[74:75], exec
                                        ; implicit-def: $vgpr0_vgpr1
.LBB47_2598:                            ;   in Loop: Header=BB47_17 Depth=1
	s_andn2_saveexec_b64 s[94:95], s[94:95]
	s_cbranch_execz .LBB47_2612
; %bb.2599:                             ;   in Loop: Header=BB47_17 Depth=1
	v_cmp_gt_i16_sdwa vcc, v8, v26 src0_sel:BYTE_0 src1_sel:DWORD
                                        ; implicit-def: $vgpr55
	s_and_saveexec_b64 s[60:61], vcc
	s_xor_b64 vcc, exec, s[60:61]
	s_cbranch_execz .LBB47_2605
; %bb.2600:                             ;   in Loop: Header=BB47_17 Depth=1
	v_cmp_gt_i16_sdwa s[60:61], v8, v27 src0_sel:BYTE_0 src1_sel:DWORD
                                        ; implicit-def: $vgpr55
	s_and_saveexec_b64 s[62:63], s[60:61]
	s_xor_b64 s[60:61], exec, s[62:63]
	s_cbranch_execz .LBB47_2602
; %bb.2601:                             ;   in Loop: Header=BB47_17 Depth=1
	flat_load_dword v0, v[0:1]
	s_waitcnt vmcnt(0) lgkmcnt(0)
	v_cvt_f32_u32_e32 v55, v0
                                        ; implicit-def: $vgpr0_vgpr1
.LBB47_2602:                            ;   in Loop: Header=BB47_17 Depth=1
	s_andn2_saveexec_b64 s[60:61], s[60:61]
	s_cbranch_execz .LBB47_2604
; %bb.2603:                             ;   in Loop: Header=BB47_17 Depth=1
	flat_load_ushort v0, v[0:1]
	s_waitcnt vmcnt(0) lgkmcnt(0)
	v_cvt_f32_u32_e32 v55, v0
.LBB47_2604:                            ;   in Loop: Header=BB47_17 Depth=1
	s_or_b64 exec, exec, s[60:61]
                                        ; implicit-def: $vgpr0_vgpr1
.LBB47_2605:                            ;   in Loop: Header=BB47_17 Depth=1
	s_andn2_saveexec_b64 s[74:75], vcc
	s_cbranch_execz .LBB47_2611
; %bb.2606:                             ;   in Loop: Header=BB47_17 Depth=1
	flat_load_ubyte v0, v[0:1]
	s_movk_i32 vcc_lo, 0x7f
	s_mov_b64 s[66:67], 0
                                        ; implicit-def: $sgpr70
	s_waitcnt vmcnt(0) lgkmcnt(0)
	v_cmp_lt_i16_e32 vcc, vcc_lo, v0
	s_and_saveexec_b64 s[60:61], vcc
	s_xor_b64 s[68:69], exec, s[60:61]
	s_cbranch_execnz .LBB47_3478
; %bb.2607:                             ;   in Loop: Header=BB47_17 Depth=1
	s_or_saveexec_b64 s[68:69], s[68:69]
	v_mov_b32_e32 v55, s70
	s_xor_b64 exec, exec, s[68:69]
	s_cbranch_execnz .LBB47_3481
.LBB47_2608:                            ;   in Loop: Header=BB47_17 Depth=1
	s_or_b64 exec, exec, s[68:69]
	s_and_saveexec_b64 s[68:69], s[66:67]
	s_cbranch_execz .LBB47_2610
.LBB47_2609:                            ;   in Loop: Header=BB47_17 Depth=1
	v_lshlrev_b32_e32 v1, 24, v0
	v_and_b32_e32 v0, 0xffff, v0
	v_and_b32_e32 v55, 7, v0
	v_ffbh_u32_e32 v65, v55
	v_min_u32_e32 v65, 32, v65
	v_subrev_u32_e32 v66, 28, v65
	v_bfe_u32 v64, v0, 3, 4
	v_lshlrev_b32_e32 v0, v66, v0
	v_sub_u32_e32 v65, 29, v65
	v_and_b32_e32 v0, 7, v0
	v_cmp_eq_u32_e32 vcc, 0, v64
	v_cndmask_b32_e32 v64, v64, v65, vcc
	v_cndmask_b32_e32 v0, v55, v0, vcc
	v_lshlrev_b32_e32 v0, 20, v0
	v_and_b32_e32 v1, 0x80000000, v1
	v_lshl_add_u32 v55, v64, 23, v28
	v_or3_b32 v55, v1, v55, v0
.LBB47_2610:                            ;   in Loop: Header=BB47_17 Depth=1
	s_or_b64 exec, exec, s[68:69]
.LBB47_2611:                            ;   in Loop: Header=BB47_17 Depth=1
	s_or_b64 exec, exec, s[74:75]
	s_andn2_b64 s[96:97], s[96:97], exec
	s_andn2_b64 s[72:73], s[72:73], exec
	s_or_b64 s[92:93], s[92:93], exec
.LBB47_2612:                            ;   in Loop: Header=BB47_17 Depth=1
	s_or_b64 exec, exec, s[94:95]
	s_and_b64 s[96:97], s[96:97], exec
	s_and_b64 s[94:95], s[72:73], exec
	;; [unrolled: 1-line block ×3, first 2 shown]
                                        ; implicit-def: $vgpr0_vgpr1
.LBB47_2613:                            ;   in Loop: Header=BB47_17 Depth=1
	s_andn2_saveexec_b64 s[90:91], s[90:91]
	s_cbranch_execz .LBB47_2639
; %bb.2614:                             ;   in Loop: Header=BB47_17 Depth=1
	v_cmp_gt_i16_sdwa vcc, v8, v29 src0_sel:BYTE_0 src1_sel:DWORD
	s_mov_b64 s[92:93], s[74:75]
                                        ; implicit-def: $vgpr55
	s_and_saveexec_b64 s[60:61], vcc
	s_xor_b64 s[72:73], exec, s[60:61]
	s_cbranch_execz .LBB47_2628
; %bb.2615:                             ;   in Loop: Header=BB47_17 Depth=1
	v_cmp_gt_i16_sdwa vcc, v8, v30 src0_sel:BYTE_0 src1_sel:DWORD
                                        ; implicit-def: $vgpr55
	s_and_saveexec_b64 s[60:61], vcc
	s_xor_b64 s[62:63], exec, s[60:61]
	s_cbranch_execz .LBB47_2625
; %bb.2616:                             ;   in Loop: Header=BB47_17 Depth=1
	v_cmp_gt_i16_sdwa vcc, v8, v31 src0_sel:BYTE_0 src1_sel:DWORD
                                        ; implicit-def: $vgpr55
	s_and_saveexec_b64 s[60:61], vcc
	s_xor_b64 s[92:93], exec, s[60:61]
	s_cbranch_execz .LBB47_2622
; %bb.2617:                             ;   in Loop: Header=BB47_17 Depth=1
	flat_load_ubyte v0, v[0:1]
	s_movk_i32 vcc_lo, 0x7f
	s_mov_b64 s[66:67], 0
                                        ; implicit-def: $sgpr70
	s_waitcnt vmcnt(0) lgkmcnt(0)
	v_cmp_lt_i16_e32 vcc, vcc_lo, v0
	s_and_saveexec_b64 s[60:61], vcc
	s_xor_b64 s[68:69], exec, s[60:61]
	s_cbranch_execnz .LBB47_3586
; %bb.2618:                             ;   in Loop: Header=BB47_17 Depth=1
	s_or_saveexec_b64 s[68:69], s[68:69]
	v_mov_b32_e32 v55, s70
	s_xor_b64 exec, exec, s[68:69]
	s_cbranch_execnz .LBB47_3589
.LBB47_2619:                            ;   in Loop: Header=BB47_17 Depth=1
	s_or_b64 exec, exec, s[68:69]
	s_and_saveexec_b64 s[68:69], s[66:67]
	s_cbranch_execz .LBB47_2621
.LBB47_2620:                            ;   in Loop: Header=BB47_17 Depth=1
	v_lshlrev_b32_e32 v1, 24, v0
	v_and_b32_e32 v0, 0xffff, v0
	v_and_b32_e32 v55, 3, v0
	v_ffbh_u32_e32 v65, v55
	v_min_u32_e32 v65, 32, v65
	v_subrev_u32_e32 v66, 29, v65
	v_bfe_u32 v64, v0, 2, 5
	v_lshlrev_b32_e32 v0, v66, v0
	v_sub_u32_e32 v65, 30, v65
	v_and_b32_e32 v0, 3, v0
	v_cmp_eq_u32_e32 vcc, 0, v64
	v_cndmask_b32_e32 v64, v64, v65, vcc
	v_cndmask_b32_e32 v0, v55, v0, vcc
	v_lshlrev_b32_e32 v0, 21, v0
	v_and_b32_e32 v1, 0x80000000, v1
	v_lshl_add_u32 v55, v64, 23, v32
	v_or3_b32 v55, v1, v55, v0
.LBB47_2621:                            ;   in Loop: Header=BB47_17 Depth=1
	s_or_b64 exec, exec, s[68:69]
                                        ; implicit-def: $vgpr0_vgpr1
.LBB47_2622:                            ;   in Loop: Header=BB47_17 Depth=1
	s_andn2_saveexec_b64 s[66:67], s[92:93]
	s_cbranch_execz .LBB47_2624
; %bb.2623:                             ;   in Loop: Header=BB47_17 Depth=1
	flat_load_ubyte v0, v[0:1]
	s_mov_b32 vcc_lo, 0x7f800000
	s_waitcnt vmcnt(0) lgkmcnt(0)
	v_lshlrev_b32_e32 v0, 24, v0
	v_and_b32_e32 v1, 0x7f000000, v0
	v_ffbh_u32_e32 v55, v1
	v_min_u32_e32 v55, 32, v55
	v_sub_u32_e64 v55, v55, 4 clamp
	v_lshlrev_b32_e32 v65, v55, v1
	v_lshlrev_b32_e32 v55, 23, v55
	v_lshrrev_b32_e32 v65, 4, v65
	v_add_u32_e32 v64, 0x1000000, v1
	v_sub_u32_e32 v55, v65, v55
	v_ashrrev_i32_e32 v64, 8, v64
	v_add_u32_e32 v55, 0x3c000000, v55
	v_and_or_b32 v55, v64, vcc_lo, v55
	v_cmp_ne_u32_e32 vcc, 0, v1
	v_cndmask_b32_e32 v1, 0, v55, vcc
	s_brev_b32 vcc_lo, 1
	v_and_or_b32 v55, v0, vcc_lo, v1
.LBB47_2624:                            ;   in Loop: Header=BB47_17 Depth=1
	s_or_b64 exec, exec, s[66:67]
                                        ; implicit-def: $vgpr0_vgpr1
.LBB47_2625:                            ;   in Loop: Header=BB47_17 Depth=1
	s_andn2_saveexec_b64 s[66:67], s[62:63]
	s_cbranch_execz .LBB47_2627
; %bb.2626:                             ;   in Loop: Header=BB47_17 Depth=1
	flat_load_ubyte v0, v[0:1]
	s_movk_i32 vcc_lo, 0x7f00
	s_waitcnt vmcnt(0) lgkmcnt(0)
	v_lshlrev_b16_e32 v1, 8, v0
	v_lshlrev_b32_e32 v0, 25, v0
	v_lshrrev_b32_e32 v55, 4, v0
	v_and_or_b32 v64, v1, vcc_lo, 0.5
	v_or_b32_e32 v55, 0x70000000, v55
	s_brev_b32 vcc_lo, 16
	v_add_f32_e32 v64, -0.5, v64
	v_mul_f32_e32 v55, 0x7800000, v55
	v_cmp_gt_u32_e32 vcc, vcc_lo, v0
	v_cndmask_b32_e32 v0, v55, v64, vcc
	v_bfe_i32 v1, v1, 0, 16
	s_brev_b32 vcc_lo, 1
	v_and_or_b32 v55, v1, vcc_lo, v0
.LBB47_2627:                            ;   in Loop: Header=BB47_17 Depth=1
	s_or_b64 exec, exec, s[66:67]
	s_or_b64 s[92:93], s[74:75], exec
                                        ; implicit-def: $vgpr0_vgpr1
.LBB47_2628:                            ;   in Loop: Header=BB47_17 Depth=1
	s_or_saveexec_b64 s[72:73], s[72:73]
                                        ; implicit-def: $vcc
                                        ; implicit-def: $sgpr68_sgpr69
	s_xor_b64 exec, exec, s[72:73]
	s_cbranch_execz .LBB47_2638
; %bb.2629:                             ;   in Loop: Header=BB47_17 Depth=1
	v_cmp_gt_i16_sdwa vcc, v8, v33 src0_sel:BYTE_0 src1_sel:DWORD
	s_mov_b64 s[66:67], s[92:93]
                                        ; implicit-def: $sgpr68_sgpr69
                                        ; implicit-def: $sgpr76_sgpr77
                                        ; implicit-def: $vgpr55
	s_and_saveexec_b64 s[60:61], vcc
	s_xor_b64 vcc, exec, s[60:61]
	s_cbranch_execz .LBB47_2633
; %bb.2630:                             ;   in Loop: Header=BB47_17 Depth=1
	v_cmp_eq_u16_sdwa s[62:63], v8, v34 src0_sel:BYTE_0 src1_sel:DWORD
	s_mov_b64 s[66:67], s[92:93]
                                        ; implicit-def: $vgpr55
	s_and_saveexec_b64 s[60:61], s[62:63]
	s_cbranch_execz .LBB47_2632
; %bb.2631:                             ;   in Loop: Header=BB47_17 Depth=1
	flat_load_ushort v0, v[0:1]
	s_or_b64 s[66:67], s[92:93], exec
	s_waitcnt vmcnt(0) lgkmcnt(0)
	v_lshlrev_b32_e32 v55, 16, v0
.LBB47_2632:                            ;   in Loop: Header=BB47_17 Depth=1
	s_or_b64 exec, exec, s[60:61]
	s_andn2_b64 s[60:61], s[92:93], exec
	s_and_b64 s[62:63], s[66:67], exec
	s_mov_b64 s[76:77], 0
	s_mov_b64 s[68:69], -1
	s_or_b64 s[66:67], s[60:61], s[62:63]
                                        ; implicit-def: $vgpr0_vgpr1
.LBB47_2633:                            ;   in Loop: Header=BB47_17 Depth=1
	s_andn2_saveexec_b64 s[70:71], vcc
	s_cbranch_execz .LBB47_2637
; %bb.2634:                             ;   in Loop: Header=BB47_17 Depth=1
	v_cmp_eq_u16_sdwa s[62:63], v8, v35 src0_sel:BYTE_0 src1_sel:DWORD
	s_mov_b64 vcc, s[66:67]
                                        ; implicit-def: $vgpr55
	s_and_saveexec_b64 s[60:61], s[62:63]
	s_cbranch_execz .LBB47_2636
; %bb.2635:                             ;   in Loop: Header=BB47_17 Depth=1
	flat_load_ubyte v0, v[0:1]
	s_waitcnt vmcnt(0) lgkmcnt(0)
	v_cmp_ne_u16_e32 vcc, 0, v0
	v_cndmask_b32_e64 v55, 0, 1.0, vcc
	s_or_b64 vcc, s[66:67], exec
.LBB47_2636:                            ;   in Loop: Header=BB47_17 Depth=1
	s_or_b64 exec, exec, s[60:61]
	s_andn2_b64 s[60:61], s[66:67], exec
	s_and_b64 vcc, vcc, exec
	s_or_b64 s[68:69], s[68:69], exec
	s_andn2_b64 s[76:77], s[76:77], exec
	s_or_b64 s[66:67], s[60:61], vcc
.LBB47_2637:                            ;   in Loop: Header=BB47_17 Depth=1
	s_or_b64 exec, exec, s[70:71]
	s_andn2_b64 s[60:61], s[92:93], exec
	s_and_b64 s[62:63], s[66:67], exec
	s_and_b64 s[68:69], s[68:69], exec
	s_and_b64 vcc, s[76:77], exec
	s_or_b64 s[92:93], s[60:61], s[62:63]
.LBB47_2638:                            ;   in Loop: Header=BB47_17 Depth=1
	s_or_b64 exec, exec, s[72:73]
	s_andn2_b64 s[60:61], s[96:97], exec
	s_and_b64 s[62:63], s[68:69], exec
	s_or_b64 s[96:97], s[60:61], s[62:63]
	s_andn2_b64 s[60:61], s[94:95], exec
	s_and_b64 vcc, vcc, exec
	s_or_b64 s[94:95], s[60:61], vcc
	s_andn2_b64 vcc, s[74:75], exec
	s_and_b64 s[60:61], s[92:93], exec
	s_or_b64 s[74:75], vcc, s[60:61]
.LBB47_2639:                            ;   in Loop: Header=BB47_17 Depth=1
	s_or_b64 exec, exec, s[90:91]
	s_and_b64 s[90:91], s[96:97], exec
	s_and_b64 vcc, s[94:95], exec
	s_and_b64 s[92:93], s[74:75], exec
                                        ; implicit-def: $vgpr0_vgpr1
	s_andn2_saveexec_b64 s[88:89], s[88:89]
	s_cbranch_execz .LBB47_2556
.LBB47_2640:                            ;   in Loop: Header=BB47_17 Depth=1
	v_cmp_gt_i16_sdwa s[60:61], v8, v36 src0_sel:BYTE_0 src1_sel:DWORD
                                        ; implicit-def: $vgpr55
	s_and_saveexec_b64 s[62:63], s[60:61]
	s_xor_b64 s[72:73], exec, s[62:63]
	s_cbranch_execz .LBB47_2662
; %bb.2641:                             ;   in Loop: Header=BB47_17 Depth=1
	v_cmp_gt_i16_sdwa s[60:61], v8, v37 src0_sel:BYTE_0 src1_sel:DWORD
                                        ; implicit-def: $vgpr55
	s_and_saveexec_b64 s[62:63], s[60:61]
	s_xor_b64 s[66:67], exec, s[62:63]
	s_cbranch_execz .LBB47_2651
; %bb.2642:                             ;   in Loop: Header=BB47_17 Depth=1
	;; [unrolled: 6-line block ×4, first 2 shown]
	flat_load_dwordx2 v[0:1], v[0:1]
	s_waitcnt vmcnt(0) lgkmcnt(0)
	v_cvt_f32_f64_e32 v55, v[0:1]
                                        ; implicit-def: $vgpr0_vgpr1
.LBB47_2645:                            ;   in Loop: Header=BB47_17 Depth=1
	s_andn2_saveexec_b64 s[60:61], s[60:61]
	s_cbranch_execz .LBB47_2647
; %bb.2646:                             ;   in Loop: Header=BB47_17 Depth=1
	flat_load_dword v55, v[0:1]
.LBB47_2647:                            ;   in Loop: Header=BB47_17 Depth=1
	s_or_b64 exec, exec, s[60:61]
                                        ; implicit-def: $vgpr0_vgpr1
.LBB47_2648:                            ;   in Loop: Header=BB47_17 Depth=1
	s_andn2_saveexec_b64 s[60:61], s[68:69]
	s_cbranch_execz .LBB47_2650
; %bb.2649:                             ;   in Loop: Header=BB47_17 Depth=1
	flat_load_dword v0, v[0:1]
	s_waitcnt vmcnt(0) lgkmcnt(0)
	v_cvt_f32_f16_e32 v55, v0
.LBB47_2650:                            ;   in Loop: Header=BB47_17 Depth=1
	s_or_b64 exec, exec, s[60:61]
                                        ; implicit-def: $vgpr0_vgpr1
.LBB47_2651:                            ;   in Loop: Header=BB47_17 Depth=1
	s_andn2_saveexec_b64 s[66:67], s[66:67]
	s_cbranch_execz .LBB47_2661
; %bb.2652:                             ;   in Loop: Header=BB47_17 Depth=1
	v_cmp_gt_i16_sdwa s[60:61], v8, v48 src0_sel:BYTE_0 src1_sel:DWORD
                                        ; implicit-def: $vgpr55
	s_and_saveexec_b64 s[62:63], s[60:61]
	s_xor_b64 s[68:69], exec, s[62:63]
	s_cbranch_execz .LBB47_2658
; %bb.2653:                             ;   in Loop: Header=BB47_17 Depth=1
	v_cmp_gt_i16_sdwa s[60:61], v8, v49 src0_sel:BYTE_0 src1_sel:DWORD
                                        ; implicit-def: $vgpr55
	s_and_saveexec_b64 s[62:63], s[60:61]
	s_xor_b64 s[60:61], exec, s[62:63]
	s_cbranch_execz .LBB47_2655
; %bb.2654:                             ;   in Loop: Header=BB47_17 Depth=1
	flat_load_dwordx2 v[0:1], v[0:1]
	s_waitcnt vmcnt(0) lgkmcnt(0)
	v_cvt_f32_f64_e32 v55, v[0:1]
                                        ; implicit-def: $vgpr0_vgpr1
.LBB47_2655:                            ;   in Loop: Header=BB47_17 Depth=1
	s_andn2_saveexec_b64 s[60:61], s[60:61]
	s_cbranch_execz .LBB47_2657
; %bb.2656:                             ;   in Loop: Header=BB47_17 Depth=1
	s_waitcnt vmcnt(0) lgkmcnt(0)
	flat_load_dword v55, v[0:1]
.LBB47_2657:                            ;   in Loop: Header=BB47_17 Depth=1
	s_or_b64 exec, exec, s[60:61]
                                        ; implicit-def: $vgpr0_vgpr1
.LBB47_2658:                            ;   in Loop: Header=BB47_17 Depth=1
	s_andn2_saveexec_b64 s[60:61], s[68:69]
	s_cbranch_execz .LBB47_2660
; %bb.2659:                             ;   in Loop: Header=BB47_17 Depth=1
	flat_load_ushort v0, v[0:1]
	s_waitcnt vmcnt(0) lgkmcnt(0)
	v_cvt_f32_f16_e32 v55, v0
.LBB47_2660:                            ;   in Loop: Header=BB47_17 Depth=1
	s_or_b64 exec, exec, s[60:61]
.LBB47_2661:                            ;   in Loop: Header=BB47_17 Depth=1
	s_or_b64 exec, exec, s[66:67]
                                        ; implicit-def: $vgpr0_vgpr1
.LBB47_2662:                            ;   in Loop: Header=BB47_17 Depth=1
	s_andn2_saveexec_b64 s[72:73], s[72:73]
	s_cbranch_execz .LBB47_2680
; %bb.2663:                             ;   in Loop: Header=BB47_17 Depth=1
	v_cmp_gt_i16_sdwa s[60:61], v8, v50 src0_sel:BYTE_0 src1_sel:DWORD
                                        ; implicit-def: $vgpr55
	s_and_saveexec_b64 s[62:63], s[60:61]
	s_xor_b64 s[74:75], exec, s[62:63]
	s_cbranch_execz .LBB47_2673
; %bb.2664:                             ;   in Loop: Header=BB47_17 Depth=1
	v_cmp_gt_i16_sdwa s[60:61], v8, v51 src0_sel:BYTE_0 src1_sel:DWORD
                                        ; implicit-def: $vgpr55
	s_and_saveexec_b64 s[62:63], s[60:61]
	s_xor_b64 s[66:67], exec, s[62:63]
	;; [unrolled: 6-line block ×3, first 2 shown]
	s_cbranch_execz .LBB47_2667
; %bb.2666:                             ;   in Loop: Header=BB47_17 Depth=1
	flat_load_dwordx2 v[0:1], v[0:1]
	s_waitcnt vmcnt(0) lgkmcnt(0)
	v_xor_b32_e32 v64, v0, v1
	v_ffbh_i32_e32 v55, v1
	v_ashrrev_i32_e32 v64, 31, v64
	v_add_u32_e32 v55, -1, v55
	v_add_u32_e32 v64, 32, v64
	v_min_u32_e32 v55, v55, v64
	s_waitcnt vmcnt(0) expcnt(0) lgkmcnt(0)
	v_swap_b32 v2, v55
	v_lshlrev_b64 v[0:1], v2, v[0:1]
	v_swap_b32 v55, v2
	v_min_u32_e32 v0, 1, v0
	v_or_b32_e32 v0, v1, v0
	v_cvt_f32_i32_e32 v0, v0
	v_sub_u32_e32 v1, 32, v55
	v_ldexp_f32 v55, v0, v1
                                        ; implicit-def: $vgpr0_vgpr1
.LBB47_2667:                            ;   in Loop: Header=BB47_17 Depth=1
	s_andn2_saveexec_b64 s[60:61], s[68:69]
	s_cbranch_execz .LBB47_2669
; %bb.2668:                             ;   in Loop: Header=BB47_17 Depth=1
	flat_load_dword v0, v[0:1]
	s_waitcnt vmcnt(0) lgkmcnt(0)
	v_cvt_f32_i32_e32 v55, v0
.LBB47_2669:                            ;   in Loop: Header=BB47_17 Depth=1
	s_or_b64 exec, exec, s[60:61]
                                        ; implicit-def: $vgpr0_vgpr1
.LBB47_2670:                            ;   in Loop: Header=BB47_17 Depth=1
	s_andn2_saveexec_b64 s[60:61], s[66:67]
	s_cbranch_execz .LBB47_2672
; %bb.2671:                             ;   in Loop: Header=BB47_17 Depth=1
	flat_load_sshort v0, v[0:1]
	s_waitcnt vmcnt(0) lgkmcnt(0)
	v_cvt_f32_i32_e32 v55, v0
.LBB47_2672:                            ;   in Loop: Header=BB47_17 Depth=1
	s_or_b64 exec, exec, s[60:61]
                                        ; implicit-def: $vgpr0_vgpr1
.LBB47_2673:                            ;   in Loop: Header=BB47_17 Depth=1
	s_andn2_saveexec_b64 s[66:67], s[74:75]
	s_cbranch_execz .LBB47_2679
; %bb.2674:                             ;   in Loop: Header=BB47_17 Depth=1
	v_cmp_gt_i16_sdwa s[60:61], v8, v14 src0_sel:BYTE_0 src1_sel:DWORD
                                        ; implicit-def: $vgpr55
	s_and_saveexec_b64 s[62:63], s[60:61]
	s_xor_b64 s[60:61], exec, s[62:63]
	s_cbranch_execz .LBB47_2676
; %bb.2675:                             ;   in Loop: Header=BB47_17 Depth=1
	flat_load_sbyte v0, v[0:1]
	s_waitcnt vmcnt(0) lgkmcnt(0)
	v_cvt_f32_i32_e32 v55, v0
                                        ; implicit-def: $vgpr0_vgpr1
.LBB47_2676:                            ;   in Loop: Header=BB47_17 Depth=1
	s_andn2_saveexec_b64 s[60:61], s[60:61]
	s_cbranch_execz .LBB47_2678
; %bb.2677:                             ;   in Loop: Header=BB47_17 Depth=1
	flat_load_ubyte v0, v[0:1]
	s_waitcnt vmcnt(0) lgkmcnt(0)
	v_cvt_f32_ubyte0_e32 v55, v0
.LBB47_2678:                            ;   in Loop: Header=BB47_17 Depth=1
	s_or_b64 exec, exec, s[60:61]
.LBB47_2679:                            ;   in Loop: Header=BB47_17 Depth=1
	s_or_b64 exec, exec, s[66:67]
.LBB47_2680:                            ;   in Loop: Header=BB47_17 Depth=1
	s_or_b64 exec, exec, s[72:73]
	s_andn2_b64 s[90:91], s[90:91], exec
	s_andn2_b64 vcc, vcc, exec
	s_or_b64 s[92:93], s[92:93], exec
	s_or_b64 exec, exec, s[88:89]
	s_mov_b64 s[66:67], 0
	s_and_saveexec_b64 s[68:69], s[92:93]
	s_cbranch_execnz .LBB47_2557
	s_branch .LBB47_2558
.LBB47_2681:                            ;   in Loop: Header=BB47_17 Depth=1
	v_cmp_gt_i16_sdwa vcc, v7, v17 src0_sel:BYTE_0 src1_sel:DWORD
	s_mov_b64 s[94:95], 0
                                        ; implicit-def: $sgpr78_sgpr79
                                        ; implicit-def: $sgpr80_sgpr81
                                        ; implicit-def: $vgpr64
	s_and_saveexec_b64 s[60:61], vcc
	s_xor_b64 s[84:85], exec, s[60:61]
	s_cbranch_execz .LBB47_2713
; %bb.2682:                             ;   in Loop: Header=BB47_17 Depth=1
	v_cmp_gt_i16_sdwa vcc, v7, v18 src0_sel:BYTE_0 src1_sel:DWORD
	s_mov_b64 s[86:87], 0
                                        ; implicit-def: $sgpr72_sgpr73
                                        ; implicit-def: $sgpr80_sgpr81
                                        ; implicit-def: $vgpr64
	s_and_saveexec_b64 s[60:61], vcc
	s_xor_b64 s[78:79], exec, s[60:61]
	s_cbranch_execz .LBB47_2698
; %bb.2683:                             ;   in Loop: Header=BB47_17 Depth=1
	v_cmp_gt_i16_sdwa s[60:61], v7, v19 src0_sel:BYTE_0 src1_sel:DWORD
	s_mov_b64 s[74:75], 0
                                        ; implicit-def: $vcc
                                        ; implicit-def: $sgpr86_sgpr87
                                        ; implicit-def: $vgpr64
	s_and_saveexec_b64 s[62:63], s[60:61]
	s_xor_b64 s[72:73], exec, s[62:63]
	s_cbranch_execz .LBB47_2693
; %bb.2684:                             ;   in Loop: Header=BB47_17 Depth=1
	v_cmp_gt_i16_sdwa vcc, v7, v20 src0_sel:BYTE_0 src1_sel:DWORD
	s_mov_b64 s[80:81], 0
                                        ; implicit-def: $sgpr74_sgpr75
                                        ; implicit-def: $sgpr94_sgpr95
                                        ; implicit-def: $vgpr64
	s_and_saveexec_b64 s[60:61], vcc
	s_xor_b64 vcc, exec, s[60:61]
	s_cbranch_execz .LBB47_2688
; %bb.2685:                             ;   in Loop: Header=BB47_17 Depth=1
	v_cmp_eq_u16_sdwa s[62:63], v7, v21 src0_sel:BYTE_0 src1_sel:DWORD
	s_mov_b64 s[74:75], 0
	s_mov_b64 s[66:67], 0
                                        ; implicit-def: $vgpr64
	s_and_saveexec_b64 s[60:61], s[62:63]
	s_cbranch_execz .LBB47_2687
; %bb.2686:                             ;   in Loop: Header=BB47_17 Depth=1
	flat_load_dword v0, v[0:1]
	s_mov_b64 s[66:67], exec
	s_waitcnt vmcnt(0) lgkmcnt(0)
	v_lshlrev_b32_e32 v64, 16, v0
.LBB47_2687:                            ;   in Loop: Header=BB47_17 Depth=1
	s_or_b64 exec, exec, s[60:61]
	s_mov_b64 s[94:95], -1
	s_and_b64 s[80:81], s[66:67], exec
                                        ; implicit-def: $vgpr0_vgpr1
.LBB47_2688:                            ;   in Loop: Header=BB47_17 Depth=1
	s_andn2_saveexec_b64 s[66:67], vcc
	s_cbranch_execz .LBB47_2692
; %bb.2689:                             ;   in Loop: Header=BB47_17 Depth=1
	v_cmp_eq_u16_sdwa s[60:61], v7, v22 src0_sel:BYTE_0 src1_sel:DWORD
	s_mov_b64 vcc, s[80:81]
                                        ; implicit-def: $vgpr64
	s_and_saveexec_b64 s[68:69], s[60:61]
	s_cbranch_execz .LBB47_2691
; %bb.2690:                             ;   in Loop: Header=BB47_17 Depth=1
	flat_load_ubyte v0, v[0:1]
	s_movk_i32 vcc_lo, 0xff
	s_waitcnt vmcnt(0) lgkmcnt(0)
	v_lshlrev_b32_e32 v1, 23, v0
	v_cmp_ne_u32_e32 vcc, vcc_lo, v0
	v_cndmask_b32_e32 v1, v23, v1, vcc
	v_cmp_ne_u32_e32 vcc, 0, v0
	v_cndmask_b32_e32 v64, v24, v1, vcc
	s_or_b64 vcc, s[80:81], exec
.LBB47_2691:                            ;   in Loop: Header=BB47_17 Depth=1
	s_or_b64 exec, exec, s[68:69]
	s_andn2_b64 s[60:61], s[80:81], exec
	s_and_b64 vcc, vcc, exec
	s_andn2_b64 s[74:75], s[74:75], exec
	s_or_b64 s[94:95], s[94:95], exec
	s_or_b64 s[80:81], s[60:61], vcc
.LBB47_2692:                            ;   in Loop: Header=BB47_17 Depth=1
	s_or_b64 exec, exec, s[66:67]
	s_and_b64 s[86:87], s[74:75], exec
	s_and_b64 vcc, s[94:95], exec
	s_and_b64 s[74:75], s[80:81], exec
                                        ; implicit-def: $vgpr0_vgpr1
.LBB47_2693:                            ;   in Loop: Header=BB47_17 Depth=1
	s_andn2_saveexec_b64 s[66:67], s[72:73]
	s_cbranch_execz .LBB47_2697
; %bb.2694:                             ;   in Loop: Header=BB47_17 Depth=1
	v_cmp_eq_u16_sdwa s[60:61], v7, v25 src0_sel:BYTE_0 src1_sel:DWORD
	s_mov_b64 s[70:71], s[74:75]
                                        ; implicit-def: $vgpr64
	s_and_saveexec_b64 s[68:69], s[60:61]
	s_cbranch_execz .LBB47_2696
; %bb.2695:                             ;   in Loop: Header=BB47_17 Depth=1
	flat_load_dwordx2 v[0:1], v[0:1]
	s_or_b64 s[70:71], s[74:75], exec
	s_waitcnt vmcnt(0) lgkmcnt(0)
	v_ffbh_u32_e32 v54, v1
	v_min_u32_e32 v54, 32, v54
	v_lshlrev_b64 v[0:1], v54, v[0:1]
	v_min_u32_e32 v0, 1, v0
	v_or_b32_e32 v0, v1, v0
	v_cvt_f32_u32_e32 v0, v0
	v_sub_u32_e32 v1, 32, v54
	v_ldexp_f32 v64, v0, v1
.LBB47_2696:                            ;   in Loop: Header=BB47_17 Depth=1
	s_or_b64 exec, exec, s[68:69]
	s_andn2_b64 s[60:61], s[74:75], exec
	s_and_b64 s[62:63], s[70:71], exec
	s_andn2_b64 s[86:87], s[86:87], exec
	s_or_b64 vcc, vcc, exec
	s_or_b64 s[74:75], s[60:61], s[62:63]
.LBB47_2697:                            ;   in Loop: Header=BB47_17 Depth=1
	s_or_b64 exec, exec, s[66:67]
	s_and_b64 s[80:81], s[86:87], exec
	s_and_b64 s[72:73], vcc, exec
	s_and_b64 s[86:87], s[74:75], exec
                                        ; implicit-def: $vgpr0_vgpr1
.LBB47_2698:                            ;   in Loop: Header=BB47_17 Depth=1
	s_andn2_saveexec_b64 s[78:79], s[78:79]
	s_cbranch_execz .LBB47_2712
; %bb.2699:                             ;   in Loop: Header=BB47_17 Depth=1
	v_cmp_gt_i16_sdwa vcc, v7, v26 src0_sel:BYTE_0 src1_sel:DWORD
                                        ; implicit-def: $vgpr64
	s_and_saveexec_b64 s[60:61], vcc
	s_xor_b64 vcc, exec, s[60:61]
	s_cbranch_execz .LBB47_2705
; %bb.2700:                             ;   in Loop: Header=BB47_17 Depth=1
	v_cmp_gt_i16_sdwa s[60:61], v7, v27 src0_sel:BYTE_0 src1_sel:DWORD
                                        ; implicit-def: $vgpr64
	s_and_saveexec_b64 s[62:63], s[60:61]
	s_xor_b64 s[60:61], exec, s[62:63]
	s_cbranch_execz .LBB47_2702
; %bb.2701:                             ;   in Loop: Header=BB47_17 Depth=1
	flat_load_dword v0, v[0:1]
	s_waitcnt vmcnt(0) lgkmcnt(0)
	v_cvt_f32_u32_e32 v64, v0
                                        ; implicit-def: $vgpr0_vgpr1
.LBB47_2702:                            ;   in Loop: Header=BB47_17 Depth=1
	s_andn2_saveexec_b64 s[60:61], s[60:61]
	s_cbranch_execz .LBB47_2704
; %bb.2703:                             ;   in Loop: Header=BB47_17 Depth=1
	flat_load_ushort v0, v[0:1]
	s_waitcnt vmcnt(0) lgkmcnt(0)
	v_cvt_f32_u32_e32 v64, v0
.LBB47_2704:                            ;   in Loop: Header=BB47_17 Depth=1
	s_or_b64 exec, exec, s[60:61]
                                        ; implicit-def: $vgpr0_vgpr1
.LBB47_2705:                            ;   in Loop: Header=BB47_17 Depth=1
	s_andn2_saveexec_b64 s[74:75], vcc
	s_cbranch_execz .LBB47_2711
; %bb.2706:                             ;   in Loop: Header=BB47_17 Depth=1
	flat_load_ubyte v0, v[0:1]
	s_movk_i32 vcc_lo, 0x7f
	s_mov_b64 s[66:67], 0
                                        ; implicit-def: $sgpr70
	s_waitcnt vmcnt(0) lgkmcnt(0)
	v_cmp_lt_i16_e32 vcc, vcc_lo, v0
	s_and_saveexec_b64 s[60:61], vcc
	s_xor_b64 s[68:69], exec, s[60:61]
	s_cbranch_execnz .LBB47_3482
; %bb.2707:                             ;   in Loop: Header=BB47_17 Depth=1
	s_or_saveexec_b64 s[68:69], s[68:69]
	v_mov_b32_e32 v64, s70
	s_xor_b64 exec, exec, s[68:69]
	s_cbranch_execnz .LBB47_3485
.LBB47_2708:                            ;   in Loop: Header=BB47_17 Depth=1
	s_or_b64 exec, exec, s[68:69]
	s_and_saveexec_b64 s[68:69], s[66:67]
	s_cbranch_execz .LBB47_2710
.LBB47_2709:                            ;   in Loop: Header=BB47_17 Depth=1
	v_lshlrev_b32_e32 v1, 24, v0
	v_and_b32_e32 v0, 0xffff, v0
	v_and_b32_e32 v54, 7, v0
	v_ffbh_u32_e32 v65, v54
	v_min_u32_e32 v65, 32, v65
	v_subrev_u32_e32 v66, 28, v65
	v_bfe_u32 v64, v0, 3, 4
	v_lshlrev_b32_e32 v0, v66, v0
	v_sub_u32_e32 v65, 29, v65
	v_and_b32_e32 v0, 7, v0
	v_cmp_eq_u32_e32 vcc, 0, v64
	v_cndmask_b32_e32 v64, v64, v65, vcc
	v_cndmask_b32_e32 v0, v54, v0, vcc
	v_lshlrev_b32_e32 v0, 20, v0
	v_and_b32_e32 v1, 0x80000000, v1
	v_lshl_add_u32 v54, v64, 23, v28
	v_or3_b32 v64, v1, v54, v0
.LBB47_2710:                            ;   in Loop: Header=BB47_17 Depth=1
	s_or_b64 exec, exec, s[68:69]
.LBB47_2711:                            ;   in Loop: Header=BB47_17 Depth=1
	s_or_b64 exec, exec, s[74:75]
	s_andn2_b64 s[80:81], s[80:81], exec
	s_andn2_b64 s[72:73], s[72:73], exec
	s_or_b64 s[86:87], s[86:87], exec
.LBB47_2712:                            ;   in Loop: Header=BB47_17 Depth=1
	s_or_b64 exec, exec, s[78:79]
	s_and_b64 s[80:81], s[80:81], exec
	s_and_b64 s[78:79], s[72:73], exec
	;; [unrolled: 1-line block ×3, first 2 shown]
                                        ; implicit-def: $vgpr0_vgpr1
.LBB47_2713:                            ;   in Loop: Header=BB47_17 Depth=1
	s_andn2_saveexec_b64 s[84:85], s[84:85]
	s_cbranch_execz .LBB47_2739
; %bb.2714:                             ;   in Loop: Header=BB47_17 Depth=1
	v_cmp_gt_i16_sdwa vcc, v7, v29 src0_sel:BYTE_0 src1_sel:DWORD
	s_mov_b64 s[74:75], s[94:95]
                                        ; implicit-def: $vgpr64
	s_and_saveexec_b64 s[60:61], vcc
	s_xor_b64 s[72:73], exec, s[60:61]
	s_cbranch_execz .LBB47_2728
; %bb.2715:                             ;   in Loop: Header=BB47_17 Depth=1
	v_cmp_gt_i16_sdwa vcc, v7, v30 src0_sel:BYTE_0 src1_sel:DWORD
                                        ; implicit-def: $vgpr64
	s_and_saveexec_b64 s[60:61], vcc
	s_xor_b64 s[86:87], exec, s[60:61]
	s_cbranch_execz .LBB47_2725
; %bb.2716:                             ;   in Loop: Header=BB47_17 Depth=1
	v_cmp_gt_i16_sdwa vcc, v7, v31 src0_sel:BYTE_0 src1_sel:DWORD
                                        ; implicit-def: $vgpr64
	s_and_saveexec_b64 s[60:61], vcc
	s_xor_b64 s[74:75], exec, s[60:61]
	s_cbranch_execz .LBB47_2722
; %bb.2717:                             ;   in Loop: Header=BB47_17 Depth=1
	flat_load_ubyte v0, v[0:1]
	s_movk_i32 vcc_lo, 0x7f
	s_mov_b64 s[66:67], 0
                                        ; implicit-def: $sgpr70
	s_waitcnt vmcnt(0) lgkmcnt(0)
	v_cmp_lt_i16_e32 vcc, vcc_lo, v0
	s_and_saveexec_b64 s[60:61], vcc
	s_xor_b64 s[68:69], exec, s[60:61]
	s_cbranch_execnz .LBB47_3590
; %bb.2718:                             ;   in Loop: Header=BB47_17 Depth=1
	s_or_saveexec_b64 s[68:69], s[68:69]
	v_mov_b32_e32 v64, s70
	s_xor_b64 exec, exec, s[68:69]
	s_cbranch_execnz .LBB47_3593
.LBB47_2719:                            ;   in Loop: Header=BB47_17 Depth=1
	s_or_b64 exec, exec, s[68:69]
	s_and_saveexec_b64 s[68:69], s[66:67]
	s_cbranch_execz .LBB47_2721
.LBB47_2720:                            ;   in Loop: Header=BB47_17 Depth=1
	v_lshlrev_b32_e32 v1, 24, v0
	v_and_b32_e32 v0, 0xffff, v0
	v_and_b32_e32 v54, 3, v0
	v_ffbh_u32_e32 v65, v54
	v_min_u32_e32 v65, 32, v65
	v_subrev_u32_e32 v66, 29, v65
	v_bfe_u32 v64, v0, 2, 5
	v_lshlrev_b32_e32 v0, v66, v0
	v_sub_u32_e32 v65, 30, v65
	v_and_b32_e32 v0, 3, v0
	v_cmp_eq_u32_e32 vcc, 0, v64
	v_cndmask_b32_e32 v64, v64, v65, vcc
	v_cndmask_b32_e32 v0, v54, v0, vcc
	v_lshlrev_b32_e32 v0, 21, v0
	v_and_b32_e32 v1, 0x80000000, v1
	v_lshl_add_u32 v54, v64, 23, v32
	v_or3_b32 v64, v1, v54, v0
.LBB47_2721:                            ;   in Loop: Header=BB47_17 Depth=1
	s_or_b64 exec, exec, s[68:69]
                                        ; implicit-def: $vgpr0_vgpr1
.LBB47_2722:                            ;   in Loop: Header=BB47_17 Depth=1
	s_andn2_saveexec_b64 s[66:67], s[74:75]
	s_cbranch_execz .LBB47_2724
; %bb.2723:                             ;   in Loop: Header=BB47_17 Depth=1
	flat_load_ubyte v0, v[0:1]
	s_mov_b32 vcc_lo, 0x7f800000
	s_waitcnt vmcnt(0) lgkmcnt(0)
	v_lshlrev_b32_e32 v0, 24, v0
	v_and_b32_e32 v1, 0x7f000000, v0
	v_ffbh_u32_e32 v54, v1
	v_min_u32_e32 v54, 32, v54
	v_sub_u32_e64 v54, v54, 4 clamp
	v_lshlrev_b32_e32 v65, v54, v1
	v_lshlrev_b32_e32 v54, 23, v54
	v_lshrrev_b32_e32 v65, 4, v65
	v_add_u32_e32 v64, 0x1000000, v1
	v_sub_u32_e32 v54, v65, v54
	v_ashrrev_i32_e32 v64, 8, v64
	v_add_u32_e32 v54, 0x3c000000, v54
	v_and_or_b32 v54, v64, vcc_lo, v54
	v_cmp_ne_u32_e32 vcc, 0, v1
	v_cndmask_b32_e32 v1, 0, v54, vcc
	s_brev_b32 vcc_lo, 1
	v_and_or_b32 v64, v0, vcc_lo, v1
.LBB47_2724:                            ;   in Loop: Header=BB47_17 Depth=1
	s_or_b64 exec, exec, s[66:67]
                                        ; implicit-def: $vgpr0_vgpr1
.LBB47_2725:                            ;   in Loop: Header=BB47_17 Depth=1
	s_andn2_saveexec_b64 s[66:67], s[86:87]
	s_cbranch_execz .LBB47_2727
; %bb.2726:                             ;   in Loop: Header=BB47_17 Depth=1
	flat_load_ubyte v0, v[0:1]
	s_movk_i32 vcc_lo, 0x7f00
	s_waitcnt vmcnt(0) lgkmcnt(0)
	v_lshlrev_b16_e32 v1, 8, v0
	v_lshlrev_b32_e32 v0, 25, v0
	v_lshrrev_b32_e32 v54, 4, v0
	v_and_or_b32 v64, v1, vcc_lo, 0.5
	v_or_b32_e32 v54, 0x70000000, v54
	s_brev_b32 vcc_lo, 16
	v_add_f32_e32 v64, -0.5, v64
	v_mul_f32_e32 v54, 0x7800000, v54
	v_cmp_gt_u32_e32 vcc, vcc_lo, v0
	v_cndmask_b32_e32 v0, v54, v64, vcc
	v_bfe_i32 v1, v1, 0, 16
	s_brev_b32 vcc_lo, 1
	v_and_or_b32 v64, v1, vcc_lo, v0
.LBB47_2727:                            ;   in Loop: Header=BB47_17 Depth=1
	s_or_b64 exec, exec, s[66:67]
	s_or_b64 s[74:75], s[94:95], exec
                                        ; implicit-def: $vgpr0_vgpr1
.LBB47_2728:                            ;   in Loop: Header=BB47_17 Depth=1
	s_or_saveexec_b64 s[72:73], s[72:73]
                                        ; implicit-def: $vcc
                                        ; implicit-def: $sgpr68_sgpr69
	s_xor_b64 exec, exec, s[72:73]
	s_cbranch_execz .LBB47_2738
; %bb.2729:                             ;   in Loop: Header=BB47_17 Depth=1
	v_cmp_gt_i16_sdwa vcc, v7, v33 src0_sel:BYTE_0 src1_sel:DWORD
	s_mov_b64 s[66:67], s[74:75]
                                        ; implicit-def: $sgpr68_sgpr69
                                        ; implicit-def: $sgpr76_sgpr77
                                        ; implicit-def: $vgpr64
	s_and_saveexec_b64 s[60:61], vcc
	s_xor_b64 vcc, exec, s[60:61]
	s_cbranch_execz .LBB47_2733
; %bb.2730:                             ;   in Loop: Header=BB47_17 Depth=1
	v_cmp_eq_u16_sdwa s[62:63], v7, v34 src0_sel:BYTE_0 src1_sel:DWORD
	s_mov_b64 s[66:67], s[74:75]
                                        ; implicit-def: $vgpr64
	s_and_saveexec_b64 s[60:61], s[62:63]
	s_cbranch_execz .LBB47_2732
; %bb.2731:                             ;   in Loop: Header=BB47_17 Depth=1
	flat_load_ushort v0, v[0:1]
	s_or_b64 s[66:67], s[74:75], exec
	s_waitcnt vmcnt(0) lgkmcnt(0)
	v_lshlrev_b32_e32 v64, 16, v0
.LBB47_2732:                            ;   in Loop: Header=BB47_17 Depth=1
	s_or_b64 exec, exec, s[60:61]
	s_andn2_b64 s[60:61], s[74:75], exec
	s_and_b64 s[62:63], s[66:67], exec
	s_mov_b64 s[76:77], -1
	s_mov_b64 s[68:69], 0
	s_or_b64 s[66:67], s[60:61], s[62:63]
                                        ; implicit-def: $vgpr0_vgpr1
.LBB47_2733:                            ;   in Loop: Header=BB47_17 Depth=1
	s_andn2_saveexec_b64 s[70:71], vcc
	s_cbranch_execz .LBB47_2737
; %bb.2734:                             ;   in Loop: Header=BB47_17 Depth=1
	v_cmp_eq_u16_sdwa s[62:63], v7, v35 src0_sel:BYTE_0 src1_sel:DWORD
	s_mov_b64 vcc, s[66:67]
                                        ; implicit-def: $vgpr64
	s_and_saveexec_b64 s[60:61], s[62:63]
	s_cbranch_execz .LBB47_2736
; %bb.2735:                             ;   in Loop: Header=BB47_17 Depth=1
	flat_load_ubyte v0, v[0:1]
	s_waitcnt vmcnt(0) lgkmcnt(0)
	v_cmp_ne_u16_e32 vcc, 0, v0
	v_cndmask_b32_e64 v64, 0, 1.0, vcc
	s_or_b64 vcc, s[66:67], exec
.LBB47_2736:                            ;   in Loop: Header=BB47_17 Depth=1
	s_or_b64 exec, exec, s[60:61]
	s_andn2_b64 s[60:61], s[66:67], exec
	s_and_b64 vcc, vcc, exec
	s_andn2_b64 s[68:69], s[68:69], exec
	s_or_b64 s[76:77], s[76:77], exec
	s_or_b64 s[66:67], s[60:61], vcc
.LBB47_2737:                            ;   in Loop: Header=BB47_17 Depth=1
	s_or_b64 exec, exec, s[70:71]
	s_andn2_b64 s[60:61], s[74:75], exec
	s_and_b64 s[62:63], s[66:67], exec
	s_and_b64 s[68:69], s[68:69], exec
	s_and_b64 vcc, s[76:77], exec
	s_or_b64 s[74:75], s[60:61], s[62:63]
.LBB47_2738:                            ;   in Loop: Header=BB47_17 Depth=1
	s_or_b64 exec, exec, s[72:73]
	s_andn2_b64 s[60:61], s[80:81], exec
	s_and_b64 s[62:63], s[68:69], exec
	s_or_b64 s[80:81], s[60:61], s[62:63]
	s_andn2_b64 s[60:61], s[78:79], exec
	s_and_b64 vcc, vcc, exec
	s_or_b64 s[78:79], s[60:61], vcc
	s_andn2_b64 vcc, s[94:95], exec
	s_and_b64 s[60:61], s[74:75], exec
	s_or_b64 s[94:95], vcc, s[60:61]
.LBB47_2739:                            ;   in Loop: Header=BB47_17 Depth=1
	s_or_b64 exec, exec, s[84:85]
	s_and_b64 s[86:87], s[80:81], exec
	s_and_b64 s[84:85], s[78:79], exec
	s_and_b64 vcc, s[94:95], exec
                                        ; implicit-def: $vgpr0_vgpr1
	s_andn2_saveexec_b64 s[78:79], s[92:93]
	s_cbranch_execz .LBB47_2564
.LBB47_2740:                            ;   in Loop: Header=BB47_17 Depth=1
	v_cmp_gt_i16_sdwa s[60:61], v7, v36 src0_sel:BYTE_0 src1_sel:DWORD
                                        ; implicit-def: $vgpr64
	s_and_saveexec_b64 s[62:63], s[60:61]
	s_xor_b64 s[72:73], exec, s[62:63]
	s_cbranch_execz .LBB47_2762
; %bb.2741:                             ;   in Loop: Header=BB47_17 Depth=1
	v_cmp_gt_i16_sdwa s[60:61], v7, v37 src0_sel:BYTE_0 src1_sel:DWORD
                                        ; implicit-def: $vgpr64
	s_and_saveexec_b64 s[62:63], s[60:61]
	s_xor_b64 s[66:67], exec, s[62:63]
	s_cbranch_execz .LBB47_2751
; %bb.2742:                             ;   in Loop: Header=BB47_17 Depth=1
	;; [unrolled: 6-line block ×4, first 2 shown]
	flat_load_dwordx2 v[0:1], v[0:1]
	s_waitcnt vmcnt(0) lgkmcnt(0)
	v_cvt_f32_f64_e32 v64, v[0:1]
                                        ; implicit-def: $vgpr0_vgpr1
.LBB47_2745:                            ;   in Loop: Header=BB47_17 Depth=1
	s_andn2_saveexec_b64 s[60:61], s[60:61]
	s_cbranch_execz .LBB47_2747
; %bb.2746:                             ;   in Loop: Header=BB47_17 Depth=1
	flat_load_dword v64, v[0:1]
.LBB47_2747:                            ;   in Loop: Header=BB47_17 Depth=1
	s_or_b64 exec, exec, s[60:61]
                                        ; implicit-def: $vgpr0_vgpr1
.LBB47_2748:                            ;   in Loop: Header=BB47_17 Depth=1
	s_andn2_saveexec_b64 s[60:61], s[68:69]
	s_cbranch_execz .LBB47_2750
; %bb.2749:                             ;   in Loop: Header=BB47_17 Depth=1
	flat_load_dword v0, v[0:1]
	s_waitcnt vmcnt(0) lgkmcnt(0)
	v_cvt_f32_f16_e32 v64, v0
.LBB47_2750:                            ;   in Loop: Header=BB47_17 Depth=1
	s_or_b64 exec, exec, s[60:61]
                                        ; implicit-def: $vgpr0_vgpr1
.LBB47_2751:                            ;   in Loop: Header=BB47_17 Depth=1
	s_andn2_saveexec_b64 s[66:67], s[66:67]
	s_cbranch_execz .LBB47_2761
; %bb.2752:                             ;   in Loop: Header=BB47_17 Depth=1
	v_cmp_gt_i16_sdwa s[60:61], v7, v48 src0_sel:BYTE_0 src1_sel:DWORD
                                        ; implicit-def: $vgpr64
	s_and_saveexec_b64 s[62:63], s[60:61]
	s_xor_b64 s[68:69], exec, s[62:63]
	s_cbranch_execz .LBB47_2758
; %bb.2753:                             ;   in Loop: Header=BB47_17 Depth=1
	v_cmp_gt_i16_sdwa s[60:61], v7, v49 src0_sel:BYTE_0 src1_sel:DWORD
                                        ; implicit-def: $vgpr64
	s_and_saveexec_b64 s[62:63], s[60:61]
	s_xor_b64 s[60:61], exec, s[62:63]
	s_cbranch_execz .LBB47_2755
; %bb.2754:                             ;   in Loop: Header=BB47_17 Depth=1
	flat_load_dwordx2 v[0:1], v[0:1]
	s_waitcnt vmcnt(0) lgkmcnt(0)
	v_cvt_f32_f64_e32 v64, v[0:1]
                                        ; implicit-def: $vgpr0_vgpr1
.LBB47_2755:                            ;   in Loop: Header=BB47_17 Depth=1
	s_andn2_saveexec_b64 s[60:61], s[60:61]
	s_cbranch_execz .LBB47_2757
; %bb.2756:                             ;   in Loop: Header=BB47_17 Depth=1
	s_waitcnt vmcnt(0) lgkmcnt(0)
	flat_load_dword v64, v[0:1]
.LBB47_2757:                            ;   in Loop: Header=BB47_17 Depth=1
	s_or_b64 exec, exec, s[60:61]
                                        ; implicit-def: $vgpr0_vgpr1
.LBB47_2758:                            ;   in Loop: Header=BB47_17 Depth=1
	s_andn2_saveexec_b64 s[60:61], s[68:69]
	s_cbranch_execz .LBB47_2760
; %bb.2759:                             ;   in Loop: Header=BB47_17 Depth=1
	flat_load_ushort v0, v[0:1]
	s_waitcnt vmcnt(0) lgkmcnt(0)
	v_cvt_f32_f16_e32 v64, v0
.LBB47_2760:                            ;   in Loop: Header=BB47_17 Depth=1
	s_or_b64 exec, exec, s[60:61]
.LBB47_2761:                            ;   in Loop: Header=BB47_17 Depth=1
	s_or_b64 exec, exec, s[66:67]
                                        ; implicit-def: $vgpr0_vgpr1
.LBB47_2762:                            ;   in Loop: Header=BB47_17 Depth=1
	s_andn2_saveexec_b64 s[72:73], s[72:73]
	s_cbranch_execz .LBB47_2780
; %bb.2763:                             ;   in Loop: Header=BB47_17 Depth=1
	v_cmp_gt_i16_sdwa s[60:61], v7, v50 src0_sel:BYTE_0 src1_sel:DWORD
                                        ; implicit-def: $vgpr64
	s_and_saveexec_b64 s[62:63], s[60:61]
	s_xor_b64 s[74:75], exec, s[62:63]
	s_cbranch_execz .LBB47_2773
; %bb.2764:                             ;   in Loop: Header=BB47_17 Depth=1
	v_cmp_gt_i16_sdwa s[60:61], v7, v51 src0_sel:BYTE_0 src1_sel:DWORD
                                        ; implicit-def: $vgpr64
	s_and_saveexec_b64 s[62:63], s[60:61]
	s_xor_b64 s[66:67], exec, s[62:63]
	;; [unrolled: 6-line block ×3, first 2 shown]
	s_cbranch_execz .LBB47_2767
; %bb.2766:                             ;   in Loop: Header=BB47_17 Depth=1
	flat_load_dwordx2 v[0:1], v[0:1]
	s_waitcnt vmcnt(0) lgkmcnt(0)
	v_xor_b32_e32 v64, v0, v1
	v_ffbh_i32_e32 v54, v1
	v_ashrrev_i32_e32 v64, 31, v64
	v_add_u32_e32 v54, -1, v54
	v_add_u32_e32 v64, 32, v64
	v_min_u32_e32 v54, v54, v64
	v_lshlrev_b64 v[0:1], v54, v[0:1]
	v_min_u32_e32 v0, 1, v0
	v_or_b32_e32 v0, v1, v0
	v_cvt_f32_i32_e32 v0, v0
	v_sub_u32_e32 v1, 32, v54
	v_ldexp_f32 v64, v0, v1
                                        ; implicit-def: $vgpr0_vgpr1
.LBB47_2767:                            ;   in Loop: Header=BB47_17 Depth=1
	s_andn2_saveexec_b64 s[60:61], s[68:69]
	s_cbranch_execz .LBB47_2769
; %bb.2768:                             ;   in Loop: Header=BB47_17 Depth=1
	flat_load_dword v0, v[0:1]
	s_waitcnt vmcnt(0) lgkmcnt(0)
	v_cvt_f32_i32_e32 v64, v0
.LBB47_2769:                            ;   in Loop: Header=BB47_17 Depth=1
	s_or_b64 exec, exec, s[60:61]
                                        ; implicit-def: $vgpr0_vgpr1
.LBB47_2770:                            ;   in Loop: Header=BB47_17 Depth=1
	s_andn2_saveexec_b64 s[60:61], s[66:67]
	s_cbranch_execz .LBB47_2772
; %bb.2771:                             ;   in Loop: Header=BB47_17 Depth=1
	flat_load_sshort v0, v[0:1]
	s_waitcnt vmcnt(0) lgkmcnt(0)
	v_cvt_f32_i32_e32 v64, v0
.LBB47_2772:                            ;   in Loop: Header=BB47_17 Depth=1
	s_or_b64 exec, exec, s[60:61]
                                        ; implicit-def: $vgpr0_vgpr1
.LBB47_2773:                            ;   in Loop: Header=BB47_17 Depth=1
	s_andn2_saveexec_b64 s[66:67], s[74:75]
	s_cbranch_execz .LBB47_2779
; %bb.2774:                             ;   in Loop: Header=BB47_17 Depth=1
	v_cmp_gt_i16_sdwa s[60:61], v7, v14 src0_sel:BYTE_0 src1_sel:DWORD
                                        ; implicit-def: $vgpr64
	s_and_saveexec_b64 s[62:63], s[60:61]
	s_xor_b64 s[60:61], exec, s[62:63]
	s_cbranch_execz .LBB47_2776
; %bb.2775:                             ;   in Loop: Header=BB47_17 Depth=1
	flat_load_sbyte v0, v[0:1]
	s_waitcnt vmcnt(0) lgkmcnt(0)
	v_cvt_f32_i32_e32 v64, v0
                                        ; implicit-def: $vgpr0_vgpr1
.LBB47_2776:                            ;   in Loop: Header=BB47_17 Depth=1
	s_andn2_saveexec_b64 s[60:61], s[60:61]
	s_cbranch_execz .LBB47_2778
; %bb.2777:                             ;   in Loop: Header=BB47_17 Depth=1
	flat_load_ubyte v0, v[0:1]
	s_waitcnt vmcnt(0) lgkmcnt(0)
	v_cvt_f32_ubyte0_e32 v64, v0
.LBB47_2778:                            ;   in Loop: Header=BB47_17 Depth=1
	s_or_b64 exec, exec, s[60:61]
.LBB47_2779:                            ;   in Loop: Header=BB47_17 Depth=1
	s_or_b64 exec, exec, s[66:67]
.LBB47_2780:                            ;   in Loop: Header=BB47_17 Depth=1
	s_or_b64 exec, exec, s[72:73]
	s_andn2_b64 s[86:87], s[86:87], exec
	s_andn2_b64 s[84:85], s[84:85], exec
	s_or_b64 vcc, vcc, exec
	s_or_b64 exec, exec, s[78:79]
	s_mov_b64 s[66:67], 0
	s_and_saveexec_b64 s[92:93], vcc
	s_cbranch_execz .LBB47_2886
.LBB47_2781:                            ;   in Loop: Header=BB47_17 Depth=1
	v_mul_lo_u32 v0, v55, v10
	v_readlane_b32 s60, v44, 0
	v_add_co_u32_e32 v0, vcc, v4, v0
	v_add_u32_e32 v54, s60, v15
	v_addc_co_u32_e32 v1, vcc, 0, v5, vcc
	v_cmp_gt_i16_sdwa s[60:61], v8, v16 src0_sel:BYTE_0 src1_sel:DWORD
	s_mov_b64 s[78:79], 0
	s_waitcnt vmcnt(0) lgkmcnt(0)
	buffer_store_dword v64, v54, s[0:3], 0 offen offset:100
                                        ; implicit-def: $vcc
                                        ; implicit-def: $sgpr96_sgpr97
                                        ; implicit-def: $vgpr55
	s_and_saveexec_b64 s[62:63], s[60:61]
	s_xor_b64 s[62:63], exec, s[62:63]
	v_writelane_b32 v44, s62, 24
	v_writelane_b32 v44, s63, 25
	s_cbranch_execz .LBB47_2841
; %bb.2782:                             ;   in Loop: Header=BB47_17 Depth=1
	v_cmp_gt_i16_sdwa vcc, v8, v17 src0_sel:BYTE_0 src1_sel:DWORD
                                        ; implicit-def: $sgpr80_sgpr81
                                        ; implicit-def: $sgpr96_sgpr97
                                        ; implicit-def: $vgpr55
	s_and_saveexec_b64 s[60:61], vcc
	s_xor_b64 s[76:77], exec, s[60:61]
	s_cbranch_execz .LBB47_2814
; %bb.2783:                             ;   in Loop: Header=BB47_17 Depth=1
	v_cmp_gt_i16_sdwa vcc, v8, v18 src0_sel:BYTE_0 src1_sel:DWORD
                                        ; implicit-def: $sgpr72_sgpr73
                                        ; implicit-def: $sgpr94_sgpr95
                                        ; implicit-def: $vgpr55
	s_and_saveexec_b64 s[60:61], vcc
	s_xor_b64 s[80:81], exec, s[60:61]
	s_cbranch_execz .LBB47_2799
; %bb.2784:                             ;   in Loop: Header=BB47_17 Depth=1
	v_cmp_gt_i16_sdwa s[60:61], v8, v19 src0_sel:BYTE_0 src1_sel:DWORD
	s_mov_b64 s[74:75], 0
                                        ; implicit-def: $vcc
                                        ; implicit-def: $sgpr94_sgpr95
                                        ; implicit-def: $vgpr55
	s_and_saveexec_b64 s[62:63], s[60:61]
	s_xor_b64 s[72:73], exec, s[62:63]
	s_cbranch_execz .LBB47_2794
; %bb.2785:                             ;   in Loop: Header=BB47_17 Depth=1
	v_cmp_gt_i16_sdwa vcc, v8, v20 src0_sel:BYTE_0 src1_sel:DWORD
                                        ; implicit-def: $sgpr94_sgpr95
                                        ; implicit-def: $sgpr74_sgpr75
                                        ; implicit-def: $vgpr55
	s_and_saveexec_b64 s[60:61], vcc
	s_xor_b64 vcc, exec, s[60:61]
	s_cbranch_execz .LBB47_2789
; %bb.2786:                             ;   in Loop: Header=BB47_17 Depth=1
	v_cmp_eq_u16_sdwa s[62:63], v8, v21 src0_sel:BYTE_0 src1_sel:DWORD
	s_mov_b64 s[74:75], 0
                                        ; implicit-def: $vgpr55
	s_and_saveexec_b64 s[60:61], s[62:63]
	s_cbranch_execz .LBB47_2788
; %bb.2787:                             ;   in Loop: Header=BB47_17 Depth=1
	flat_load_dword v0, v[0:1]
	s_mov_b64 s[66:67], exec
	s_waitcnt vmcnt(0) lgkmcnt(0)
	v_lshlrev_b32_e32 v55, 16, v0
.LBB47_2788:                            ;   in Loop: Header=BB47_17 Depth=1
	s_or_b64 exec, exec, s[60:61]
	s_mov_b64 s[94:95], -1
	s_and_b64 s[78:79], s[66:67], exec
                                        ; implicit-def: $vgpr0_vgpr1
.LBB47_2789:                            ;   in Loop: Header=BB47_17 Depth=1
	s_andn2_saveexec_b64 s[66:67], vcc
	s_cbranch_execz .LBB47_2793
; %bb.2790:                             ;   in Loop: Header=BB47_17 Depth=1
	v_cmp_eq_u16_sdwa s[60:61], v8, v22 src0_sel:BYTE_0 src1_sel:DWORD
	s_mov_b64 vcc, s[78:79]
                                        ; implicit-def: $vgpr55
	s_and_saveexec_b64 s[68:69], s[60:61]
	s_cbranch_execz .LBB47_2792
; %bb.2791:                             ;   in Loop: Header=BB47_17 Depth=1
	flat_load_ubyte v0, v[0:1]
	s_movk_i32 vcc_lo, 0xff
	s_waitcnt vmcnt(0) lgkmcnt(0)
	v_lshlrev_b32_e32 v1, 23, v0
	v_cmp_ne_u32_e32 vcc, vcc_lo, v0
	v_cndmask_b32_e32 v1, v23, v1, vcc
	v_cmp_ne_u32_e32 vcc, 0, v0
	v_cndmask_b32_e32 v55, v24, v1, vcc
	s_or_b64 vcc, s[78:79], exec
.LBB47_2792:                            ;   in Loop: Header=BB47_17 Depth=1
	s_or_b64 exec, exec, s[68:69]
	s_andn2_b64 s[60:61], s[78:79], exec
	s_and_b64 vcc, vcc, exec
	s_or_b64 s[94:95], s[94:95], exec
	s_andn2_b64 s[74:75], s[74:75], exec
	s_or_b64 s[78:79], s[60:61], vcc
.LBB47_2793:                            ;   in Loop: Header=BB47_17 Depth=1
	s_or_b64 exec, exec, s[66:67]
	s_and_b64 s[94:95], s[94:95], exec
	s_and_b64 vcc, s[74:75], exec
	s_and_b64 s[74:75], s[78:79], exec
                                        ; implicit-def: $vgpr0_vgpr1
.LBB47_2794:                            ;   in Loop: Header=BB47_17 Depth=1
	s_andn2_saveexec_b64 s[66:67], s[72:73]
	s_cbranch_execz .LBB47_2798
; %bb.2795:                             ;   in Loop: Header=BB47_17 Depth=1
	v_cmp_eq_u16_sdwa s[60:61], v8, v25 src0_sel:BYTE_0 src1_sel:DWORD
	s_mov_b64 s[70:71], s[74:75]
                                        ; implicit-def: $vgpr55
	s_and_saveexec_b64 s[68:69], s[60:61]
	s_cbranch_execz .LBB47_2797
; %bb.2796:                             ;   in Loop: Header=BB47_17 Depth=1
	flat_load_dwordx2 v[0:1], v[0:1]
	s_or_b64 s[70:71], s[74:75], exec
	s_waitcnt vmcnt(0) lgkmcnt(0)
	v_ffbh_u32_e32 v55, v1
	v_min_u32_e32 v55, 32, v55
	s_waitcnt vmcnt(0) expcnt(0) lgkmcnt(0)
	v_swap_b32 v2, v55
	v_lshlrev_b64 v[0:1], v2, v[0:1]
	v_swap_b32 v55, v2
	v_min_u32_e32 v0, 1, v0
	v_or_b32_e32 v0, v1, v0
	v_cvt_f32_u32_e32 v0, v0
	v_sub_u32_e32 v1, 32, v55
	v_ldexp_f32 v55, v0, v1
.LBB47_2797:                            ;   in Loop: Header=BB47_17 Depth=1
	s_or_b64 exec, exec, s[68:69]
	s_andn2_b64 s[60:61], s[74:75], exec
	s_and_b64 s[62:63], s[70:71], exec
	s_or_b64 s[94:95], s[94:95], exec
	s_andn2_b64 vcc, vcc, exec
	s_or_b64 s[74:75], s[60:61], s[62:63]
.LBB47_2798:                            ;   in Loop: Header=BB47_17 Depth=1
	s_or_b64 exec, exec, s[66:67]
	s_and_b64 s[94:95], s[94:95], exec
	s_and_b64 s[72:73], vcc, exec
	s_and_b64 s[78:79], s[74:75], exec
                                        ; implicit-def: $vgpr0_vgpr1
.LBB47_2799:                            ;   in Loop: Header=BB47_17 Depth=1
	s_andn2_saveexec_b64 s[80:81], s[80:81]
	s_cbranch_execz .LBB47_2813
; %bb.2800:                             ;   in Loop: Header=BB47_17 Depth=1
	v_cmp_gt_i16_sdwa vcc, v8, v26 src0_sel:BYTE_0 src1_sel:DWORD
                                        ; implicit-def: $vgpr55
	s_and_saveexec_b64 s[60:61], vcc
	s_xor_b64 vcc, exec, s[60:61]
	s_cbranch_execz .LBB47_2806
; %bb.2801:                             ;   in Loop: Header=BB47_17 Depth=1
	v_cmp_gt_i16_sdwa s[60:61], v8, v27 src0_sel:BYTE_0 src1_sel:DWORD
                                        ; implicit-def: $vgpr55
	s_and_saveexec_b64 s[62:63], s[60:61]
	s_xor_b64 s[60:61], exec, s[62:63]
	s_cbranch_execz .LBB47_2803
; %bb.2802:                             ;   in Loop: Header=BB47_17 Depth=1
	flat_load_dword v0, v[0:1]
	s_waitcnt vmcnt(0) lgkmcnt(0)
	v_cvt_f32_u32_e32 v55, v0
                                        ; implicit-def: $vgpr0_vgpr1
.LBB47_2803:                            ;   in Loop: Header=BB47_17 Depth=1
	s_andn2_saveexec_b64 s[60:61], s[60:61]
	s_cbranch_execz .LBB47_2805
; %bb.2804:                             ;   in Loop: Header=BB47_17 Depth=1
	flat_load_ushort v0, v[0:1]
	s_waitcnt vmcnt(0) lgkmcnt(0)
	v_cvt_f32_u32_e32 v55, v0
.LBB47_2805:                            ;   in Loop: Header=BB47_17 Depth=1
	s_or_b64 exec, exec, s[60:61]
                                        ; implicit-def: $vgpr0_vgpr1
.LBB47_2806:                            ;   in Loop: Header=BB47_17 Depth=1
	s_andn2_saveexec_b64 s[74:75], vcc
	s_cbranch_execz .LBB47_2812
; %bb.2807:                             ;   in Loop: Header=BB47_17 Depth=1
	flat_load_ubyte v0, v[0:1]
	s_movk_i32 vcc_lo, 0x7f
	s_mov_b64 s[66:67], 0
                                        ; implicit-def: $sgpr70
	s_waitcnt vmcnt(0) lgkmcnt(0)
	v_cmp_lt_i16_e32 vcc, vcc_lo, v0
	s_and_saveexec_b64 s[60:61], vcc
	s_xor_b64 s[68:69], exec, s[60:61]
	s_cbranch_execnz .LBB47_3594
; %bb.2808:                             ;   in Loop: Header=BB47_17 Depth=1
	s_or_saveexec_b64 s[68:69], s[68:69]
	v_mov_b32_e32 v55, s70
	s_xor_b64 exec, exec, s[68:69]
	s_cbranch_execnz .LBB47_3597
.LBB47_2809:                            ;   in Loop: Header=BB47_17 Depth=1
	s_or_b64 exec, exec, s[68:69]
	s_and_saveexec_b64 s[68:69], s[66:67]
	s_cbranch_execz .LBB47_2811
.LBB47_2810:                            ;   in Loop: Header=BB47_17 Depth=1
	v_lshlrev_b32_e32 v1, 24, v0
	v_and_b32_e32 v0, 0xffff, v0
	v_and_b32_e32 v55, 7, v0
	v_ffbh_u32_e32 v65, v55
	v_min_u32_e32 v65, 32, v65
	v_subrev_u32_e32 v66, 28, v65
	v_bfe_u32 v64, v0, 3, 4
	v_lshlrev_b32_e32 v0, v66, v0
	v_sub_u32_e32 v65, 29, v65
	v_and_b32_e32 v0, 7, v0
	v_cmp_eq_u32_e32 vcc, 0, v64
	v_cndmask_b32_e32 v64, v64, v65, vcc
	v_cndmask_b32_e32 v0, v55, v0, vcc
	v_lshlrev_b32_e32 v0, 20, v0
	v_and_b32_e32 v1, 0x80000000, v1
	v_lshl_add_u32 v55, v64, 23, v28
	v_or3_b32 v55, v1, v55, v0
.LBB47_2811:                            ;   in Loop: Header=BB47_17 Depth=1
	s_or_b64 exec, exec, s[68:69]
.LBB47_2812:                            ;   in Loop: Header=BB47_17 Depth=1
	s_or_b64 exec, exec, s[74:75]
	s_andn2_b64 s[94:95], s[94:95], exec
	s_andn2_b64 s[72:73], s[72:73], exec
	s_or_b64 s[78:79], s[78:79], exec
.LBB47_2813:                            ;   in Loop: Header=BB47_17 Depth=1
	s_or_b64 exec, exec, s[80:81]
	s_and_b64 s[96:97], s[94:95], exec
	s_and_b64 s[80:81], s[72:73], exec
	;; [unrolled: 1-line block ×3, first 2 shown]
                                        ; implicit-def: $vgpr0_vgpr1
.LBB47_2814:                            ;   in Loop: Header=BB47_17 Depth=1
	s_andn2_saveexec_b64 s[94:95], s[76:77]
	s_cbranch_execz .LBB47_2840
; %bb.2815:                             ;   in Loop: Header=BB47_17 Depth=1
	v_cmp_gt_i16_sdwa vcc, v8, v29 src0_sel:BYTE_0 src1_sel:DWORD
	s_mov_b64 s[74:75], s[78:79]
                                        ; implicit-def: $vgpr55
	s_and_saveexec_b64 s[60:61], vcc
	s_xor_b64 s[72:73], exec, s[60:61]
	s_cbranch_execz .LBB47_2829
; %bb.2816:                             ;   in Loop: Header=BB47_17 Depth=1
	v_cmp_gt_i16_sdwa vcc, v8, v30 src0_sel:BYTE_0 src1_sel:DWORD
                                        ; implicit-def: $vgpr55
	s_and_saveexec_b64 s[60:61], vcc
	s_xor_b64 s[62:63], exec, s[60:61]
	s_cbranch_execz .LBB47_2826
; %bb.2817:                             ;   in Loop: Header=BB47_17 Depth=1
	v_cmp_gt_i16_sdwa vcc, v8, v31 src0_sel:BYTE_0 src1_sel:DWORD
                                        ; implicit-def: $vgpr55
	s_and_saveexec_b64 s[60:61], vcc
	s_xor_b64 s[74:75], exec, s[60:61]
	s_cbranch_execz .LBB47_2823
; %bb.2818:                             ;   in Loop: Header=BB47_17 Depth=1
	flat_load_ubyte v0, v[0:1]
	s_movk_i32 vcc_lo, 0x7f
	s_mov_b64 s[66:67], 0
                                        ; implicit-def: $sgpr70
	s_waitcnt vmcnt(0) lgkmcnt(0)
	v_cmp_lt_i16_e32 vcc, vcc_lo, v0
	s_and_saveexec_b64 s[60:61], vcc
	s_xor_b64 s[68:69], exec, s[60:61]
	s_cbranch_execnz .LBB47_3602
; %bb.2819:                             ;   in Loop: Header=BB47_17 Depth=1
	s_or_saveexec_b64 s[68:69], s[68:69]
	v_mov_b32_e32 v55, s70
	s_xor_b64 exec, exec, s[68:69]
	s_cbranch_execnz .LBB47_3605
.LBB47_2820:                            ;   in Loop: Header=BB47_17 Depth=1
	s_or_b64 exec, exec, s[68:69]
	s_and_saveexec_b64 s[68:69], s[66:67]
	s_cbranch_execz .LBB47_2822
.LBB47_2821:                            ;   in Loop: Header=BB47_17 Depth=1
	v_lshlrev_b32_e32 v1, 24, v0
	v_and_b32_e32 v0, 0xffff, v0
	v_and_b32_e32 v55, 3, v0
	v_ffbh_u32_e32 v65, v55
	v_min_u32_e32 v65, 32, v65
	v_subrev_u32_e32 v66, 29, v65
	v_bfe_u32 v64, v0, 2, 5
	v_lshlrev_b32_e32 v0, v66, v0
	v_sub_u32_e32 v65, 30, v65
	v_and_b32_e32 v0, 3, v0
	v_cmp_eq_u32_e32 vcc, 0, v64
	v_cndmask_b32_e32 v64, v64, v65, vcc
	v_cndmask_b32_e32 v0, v55, v0, vcc
	v_lshlrev_b32_e32 v0, 21, v0
	v_and_b32_e32 v1, 0x80000000, v1
	v_lshl_add_u32 v55, v64, 23, v32
	v_or3_b32 v55, v1, v55, v0
.LBB47_2822:                            ;   in Loop: Header=BB47_17 Depth=1
	s_or_b64 exec, exec, s[68:69]
                                        ; implicit-def: $vgpr0_vgpr1
.LBB47_2823:                            ;   in Loop: Header=BB47_17 Depth=1
	s_andn2_saveexec_b64 s[66:67], s[74:75]
	s_cbranch_execz .LBB47_2825
; %bb.2824:                             ;   in Loop: Header=BB47_17 Depth=1
	flat_load_ubyte v0, v[0:1]
	s_mov_b32 vcc_lo, 0x7f800000
	s_waitcnt vmcnt(0) lgkmcnt(0)
	v_lshlrev_b32_e32 v0, 24, v0
	v_and_b32_e32 v1, 0x7f000000, v0
	v_ffbh_u32_e32 v55, v1
	v_min_u32_e32 v55, 32, v55
	v_sub_u32_e64 v55, v55, 4 clamp
	v_lshlrev_b32_e32 v65, v55, v1
	v_lshlrev_b32_e32 v55, 23, v55
	v_lshrrev_b32_e32 v65, 4, v65
	v_add_u32_e32 v64, 0x1000000, v1
	v_sub_u32_e32 v55, v65, v55
	v_ashrrev_i32_e32 v64, 8, v64
	v_add_u32_e32 v55, 0x3c000000, v55
	v_and_or_b32 v55, v64, vcc_lo, v55
	v_cmp_ne_u32_e32 vcc, 0, v1
	v_cndmask_b32_e32 v1, 0, v55, vcc
	s_brev_b32 vcc_lo, 1
	v_and_or_b32 v55, v0, vcc_lo, v1
.LBB47_2825:                            ;   in Loop: Header=BB47_17 Depth=1
	s_or_b64 exec, exec, s[66:67]
                                        ; implicit-def: $vgpr0_vgpr1
.LBB47_2826:                            ;   in Loop: Header=BB47_17 Depth=1
	s_andn2_saveexec_b64 s[66:67], s[62:63]
	s_cbranch_execz .LBB47_2828
; %bb.2827:                             ;   in Loop: Header=BB47_17 Depth=1
	flat_load_ubyte v0, v[0:1]
	s_movk_i32 vcc_lo, 0x7f00
	s_waitcnt vmcnt(0) lgkmcnt(0)
	v_lshlrev_b16_e32 v1, 8, v0
	v_lshlrev_b32_e32 v0, 25, v0
	v_lshrrev_b32_e32 v55, 4, v0
	v_and_or_b32 v64, v1, vcc_lo, 0.5
	v_or_b32_e32 v55, 0x70000000, v55
	s_brev_b32 vcc_lo, 16
	v_add_f32_e32 v64, -0.5, v64
	v_mul_f32_e32 v55, 0x7800000, v55
	v_cmp_gt_u32_e32 vcc, vcc_lo, v0
	v_cndmask_b32_e32 v0, v55, v64, vcc
	v_bfe_i32 v1, v1, 0, 16
	s_brev_b32 vcc_lo, 1
	v_and_or_b32 v55, v1, vcc_lo, v0
.LBB47_2828:                            ;   in Loop: Header=BB47_17 Depth=1
	s_or_b64 exec, exec, s[66:67]
	s_or_b64 s[74:75], s[78:79], exec
                                        ; implicit-def: $vgpr0_vgpr1
.LBB47_2829:                            ;   in Loop: Header=BB47_17 Depth=1
	s_or_saveexec_b64 s[72:73], s[72:73]
                                        ; implicit-def: $vcc
                                        ; implicit-def: $sgpr68_sgpr69
	s_xor_b64 exec, exec, s[72:73]
	s_cbranch_execz .LBB47_2839
; %bb.2830:                             ;   in Loop: Header=BB47_17 Depth=1
	v_cmp_gt_i16_sdwa vcc, v8, v33 src0_sel:BYTE_0 src1_sel:DWORD
	s_mov_b64 s[66:67], s[74:75]
                                        ; implicit-def: $sgpr68_sgpr69
                                        ; implicit-def: $sgpr76_sgpr77
                                        ; implicit-def: $vgpr55
	s_and_saveexec_b64 s[60:61], vcc
	s_xor_b64 vcc, exec, s[60:61]
	s_cbranch_execz .LBB47_2834
; %bb.2831:                             ;   in Loop: Header=BB47_17 Depth=1
	v_cmp_eq_u16_sdwa s[62:63], v8, v34 src0_sel:BYTE_0 src1_sel:DWORD
	s_mov_b64 s[66:67], s[74:75]
                                        ; implicit-def: $vgpr55
	s_and_saveexec_b64 s[60:61], s[62:63]
	s_cbranch_execz .LBB47_2833
; %bb.2832:                             ;   in Loop: Header=BB47_17 Depth=1
	flat_load_ushort v0, v[0:1]
	s_or_b64 s[66:67], s[74:75], exec
	s_waitcnt vmcnt(0) lgkmcnt(0)
	v_lshlrev_b32_e32 v55, 16, v0
.LBB47_2833:                            ;   in Loop: Header=BB47_17 Depth=1
	s_or_b64 exec, exec, s[60:61]
	s_andn2_b64 s[60:61], s[74:75], exec
	s_and_b64 s[62:63], s[66:67], exec
	s_mov_b64 s[76:77], 0
	s_mov_b64 s[68:69], -1
	s_or_b64 s[66:67], s[60:61], s[62:63]
                                        ; implicit-def: $vgpr0_vgpr1
.LBB47_2834:                            ;   in Loop: Header=BB47_17 Depth=1
	s_andn2_saveexec_b64 s[70:71], vcc
	s_cbranch_execz .LBB47_2838
; %bb.2835:                             ;   in Loop: Header=BB47_17 Depth=1
	v_cmp_eq_u16_sdwa s[62:63], v8, v35 src0_sel:BYTE_0 src1_sel:DWORD
	s_mov_b64 vcc, s[66:67]
                                        ; implicit-def: $vgpr55
	s_and_saveexec_b64 s[60:61], s[62:63]
	s_cbranch_execz .LBB47_2837
; %bb.2836:                             ;   in Loop: Header=BB47_17 Depth=1
	flat_load_ubyte v0, v[0:1]
	s_waitcnt vmcnt(0) lgkmcnt(0)
	v_cmp_ne_u16_e32 vcc, 0, v0
	v_cndmask_b32_e64 v55, 0, 1.0, vcc
	s_or_b64 vcc, s[66:67], exec
.LBB47_2837:                            ;   in Loop: Header=BB47_17 Depth=1
	s_or_b64 exec, exec, s[60:61]
	s_andn2_b64 s[60:61], s[66:67], exec
	s_and_b64 vcc, vcc, exec
	s_or_b64 s[68:69], s[68:69], exec
	s_andn2_b64 s[76:77], s[76:77], exec
	s_or_b64 s[66:67], s[60:61], vcc
.LBB47_2838:                            ;   in Loop: Header=BB47_17 Depth=1
	s_or_b64 exec, exec, s[70:71]
	s_andn2_b64 s[60:61], s[74:75], exec
	s_and_b64 s[62:63], s[66:67], exec
	s_and_b64 s[68:69], s[68:69], exec
	s_and_b64 vcc, s[76:77], exec
	s_or_b64 s[74:75], s[60:61], s[62:63]
.LBB47_2839:                            ;   in Loop: Header=BB47_17 Depth=1
	s_or_b64 exec, exec, s[72:73]
	s_andn2_b64 s[60:61], s[96:97], exec
	s_and_b64 s[62:63], s[68:69], exec
	s_or_b64 s[96:97], s[60:61], s[62:63]
	s_andn2_b64 s[60:61], s[80:81], exec
	s_and_b64 vcc, vcc, exec
	s_or_b64 s[80:81], s[60:61], vcc
	s_andn2_b64 vcc, s[78:79], exec
	s_and_b64 s[60:61], s[74:75], exec
	s_or_b64 s[78:79], vcc, s[60:61]
.LBB47_2840:                            ;   in Loop: Header=BB47_17 Depth=1
	s_or_b64 exec, exec, s[94:95]
	s_and_b64 s[96:97], s[96:97], exec
	s_and_b64 vcc, s[80:81], exec
	s_and_b64 s[78:79], s[78:79], exec
                                        ; implicit-def: $vgpr0_vgpr1
.LBB47_2841:                            ;   in Loop: Header=BB47_17 Depth=1
	v_readlane_b32 s60, v44, 24
	v_readlane_b32 s61, v44, 25
	s_andn2_saveexec_b64 s[80:81], s[60:61]
	s_cbranch_execz .LBB47_2883
; %bb.2842:                             ;   in Loop: Header=BB47_17 Depth=1
	v_cmp_gt_i16_sdwa s[60:61], v8, v36 src0_sel:BYTE_0 src1_sel:DWORD
                                        ; implicit-def: $vgpr55
	s_and_saveexec_b64 s[62:63], s[60:61]
	s_xor_b64 s[72:73], exec, s[62:63]
	s_cbranch_execz .LBB47_2864
; %bb.2843:                             ;   in Loop: Header=BB47_17 Depth=1
	v_cmp_gt_i16_sdwa s[60:61], v8, v37 src0_sel:BYTE_0 src1_sel:DWORD
                                        ; implicit-def: $vgpr55
	s_and_saveexec_b64 s[62:63], s[60:61]
	s_xor_b64 s[66:67], exec, s[62:63]
	;; [unrolled: 6-line block ×4, first 2 shown]
	s_cbranch_execz .LBB47_2847
; %bb.2846:                             ;   in Loop: Header=BB47_17 Depth=1
	flat_load_dwordx2 v[0:1], v[0:1]
	s_waitcnt vmcnt(0) lgkmcnt(0)
	v_cvt_f32_f64_e32 v55, v[0:1]
                                        ; implicit-def: $vgpr0_vgpr1
.LBB47_2847:                            ;   in Loop: Header=BB47_17 Depth=1
	s_andn2_saveexec_b64 s[60:61], s[60:61]
	s_cbranch_execz .LBB47_2849
; %bb.2848:                             ;   in Loop: Header=BB47_17 Depth=1
	flat_load_dword v55, v[0:1]
.LBB47_2849:                            ;   in Loop: Header=BB47_17 Depth=1
	s_or_b64 exec, exec, s[60:61]
                                        ; implicit-def: $vgpr0_vgpr1
.LBB47_2850:                            ;   in Loop: Header=BB47_17 Depth=1
	s_andn2_saveexec_b64 s[60:61], s[68:69]
	s_cbranch_execz .LBB47_2852
; %bb.2851:                             ;   in Loop: Header=BB47_17 Depth=1
	flat_load_dword v0, v[0:1]
	s_waitcnt vmcnt(0) lgkmcnt(0)
	v_cvt_f32_f16_e32 v55, v0
.LBB47_2852:                            ;   in Loop: Header=BB47_17 Depth=1
	s_or_b64 exec, exec, s[60:61]
                                        ; implicit-def: $vgpr0_vgpr1
.LBB47_2853:                            ;   in Loop: Header=BB47_17 Depth=1
	s_andn2_saveexec_b64 s[66:67], s[66:67]
	s_cbranch_execz .LBB47_2863
; %bb.2854:                             ;   in Loop: Header=BB47_17 Depth=1
	v_cmp_gt_i16_sdwa s[60:61], v8, v48 src0_sel:BYTE_0 src1_sel:DWORD
                                        ; implicit-def: $vgpr55
	s_and_saveexec_b64 s[62:63], s[60:61]
	s_xor_b64 s[68:69], exec, s[62:63]
	s_cbranch_execz .LBB47_2860
; %bb.2855:                             ;   in Loop: Header=BB47_17 Depth=1
	v_cmp_gt_i16_sdwa s[60:61], v8, v49 src0_sel:BYTE_0 src1_sel:DWORD
                                        ; implicit-def: $vgpr55
	s_and_saveexec_b64 s[62:63], s[60:61]
	s_xor_b64 s[60:61], exec, s[62:63]
	s_cbranch_execz .LBB47_2857
; %bb.2856:                             ;   in Loop: Header=BB47_17 Depth=1
	flat_load_dwordx2 v[0:1], v[0:1]
	s_waitcnt vmcnt(0) lgkmcnt(0)
	v_cvt_f32_f64_e32 v55, v[0:1]
                                        ; implicit-def: $vgpr0_vgpr1
.LBB47_2857:                            ;   in Loop: Header=BB47_17 Depth=1
	s_andn2_saveexec_b64 s[60:61], s[60:61]
	s_cbranch_execz .LBB47_2859
; %bb.2858:                             ;   in Loop: Header=BB47_17 Depth=1
	s_waitcnt vmcnt(0) lgkmcnt(0)
	flat_load_dword v55, v[0:1]
.LBB47_2859:                            ;   in Loop: Header=BB47_17 Depth=1
	s_or_b64 exec, exec, s[60:61]
                                        ; implicit-def: $vgpr0_vgpr1
.LBB47_2860:                            ;   in Loop: Header=BB47_17 Depth=1
	s_andn2_saveexec_b64 s[60:61], s[68:69]
	s_cbranch_execz .LBB47_2862
; %bb.2861:                             ;   in Loop: Header=BB47_17 Depth=1
	flat_load_ushort v0, v[0:1]
	s_waitcnt vmcnt(0) lgkmcnt(0)
	v_cvt_f32_f16_e32 v55, v0
.LBB47_2862:                            ;   in Loop: Header=BB47_17 Depth=1
	s_or_b64 exec, exec, s[60:61]
.LBB47_2863:                            ;   in Loop: Header=BB47_17 Depth=1
	s_or_b64 exec, exec, s[66:67]
                                        ; implicit-def: $vgpr0_vgpr1
.LBB47_2864:                            ;   in Loop: Header=BB47_17 Depth=1
	s_andn2_saveexec_b64 s[72:73], s[72:73]
	s_cbranch_execz .LBB47_2882
; %bb.2865:                             ;   in Loop: Header=BB47_17 Depth=1
	v_cmp_gt_i16_sdwa s[60:61], v8, v50 src0_sel:BYTE_0 src1_sel:DWORD
                                        ; implicit-def: $vgpr55
	s_and_saveexec_b64 s[62:63], s[60:61]
	s_xor_b64 s[74:75], exec, s[62:63]
	s_cbranch_execz .LBB47_2875
; %bb.2866:                             ;   in Loop: Header=BB47_17 Depth=1
	v_cmp_gt_i16_sdwa s[60:61], v8, v51 src0_sel:BYTE_0 src1_sel:DWORD
                                        ; implicit-def: $vgpr55
	s_and_saveexec_b64 s[62:63], s[60:61]
	s_xor_b64 s[66:67], exec, s[62:63]
	;; [unrolled: 6-line block ×3, first 2 shown]
	s_cbranch_execz .LBB47_2869
; %bb.2868:                             ;   in Loop: Header=BB47_17 Depth=1
	flat_load_dwordx2 v[0:1], v[0:1]
	s_waitcnt vmcnt(0) lgkmcnt(0)
	v_xor_b32_e32 v64, v0, v1
	v_ffbh_i32_e32 v55, v1
	v_ashrrev_i32_e32 v64, 31, v64
	v_add_u32_e32 v55, -1, v55
	v_add_u32_e32 v64, 32, v64
	v_min_u32_e32 v55, v55, v64
	s_waitcnt vmcnt(0) expcnt(0) lgkmcnt(0)
	v_swap_b32 v2, v55
	v_lshlrev_b64 v[0:1], v2, v[0:1]
	v_swap_b32 v55, v2
	v_min_u32_e32 v0, 1, v0
	v_or_b32_e32 v0, v1, v0
	v_cvt_f32_i32_e32 v0, v0
	v_sub_u32_e32 v1, 32, v55
	v_ldexp_f32 v55, v0, v1
                                        ; implicit-def: $vgpr0_vgpr1
.LBB47_2869:                            ;   in Loop: Header=BB47_17 Depth=1
	s_andn2_saveexec_b64 s[60:61], s[68:69]
	s_cbranch_execz .LBB47_2871
; %bb.2870:                             ;   in Loop: Header=BB47_17 Depth=1
	flat_load_dword v0, v[0:1]
	s_waitcnt vmcnt(0) lgkmcnt(0)
	v_cvt_f32_i32_e32 v55, v0
.LBB47_2871:                            ;   in Loop: Header=BB47_17 Depth=1
	s_or_b64 exec, exec, s[60:61]
                                        ; implicit-def: $vgpr0_vgpr1
.LBB47_2872:                            ;   in Loop: Header=BB47_17 Depth=1
	s_andn2_saveexec_b64 s[60:61], s[66:67]
	s_cbranch_execz .LBB47_2874
; %bb.2873:                             ;   in Loop: Header=BB47_17 Depth=1
	flat_load_sshort v0, v[0:1]
	s_waitcnt vmcnt(0) lgkmcnt(0)
	v_cvt_f32_i32_e32 v55, v0
.LBB47_2874:                            ;   in Loop: Header=BB47_17 Depth=1
	s_or_b64 exec, exec, s[60:61]
                                        ; implicit-def: $vgpr0_vgpr1
.LBB47_2875:                            ;   in Loop: Header=BB47_17 Depth=1
	s_andn2_saveexec_b64 s[66:67], s[74:75]
	s_cbranch_execz .LBB47_2881
; %bb.2876:                             ;   in Loop: Header=BB47_17 Depth=1
	v_cmp_gt_i16_sdwa s[60:61], v8, v14 src0_sel:BYTE_0 src1_sel:DWORD
                                        ; implicit-def: $vgpr55
	s_and_saveexec_b64 s[62:63], s[60:61]
	s_xor_b64 s[60:61], exec, s[62:63]
	s_cbranch_execz .LBB47_2878
; %bb.2877:                             ;   in Loop: Header=BB47_17 Depth=1
	flat_load_sbyte v0, v[0:1]
	s_waitcnt vmcnt(0) lgkmcnt(0)
	v_cvt_f32_i32_e32 v55, v0
                                        ; implicit-def: $vgpr0_vgpr1
.LBB47_2878:                            ;   in Loop: Header=BB47_17 Depth=1
	s_andn2_saveexec_b64 s[60:61], s[60:61]
	s_cbranch_execz .LBB47_2880
; %bb.2879:                             ;   in Loop: Header=BB47_17 Depth=1
	flat_load_ubyte v0, v[0:1]
	s_waitcnt vmcnt(0) lgkmcnt(0)
	v_cvt_f32_ubyte0_e32 v55, v0
.LBB47_2880:                            ;   in Loop: Header=BB47_17 Depth=1
	s_or_b64 exec, exec, s[60:61]
.LBB47_2881:                            ;   in Loop: Header=BB47_17 Depth=1
	s_or_b64 exec, exec, s[66:67]
.LBB47_2882:                            ;   in Loop: Header=BB47_17 Depth=1
	s_or_b64 exec, exec, s[72:73]
	s_andn2_b64 s[96:97], s[96:97], exec
	s_andn2_b64 vcc, vcc, exec
	s_or_b64 s[78:79], s[78:79], exec
.LBB47_2883:                            ;   in Loop: Header=BB47_17 Depth=1
	s_or_b64 exec, exec, s[80:81]
	s_mov_b64 s[66:67], 0
	s_and_saveexec_b64 s[68:69], s[78:79]
	s_cbranch_execz .LBB47_2885
; %bb.2884:                             ;   in Loop: Header=BB47_17 Depth=1
	s_mov_b64 s[66:67], exec
	v_add_u32_e32 v53, 0x200, v53
	s_andn2_b64 s[96:97], s[96:97], exec
	s_andn2_b64 vcc, vcc, exec
	s_waitcnt vmcnt(0) lgkmcnt(0)
	buffer_store_dword v55, v54, s[0:3], 0 offen offset:96
.LBB47_2885:                            ;   in Loop: Header=BB47_17 Depth=1
	s_or_b64 exec, exec, s[68:69]
	s_andn2_b64 s[60:61], s[86:87], exec
	s_and_b64 s[62:63], s[96:97], exec
	s_or_b64 s[86:87], s[60:61], s[62:63]
	s_andn2_b64 s[60:61], s[84:85], exec
	s_and_b64 vcc, vcc, exec
	s_or_b64 s[84:85], s[60:61], vcc
	s_and_b64 s[66:67], s[66:67], exec
.LBB47_2886:                            ;   in Loop: Header=BB47_17 Depth=1
	s_or_b64 exec, exec, s[92:93]
	s_and_b64 vcc, s[86:87], exec
	v_writelane_b32 v44, vcc_lo, 22
	v_writelane_b32 v44, vcc_hi, 23
	s_and_b64 s[62:63], s[84:85], exec
	s_orn2_b64 s[66:67], s[66:67], exec
.LBB47_2887:                            ;   in Loop: Header=BB47_17 Depth=1
	s_or_b64 exec, exec, s[88:89]
	s_and_saveexec_b64 s[88:89], s[66:67]
	s_cbranch_execz .LBB47_4
; %bb.2888:                             ;   in Loop: Header=BB47_17 Depth=1
	v_writelane_b32 v44, s62, 26
	v_cmp_lt_i32_e32 vcc, v53, v6
	s_mov_b64 s[96:97], -1
	s_mov_b64 s[66:67], -1
                                        ; implicit-def: $sgpr60_sgpr61
	v_writelane_b32 v44, s63, 27
                                        ; kill: killed $sgpr60_sgpr61
                                        ; implicit-def: $sgpr60_sgpr61
                                        ; kill: killed $sgpr60_sgpr61
	s_and_saveexec_b64 s[90:91], vcc
	s_cbranch_execz .LBB47_3114
; %bb.2889:                             ;   in Loop: Header=BB47_17 Depth=1
	v_readlane_b32 vcc_lo, v44, 1
	s_waitcnt vmcnt(0) lgkmcnt(0)
	v_add_u32_e32 v55, vcc_lo, v53
	v_mul_lo_u32 v0, v55, v9
	v_add_co_u32_e32 v0, vcc, v2, v0
	v_addc_co_u32_e32 v1, vcc, 0, v3, vcc
	v_cmp_gt_i16_sdwa s[60:61], v7, v16 src0_sel:BYTE_0 src1_sel:DWORD
	s_mov_b64 vcc, 0
                                        ; implicit-def: $sgpr94_sgpr95
                                        ; implicit-def: $sgpr92_sgpr93
                                        ; implicit-def: $vgpr64
	s_and_saveexec_b64 s[62:63], s[60:61]
	s_xor_b64 s[84:85], exec, s[62:63]
	s_cbranch_execnz .LBB47_2908
; %bb.2890:                             ;   in Loop: Header=BB47_17 Depth=1
	s_andn2_saveexec_b64 s[78:79], s[84:85]
	s_cbranch_execnz .LBB47_2967
.LBB47_2891:                            ;   in Loop: Header=BB47_17 Depth=1
	s_or_b64 exec, exec, s[78:79]
	s_mov_b64 s[66:67], 0
	s_and_saveexec_b64 s[84:85], vcc
	s_cbranch_execnz .LBB47_3008
	s_branch .LBB47_3113
.LBB47_2892:                            ;   in Loop: Header=BB47_17 Depth=1
	s_movk_i32 vcc_lo, 0x80
	v_cmp_eq_u16_e32 vcc, vcc_lo, v0
	s_mov_b64 s[80:81], -1
                                        ; implicit-def: $sgpr86
	s_and_saveexec_b64 s[84:85], vcc
; %bb.2893:                             ;   in Loop: Header=BB47_17 Depth=1
	s_mov_b32 s86, 0x7f800001
	s_xor_b64 s[80:81], exec, -1
; %bb.2894:                             ;   in Loop: Header=BB47_17 Depth=1
	s_or_b64 exec, exec, s[84:85]
	s_and_b64 s[80:81], s[80:81], exec
	s_or_saveexec_b64 s[82:83], s[82:83]
	v_mov_b32_e32 v54, s86
	s_xor_b64 exec, exec, s[82:83]
	s_cbranch_execz .LBB47_1711
.LBB47_2895:                            ;   in Loop: Header=BB47_17 Depth=1
	v_cmp_ne_u16_e32 vcc, 0, v0
	s_andn2_b64 s[80:81], s[80:81], exec
	s_and_b64 vcc, vcc, exec
	v_mov_b32_e32 v54, 0
	s_or_b64 s[80:81], s[80:81], vcc
	s_or_b64 exec, exec, s[82:83]
	s_and_saveexec_b64 s[82:83], s[80:81]
	s_cbranch_execnz .LBB47_1712
	s_branch .LBB47_1713
.LBB47_2896:                            ;   in Loop: Header=BB47_17 Depth=1
	s_movk_i32 vcc_lo, 0x80
	v_cmp_eq_u16_e32 vcc, vcc_lo, v0
	s_mov_b64 s[80:81], -1
                                        ; implicit-def: $sgpr86
	s_and_saveexec_b64 s[84:85], vcc
; %bb.2897:                             ;   in Loop: Header=BB47_17 Depth=1
	s_mov_b32 s86, 0x7f800001
	s_xor_b64 s[80:81], exec, -1
; %bb.2898:                             ;   in Loop: Header=BB47_17 Depth=1
	s_or_b64 exec, exec, s[84:85]
	s_and_b64 s[80:81], s[80:81], exec
	s_or_saveexec_b64 s[82:83], s[82:83]
	v_mov_b32_e32 v64, s86
	s_xor_b64 exec, exec, s[82:83]
	s_cbranch_execz .LBB47_1811
.LBB47_2899:                            ;   in Loop: Header=BB47_17 Depth=1
	v_cmp_ne_u16_e32 vcc, 0, v0
	s_andn2_b64 s[80:81], s[80:81], exec
	s_and_b64 vcc, vcc, exec
	v_mov_b32_e32 v64, 0
	s_or_b64 s[80:81], s[80:81], vcc
	s_or_b64 exec, exec, s[82:83]
	s_and_saveexec_b64 s[82:83], s[80:81]
	s_cbranch_execnz .LBB47_1812
	s_branch .LBB47_1813
.LBB47_2900:                            ;   in Loop: Header=BB47_17 Depth=1
	s_movk_i32 vcc_lo, 0x80
	v_cmp_eq_u16_e32 vcc, vcc_lo, v0
	s_mov_b64 s[84:85], -1
                                        ; implicit-def: $sgpr90
	s_and_saveexec_b64 s[88:89], vcc
; %bb.2901:                             ;   in Loop: Header=BB47_17 Depth=1
	s_mov_b32 s90, 0x7f800001
	s_xor_b64 s[84:85], exec, -1
; %bb.2902:                             ;   in Loop: Header=BB47_17 Depth=1
	s_or_b64 exec, exec, s[88:89]
	s_and_b64 s[84:85], s[84:85], exec
	s_or_saveexec_b64 s[86:87], s[86:87]
	v_mov_b32_e32 v54, s90
	s_xor_b64 exec, exec, s[86:87]
	s_cbranch_execz .LBB47_1927
.LBB47_2903:                            ;   in Loop: Header=BB47_17 Depth=1
	v_cmp_ne_u16_e32 vcc, 0, v0
	s_andn2_b64 s[84:85], s[84:85], exec
	s_and_b64 vcc, vcc, exec
	v_mov_b32_e32 v54, 0
	s_or_b64 s[84:85], s[84:85], vcc
	s_or_b64 exec, exec, s[86:87]
	s_and_saveexec_b64 s[86:87], s[84:85]
	s_cbranch_execnz .LBB47_1928
	s_branch .LBB47_1929
.LBB47_2904:                            ;   in Loop: Header=BB47_17 Depth=1
	s_movk_i32 vcc_lo, 0x80
	v_cmp_eq_u16_e32 vcc, vcc_lo, v0
	s_mov_b64 s[84:85], -1
                                        ; implicit-def: $sgpr88
	s_and_saveexec_b64 s[60:61], vcc
; %bb.2905:                             ;   in Loop: Header=BB47_17 Depth=1
	s_mov_b32 s88, 0x7f800001
	s_xor_b64 s[84:85], exec, -1
; %bb.2906:                             ;   in Loop: Header=BB47_17 Depth=1
	s_or_b64 exec, exec, s[60:61]
	s_and_b64 s[84:85], s[84:85], exec
	s_or_saveexec_b64 s[86:87], s[86:87]
	v_mov_b32_e32 v64, s88
	s_xor_b64 exec, exec, s[86:87]
	s_cbranch_execz .LBB47_2027
.LBB47_2907:                            ;   in Loop: Header=BB47_17 Depth=1
	v_cmp_ne_u16_e32 vcc, 0, v0
	s_andn2_b64 s[60:61], s[84:85], exec
	s_and_b64 vcc, vcc, exec
	v_mov_b32_e32 v64, 0
	s_or_b64 s[84:85], s[60:61], vcc
	s_or_b64 exec, exec, s[86:87]
	s_and_saveexec_b64 s[86:87], s[84:85]
	s_cbranch_execnz .LBB47_2028
	s_branch .LBB47_2029
.LBB47_2908:                            ;   in Loop: Header=BB47_17 Depth=1
	v_cmp_gt_i16_sdwa vcc, v7, v17 src0_sel:BYTE_0 src1_sel:DWORD
	s_mov_b64 s[78:79], 0
                                        ; implicit-def: $sgpr80_sgpr81
                                        ; implicit-def: $sgpr94_sgpr95
                                        ; implicit-def: $vgpr64
	s_and_saveexec_b64 s[60:61], vcc
	s_xor_b64 s[92:93], exec, s[60:61]
	s_cbranch_execz .LBB47_2940
; %bb.2909:                             ;   in Loop: Header=BB47_17 Depth=1
	v_cmp_gt_i16_sdwa vcc, v7, v18 src0_sel:BYTE_0 src1_sel:DWORD
                                        ; implicit-def: $sgpr72_sgpr73
                                        ; implicit-def: $sgpr86_sgpr87
                                        ; implicit-def: $vgpr64
	s_and_saveexec_b64 s[60:61], vcc
	s_xor_b64 s[80:81], exec, s[60:61]
	s_cbranch_execz .LBB47_2925
; %bb.2910:                             ;   in Loop: Header=BB47_17 Depth=1
	v_cmp_gt_i16_sdwa s[60:61], v7, v19 src0_sel:BYTE_0 src1_sel:DWORD
	s_mov_b64 s[74:75], 0
                                        ; implicit-def: $vcc
                                        ; implicit-def: $sgpr86_sgpr87
                                        ; implicit-def: $vgpr64
	s_and_saveexec_b64 s[62:63], s[60:61]
	s_xor_b64 s[72:73], exec, s[62:63]
	s_cbranch_execz .LBB47_2920
; %bb.2911:                             ;   in Loop: Header=BB47_17 Depth=1
	v_cmp_gt_i16_sdwa vcc, v7, v20 src0_sel:BYTE_0 src1_sel:DWORD
                                        ; implicit-def: $sgpr74_sgpr75
                                        ; implicit-def: $sgpr94_sgpr95
                                        ; implicit-def: $vgpr64
	s_and_saveexec_b64 s[60:61], vcc
	s_xor_b64 vcc, exec, s[60:61]
	s_cbranch_execz .LBB47_2915
; %bb.2912:                             ;   in Loop: Header=BB47_17 Depth=1
	v_cmp_eq_u16_sdwa s[62:63], v7, v21 src0_sel:BYTE_0 src1_sel:DWORD
	s_mov_b64 s[74:75], 0
	s_mov_b64 s[66:67], 0
                                        ; implicit-def: $vgpr64
	s_and_saveexec_b64 s[60:61], s[62:63]
	s_cbranch_execz .LBB47_2914
; %bb.2913:                             ;   in Loop: Header=BB47_17 Depth=1
	flat_load_dword v0, v[0:1]
	s_mov_b64 s[66:67], exec
	s_waitcnt vmcnt(0) lgkmcnt(0)
	v_lshlrev_b32_e32 v64, 16, v0
.LBB47_2914:                            ;   in Loop: Header=BB47_17 Depth=1
	s_or_b64 exec, exec, s[60:61]
	s_mov_b64 s[94:95], -1
	s_and_b64 s[78:79], s[66:67], exec
                                        ; implicit-def: $vgpr0_vgpr1
.LBB47_2915:                            ;   in Loop: Header=BB47_17 Depth=1
	s_andn2_saveexec_b64 s[66:67], vcc
	s_cbranch_execz .LBB47_2919
; %bb.2916:                             ;   in Loop: Header=BB47_17 Depth=1
	v_cmp_eq_u16_sdwa s[60:61], v7, v22 src0_sel:BYTE_0 src1_sel:DWORD
	s_mov_b64 vcc, s[78:79]
                                        ; implicit-def: $vgpr64
	s_and_saveexec_b64 s[68:69], s[60:61]
	s_cbranch_execz .LBB47_2918
; %bb.2917:                             ;   in Loop: Header=BB47_17 Depth=1
	flat_load_ubyte v0, v[0:1]
	s_movk_i32 vcc_lo, 0xff
	s_waitcnt vmcnt(0) lgkmcnt(0)
	v_lshlrev_b32_e32 v1, 23, v0
	v_cmp_ne_u32_e32 vcc, vcc_lo, v0
	v_cndmask_b32_e32 v1, v23, v1, vcc
	v_cmp_ne_u32_e32 vcc, 0, v0
	v_cndmask_b32_e32 v64, v24, v1, vcc
	s_or_b64 vcc, s[78:79], exec
.LBB47_2918:                            ;   in Loop: Header=BB47_17 Depth=1
	s_or_b64 exec, exec, s[68:69]
	s_andn2_b64 s[60:61], s[78:79], exec
	s_and_b64 vcc, vcc, exec
	s_andn2_b64 s[74:75], s[74:75], exec
	s_or_b64 s[94:95], s[94:95], exec
	s_or_b64 s[78:79], s[60:61], vcc
.LBB47_2919:                            ;   in Loop: Header=BB47_17 Depth=1
	s_or_b64 exec, exec, s[66:67]
	s_and_b64 s[86:87], s[74:75], exec
	s_and_b64 vcc, s[94:95], exec
	s_and_b64 s[74:75], s[78:79], exec
                                        ; implicit-def: $vgpr0_vgpr1
.LBB47_2920:                            ;   in Loop: Header=BB47_17 Depth=1
	s_andn2_saveexec_b64 s[66:67], s[72:73]
	s_cbranch_execz .LBB47_2924
; %bb.2921:                             ;   in Loop: Header=BB47_17 Depth=1
	v_cmp_eq_u16_sdwa s[60:61], v7, v25 src0_sel:BYTE_0 src1_sel:DWORD
	s_mov_b64 s[70:71], s[74:75]
                                        ; implicit-def: $vgpr64
	s_and_saveexec_b64 s[68:69], s[60:61]
	s_cbranch_execz .LBB47_2923
; %bb.2922:                             ;   in Loop: Header=BB47_17 Depth=1
	flat_load_dwordx2 v[0:1], v[0:1]
	s_or_b64 s[70:71], s[74:75], exec
	s_waitcnt vmcnt(0) lgkmcnt(0)
	v_ffbh_u32_e32 v54, v1
	v_min_u32_e32 v54, 32, v54
	v_lshlrev_b64 v[0:1], v54, v[0:1]
	v_min_u32_e32 v0, 1, v0
	v_or_b32_e32 v0, v1, v0
	v_cvt_f32_u32_e32 v0, v0
	v_sub_u32_e32 v1, 32, v54
	v_ldexp_f32 v64, v0, v1
.LBB47_2923:                            ;   in Loop: Header=BB47_17 Depth=1
	s_or_b64 exec, exec, s[68:69]
	s_andn2_b64 s[60:61], s[74:75], exec
	s_and_b64 s[62:63], s[70:71], exec
	s_andn2_b64 s[86:87], s[86:87], exec
	s_or_b64 vcc, vcc, exec
	s_or_b64 s[74:75], s[60:61], s[62:63]
.LBB47_2924:                            ;   in Loop: Header=BB47_17 Depth=1
	s_or_b64 exec, exec, s[66:67]
	s_and_b64 s[86:87], s[86:87], exec
	s_and_b64 s[72:73], vcc, exec
	s_and_b64 s[78:79], s[74:75], exec
                                        ; implicit-def: $vgpr0_vgpr1
.LBB47_2925:                            ;   in Loop: Header=BB47_17 Depth=1
	s_andn2_saveexec_b64 s[80:81], s[80:81]
	s_cbranch_execz .LBB47_2939
; %bb.2926:                             ;   in Loop: Header=BB47_17 Depth=1
	v_cmp_gt_i16_sdwa vcc, v7, v26 src0_sel:BYTE_0 src1_sel:DWORD
                                        ; implicit-def: $vgpr64
	s_and_saveexec_b64 s[60:61], vcc
	s_xor_b64 vcc, exec, s[60:61]
	s_cbranch_execz .LBB47_2932
; %bb.2927:                             ;   in Loop: Header=BB47_17 Depth=1
	v_cmp_gt_i16_sdwa s[60:61], v7, v27 src0_sel:BYTE_0 src1_sel:DWORD
                                        ; implicit-def: $vgpr64
	s_and_saveexec_b64 s[62:63], s[60:61]
	s_xor_b64 s[60:61], exec, s[62:63]
	s_cbranch_execz .LBB47_2929
; %bb.2928:                             ;   in Loop: Header=BB47_17 Depth=1
	flat_load_dword v0, v[0:1]
	s_waitcnt vmcnt(0) lgkmcnt(0)
	v_cvt_f32_u32_e32 v64, v0
                                        ; implicit-def: $vgpr0_vgpr1
.LBB47_2929:                            ;   in Loop: Header=BB47_17 Depth=1
	s_andn2_saveexec_b64 s[60:61], s[60:61]
	s_cbranch_execz .LBB47_2931
; %bb.2930:                             ;   in Loop: Header=BB47_17 Depth=1
	flat_load_ushort v0, v[0:1]
	s_waitcnt vmcnt(0) lgkmcnt(0)
	v_cvt_f32_u32_e32 v64, v0
.LBB47_2931:                            ;   in Loop: Header=BB47_17 Depth=1
	s_or_b64 exec, exec, s[60:61]
                                        ; implicit-def: $vgpr0_vgpr1
.LBB47_2932:                            ;   in Loop: Header=BB47_17 Depth=1
	s_andn2_saveexec_b64 s[74:75], vcc
	s_cbranch_execz .LBB47_2938
; %bb.2933:                             ;   in Loop: Header=BB47_17 Depth=1
	flat_load_ubyte v0, v[0:1]
	s_movk_i32 vcc_lo, 0x7f
	s_mov_b64 s[66:67], 0
                                        ; implicit-def: $sgpr70
	s_waitcnt vmcnt(0) lgkmcnt(0)
	v_cmp_lt_i16_e32 vcc, vcc_lo, v0
	s_and_saveexec_b64 s[60:61], vcc
	s_xor_b64 s[68:69], exec, s[60:61]
	s_cbranch_execnz .LBB47_3598
; %bb.2934:                             ;   in Loop: Header=BB47_17 Depth=1
	s_or_saveexec_b64 s[68:69], s[68:69]
	v_mov_b32_e32 v64, s70
	s_xor_b64 exec, exec, s[68:69]
	s_cbranch_execnz .LBB47_3601
.LBB47_2935:                            ;   in Loop: Header=BB47_17 Depth=1
	s_or_b64 exec, exec, s[68:69]
	s_and_saveexec_b64 s[68:69], s[66:67]
	s_cbranch_execz .LBB47_2937
.LBB47_2936:                            ;   in Loop: Header=BB47_17 Depth=1
	v_lshlrev_b32_e32 v1, 24, v0
	v_and_b32_e32 v0, 0xffff, v0
	v_and_b32_e32 v54, 7, v0
	v_ffbh_u32_e32 v65, v54
	v_min_u32_e32 v65, 32, v65
	v_subrev_u32_e32 v66, 28, v65
	v_bfe_u32 v64, v0, 3, 4
	v_lshlrev_b32_e32 v0, v66, v0
	v_sub_u32_e32 v65, 29, v65
	v_and_b32_e32 v0, 7, v0
	v_cmp_eq_u32_e32 vcc, 0, v64
	v_cndmask_b32_e32 v64, v64, v65, vcc
	v_cndmask_b32_e32 v0, v54, v0, vcc
	v_lshlrev_b32_e32 v0, 20, v0
	v_and_b32_e32 v1, 0x80000000, v1
	v_lshl_add_u32 v54, v64, 23, v28
	v_or3_b32 v64, v1, v54, v0
.LBB47_2937:                            ;   in Loop: Header=BB47_17 Depth=1
	s_or_b64 exec, exec, s[68:69]
.LBB47_2938:                            ;   in Loop: Header=BB47_17 Depth=1
	s_or_b64 exec, exec, s[74:75]
	s_andn2_b64 s[86:87], s[86:87], exec
	s_andn2_b64 s[72:73], s[72:73], exec
	s_or_b64 s[78:79], s[78:79], exec
.LBB47_2939:                            ;   in Loop: Header=BB47_17 Depth=1
	s_or_b64 exec, exec, s[80:81]
	s_and_b64 s[94:95], s[86:87], exec
	s_and_b64 s[80:81], s[72:73], exec
	;; [unrolled: 1-line block ×3, first 2 shown]
                                        ; implicit-def: $vgpr0_vgpr1
.LBB47_2940:                            ;   in Loop: Header=BB47_17 Depth=1
	s_andn2_saveexec_b64 s[86:87], s[92:93]
	s_cbranch_execz .LBB47_2966
; %bb.2941:                             ;   in Loop: Header=BB47_17 Depth=1
	v_cmp_gt_i16_sdwa vcc, v7, v29 src0_sel:BYTE_0 src1_sel:DWORD
	s_mov_b64 s[74:75], s[78:79]
                                        ; implicit-def: $vgpr64
	s_and_saveexec_b64 s[60:61], vcc
	s_xor_b64 s[72:73], exec, s[60:61]
	s_cbranch_execz .LBB47_2955
; %bb.2942:                             ;   in Loop: Header=BB47_17 Depth=1
	v_cmp_gt_i16_sdwa vcc, v7, v30 src0_sel:BYTE_0 src1_sel:DWORD
                                        ; implicit-def: $vgpr64
	s_and_saveexec_b64 s[60:61], vcc
	s_xor_b64 s[92:93], exec, s[60:61]
	s_cbranch_execz .LBB47_2952
; %bb.2943:                             ;   in Loop: Header=BB47_17 Depth=1
	v_cmp_gt_i16_sdwa vcc, v7, v31 src0_sel:BYTE_0 src1_sel:DWORD
                                        ; implicit-def: $vgpr64
	s_and_saveexec_b64 s[60:61], vcc
	s_xor_b64 s[74:75], exec, s[60:61]
	s_cbranch_execz .LBB47_2949
; %bb.2944:                             ;   in Loop: Header=BB47_17 Depth=1
	flat_load_ubyte v0, v[0:1]
	s_movk_i32 vcc_lo, 0x7f
	s_mov_b64 s[66:67], 0
                                        ; implicit-def: $sgpr70
	s_waitcnt vmcnt(0) lgkmcnt(0)
	v_cmp_lt_i16_e32 vcc, vcc_lo, v0
	s_and_saveexec_b64 s[60:61], vcc
	s_xor_b64 s[68:69], exec, s[60:61]
	s_cbranch_execnz .LBB47_3606
; %bb.2945:                             ;   in Loop: Header=BB47_17 Depth=1
	s_or_saveexec_b64 s[68:69], s[68:69]
	v_mov_b32_e32 v64, s70
	s_xor_b64 exec, exec, s[68:69]
	s_cbranch_execnz .LBB47_3609
.LBB47_2946:                            ;   in Loop: Header=BB47_17 Depth=1
	s_or_b64 exec, exec, s[68:69]
	s_and_saveexec_b64 s[68:69], s[66:67]
	s_cbranch_execz .LBB47_2948
.LBB47_2947:                            ;   in Loop: Header=BB47_17 Depth=1
	v_lshlrev_b32_e32 v1, 24, v0
	v_and_b32_e32 v0, 0xffff, v0
	v_and_b32_e32 v54, 3, v0
	v_ffbh_u32_e32 v65, v54
	v_min_u32_e32 v65, 32, v65
	v_subrev_u32_e32 v66, 29, v65
	v_bfe_u32 v64, v0, 2, 5
	v_lshlrev_b32_e32 v0, v66, v0
	v_sub_u32_e32 v65, 30, v65
	v_and_b32_e32 v0, 3, v0
	v_cmp_eq_u32_e32 vcc, 0, v64
	v_cndmask_b32_e32 v64, v64, v65, vcc
	v_cndmask_b32_e32 v0, v54, v0, vcc
	v_lshlrev_b32_e32 v0, 21, v0
	v_and_b32_e32 v1, 0x80000000, v1
	v_lshl_add_u32 v54, v64, 23, v32
	v_or3_b32 v64, v1, v54, v0
.LBB47_2948:                            ;   in Loop: Header=BB47_17 Depth=1
	s_or_b64 exec, exec, s[68:69]
                                        ; implicit-def: $vgpr0_vgpr1
.LBB47_2949:                            ;   in Loop: Header=BB47_17 Depth=1
	s_andn2_saveexec_b64 s[66:67], s[74:75]
	s_cbranch_execz .LBB47_2951
; %bb.2950:                             ;   in Loop: Header=BB47_17 Depth=1
	flat_load_ubyte v0, v[0:1]
	s_mov_b32 vcc_lo, 0x7f800000
	s_waitcnt vmcnt(0) lgkmcnt(0)
	v_lshlrev_b32_e32 v0, 24, v0
	v_and_b32_e32 v1, 0x7f000000, v0
	v_ffbh_u32_e32 v54, v1
	v_min_u32_e32 v54, 32, v54
	v_sub_u32_e64 v54, v54, 4 clamp
	v_lshlrev_b32_e32 v65, v54, v1
	v_lshlrev_b32_e32 v54, 23, v54
	v_lshrrev_b32_e32 v65, 4, v65
	v_add_u32_e32 v64, 0x1000000, v1
	v_sub_u32_e32 v54, v65, v54
	v_ashrrev_i32_e32 v64, 8, v64
	v_add_u32_e32 v54, 0x3c000000, v54
	v_and_or_b32 v54, v64, vcc_lo, v54
	v_cmp_ne_u32_e32 vcc, 0, v1
	v_cndmask_b32_e32 v1, 0, v54, vcc
	s_brev_b32 vcc_lo, 1
	v_and_or_b32 v64, v0, vcc_lo, v1
.LBB47_2951:                            ;   in Loop: Header=BB47_17 Depth=1
	s_or_b64 exec, exec, s[66:67]
                                        ; implicit-def: $vgpr0_vgpr1
.LBB47_2952:                            ;   in Loop: Header=BB47_17 Depth=1
	s_andn2_saveexec_b64 s[66:67], s[92:93]
	s_cbranch_execz .LBB47_2954
; %bb.2953:                             ;   in Loop: Header=BB47_17 Depth=1
	flat_load_ubyte v0, v[0:1]
	s_movk_i32 vcc_lo, 0x7f00
	s_waitcnt vmcnt(0) lgkmcnt(0)
	v_lshlrev_b16_e32 v1, 8, v0
	v_lshlrev_b32_e32 v0, 25, v0
	v_lshrrev_b32_e32 v54, 4, v0
	v_and_or_b32 v64, v1, vcc_lo, 0.5
	v_or_b32_e32 v54, 0x70000000, v54
	s_brev_b32 vcc_lo, 16
	v_add_f32_e32 v64, -0.5, v64
	v_mul_f32_e32 v54, 0x7800000, v54
	v_cmp_gt_u32_e32 vcc, vcc_lo, v0
	v_cndmask_b32_e32 v0, v54, v64, vcc
	v_bfe_i32 v1, v1, 0, 16
	s_brev_b32 vcc_lo, 1
	v_and_or_b32 v64, v1, vcc_lo, v0
.LBB47_2954:                            ;   in Loop: Header=BB47_17 Depth=1
	s_or_b64 exec, exec, s[66:67]
	s_or_b64 s[74:75], s[78:79], exec
                                        ; implicit-def: $vgpr0_vgpr1
.LBB47_2955:                            ;   in Loop: Header=BB47_17 Depth=1
	s_or_saveexec_b64 s[72:73], s[72:73]
                                        ; implicit-def: $vcc
                                        ; implicit-def: $sgpr68_sgpr69
	s_xor_b64 exec, exec, s[72:73]
	s_cbranch_execz .LBB47_2965
; %bb.2956:                             ;   in Loop: Header=BB47_17 Depth=1
	v_cmp_gt_i16_sdwa vcc, v7, v33 src0_sel:BYTE_0 src1_sel:DWORD
	s_mov_b64 s[66:67], s[74:75]
                                        ; implicit-def: $sgpr68_sgpr69
                                        ; implicit-def: $sgpr76_sgpr77
                                        ; implicit-def: $vgpr64
	s_and_saveexec_b64 s[60:61], vcc
	s_xor_b64 vcc, exec, s[60:61]
	s_cbranch_execz .LBB47_2960
; %bb.2957:                             ;   in Loop: Header=BB47_17 Depth=1
	v_cmp_eq_u16_sdwa s[62:63], v7, v34 src0_sel:BYTE_0 src1_sel:DWORD
	s_mov_b64 s[66:67], s[74:75]
                                        ; implicit-def: $vgpr64
	s_and_saveexec_b64 s[60:61], s[62:63]
	s_cbranch_execz .LBB47_2959
; %bb.2958:                             ;   in Loop: Header=BB47_17 Depth=1
	flat_load_ushort v0, v[0:1]
	s_or_b64 s[66:67], s[74:75], exec
	s_waitcnt vmcnt(0) lgkmcnt(0)
	v_lshlrev_b32_e32 v64, 16, v0
.LBB47_2959:                            ;   in Loop: Header=BB47_17 Depth=1
	s_or_b64 exec, exec, s[60:61]
	s_andn2_b64 s[60:61], s[74:75], exec
	s_and_b64 s[62:63], s[66:67], exec
	s_mov_b64 s[76:77], -1
	s_mov_b64 s[68:69], 0
	s_or_b64 s[66:67], s[60:61], s[62:63]
                                        ; implicit-def: $vgpr0_vgpr1
.LBB47_2960:                            ;   in Loop: Header=BB47_17 Depth=1
	s_andn2_saveexec_b64 s[70:71], vcc
	s_cbranch_execz .LBB47_2964
; %bb.2961:                             ;   in Loop: Header=BB47_17 Depth=1
	v_cmp_eq_u16_sdwa s[62:63], v7, v35 src0_sel:BYTE_0 src1_sel:DWORD
	s_mov_b64 vcc, s[66:67]
                                        ; implicit-def: $vgpr64
	s_and_saveexec_b64 s[60:61], s[62:63]
	s_cbranch_execz .LBB47_2963
; %bb.2962:                             ;   in Loop: Header=BB47_17 Depth=1
	flat_load_ubyte v0, v[0:1]
	s_waitcnt vmcnt(0) lgkmcnt(0)
	v_cmp_ne_u16_e32 vcc, 0, v0
	v_cndmask_b32_e64 v64, 0, 1.0, vcc
	s_or_b64 vcc, s[66:67], exec
.LBB47_2963:                            ;   in Loop: Header=BB47_17 Depth=1
	s_or_b64 exec, exec, s[60:61]
	s_andn2_b64 s[60:61], s[66:67], exec
	s_and_b64 vcc, vcc, exec
	s_andn2_b64 s[68:69], s[68:69], exec
	s_or_b64 s[76:77], s[76:77], exec
	s_or_b64 s[66:67], s[60:61], vcc
.LBB47_2964:                            ;   in Loop: Header=BB47_17 Depth=1
	s_or_b64 exec, exec, s[70:71]
	s_andn2_b64 s[60:61], s[74:75], exec
	s_and_b64 s[62:63], s[66:67], exec
	s_and_b64 s[68:69], s[68:69], exec
	s_and_b64 vcc, s[76:77], exec
	s_or_b64 s[74:75], s[60:61], s[62:63]
.LBB47_2965:                            ;   in Loop: Header=BB47_17 Depth=1
	s_or_b64 exec, exec, s[72:73]
	s_andn2_b64 s[60:61], s[94:95], exec
	s_and_b64 s[62:63], s[68:69], exec
	s_or_b64 s[94:95], s[60:61], s[62:63]
	s_andn2_b64 s[60:61], s[80:81], exec
	s_and_b64 vcc, vcc, exec
	s_or_b64 s[80:81], s[60:61], vcc
	s_andn2_b64 vcc, s[78:79], exec
	s_and_b64 s[60:61], s[74:75], exec
	s_or_b64 s[78:79], vcc, s[60:61]
.LBB47_2966:                            ;   in Loop: Header=BB47_17 Depth=1
	s_or_b64 exec, exec, s[86:87]
	s_and_b64 s[92:93], s[94:95], exec
	s_and_b64 s[94:95], s[80:81], exec
	s_and_b64 vcc, s[78:79], exec
                                        ; implicit-def: $vgpr0_vgpr1
	s_andn2_saveexec_b64 s[78:79], s[84:85]
	s_cbranch_execz .LBB47_2891
.LBB47_2967:                            ;   in Loop: Header=BB47_17 Depth=1
	v_cmp_gt_i16_sdwa s[60:61], v7, v36 src0_sel:BYTE_0 src1_sel:DWORD
                                        ; implicit-def: $vgpr64
	s_and_saveexec_b64 s[62:63], s[60:61]
	s_xor_b64 s[72:73], exec, s[62:63]
	s_cbranch_execz .LBB47_2989
; %bb.2968:                             ;   in Loop: Header=BB47_17 Depth=1
	v_cmp_gt_i16_sdwa s[60:61], v7, v37 src0_sel:BYTE_0 src1_sel:DWORD
                                        ; implicit-def: $vgpr64
	s_and_saveexec_b64 s[62:63], s[60:61]
	s_xor_b64 s[66:67], exec, s[62:63]
	s_cbranch_execz .LBB47_2978
; %bb.2969:                             ;   in Loop: Header=BB47_17 Depth=1
	;; [unrolled: 6-line block ×4, first 2 shown]
	flat_load_dwordx2 v[0:1], v[0:1]
	s_waitcnt vmcnt(0) lgkmcnt(0)
	v_cvt_f32_f64_e32 v64, v[0:1]
                                        ; implicit-def: $vgpr0_vgpr1
.LBB47_2972:                            ;   in Loop: Header=BB47_17 Depth=1
	s_andn2_saveexec_b64 s[60:61], s[60:61]
	s_cbranch_execz .LBB47_2974
; %bb.2973:                             ;   in Loop: Header=BB47_17 Depth=1
	flat_load_dword v64, v[0:1]
.LBB47_2974:                            ;   in Loop: Header=BB47_17 Depth=1
	s_or_b64 exec, exec, s[60:61]
                                        ; implicit-def: $vgpr0_vgpr1
.LBB47_2975:                            ;   in Loop: Header=BB47_17 Depth=1
	s_andn2_saveexec_b64 s[60:61], s[68:69]
	s_cbranch_execz .LBB47_2977
; %bb.2976:                             ;   in Loop: Header=BB47_17 Depth=1
	flat_load_dword v0, v[0:1]
	s_waitcnt vmcnt(0) lgkmcnt(0)
	v_cvt_f32_f16_e32 v64, v0
.LBB47_2977:                            ;   in Loop: Header=BB47_17 Depth=1
	s_or_b64 exec, exec, s[60:61]
                                        ; implicit-def: $vgpr0_vgpr1
.LBB47_2978:                            ;   in Loop: Header=BB47_17 Depth=1
	s_andn2_saveexec_b64 s[66:67], s[66:67]
	s_cbranch_execz .LBB47_2988
; %bb.2979:                             ;   in Loop: Header=BB47_17 Depth=1
	v_cmp_gt_i16_sdwa s[60:61], v7, v48 src0_sel:BYTE_0 src1_sel:DWORD
                                        ; implicit-def: $vgpr64
	s_and_saveexec_b64 s[62:63], s[60:61]
	s_xor_b64 s[68:69], exec, s[62:63]
	s_cbranch_execz .LBB47_2985
; %bb.2980:                             ;   in Loop: Header=BB47_17 Depth=1
	v_cmp_gt_i16_sdwa s[60:61], v7, v49 src0_sel:BYTE_0 src1_sel:DWORD
                                        ; implicit-def: $vgpr64
	s_and_saveexec_b64 s[62:63], s[60:61]
	s_xor_b64 s[60:61], exec, s[62:63]
	s_cbranch_execz .LBB47_2982
; %bb.2981:                             ;   in Loop: Header=BB47_17 Depth=1
	flat_load_dwordx2 v[0:1], v[0:1]
	s_waitcnt vmcnt(0) lgkmcnt(0)
	v_cvt_f32_f64_e32 v64, v[0:1]
                                        ; implicit-def: $vgpr0_vgpr1
.LBB47_2982:                            ;   in Loop: Header=BB47_17 Depth=1
	s_andn2_saveexec_b64 s[60:61], s[60:61]
	s_cbranch_execz .LBB47_2984
; %bb.2983:                             ;   in Loop: Header=BB47_17 Depth=1
	s_waitcnt vmcnt(0) lgkmcnt(0)
	flat_load_dword v64, v[0:1]
.LBB47_2984:                            ;   in Loop: Header=BB47_17 Depth=1
	s_or_b64 exec, exec, s[60:61]
                                        ; implicit-def: $vgpr0_vgpr1
.LBB47_2985:                            ;   in Loop: Header=BB47_17 Depth=1
	s_andn2_saveexec_b64 s[60:61], s[68:69]
	s_cbranch_execz .LBB47_2987
; %bb.2986:                             ;   in Loop: Header=BB47_17 Depth=1
	flat_load_ushort v0, v[0:1]
	s_waitcnt vmcnt(0) lgkmcnt(0)
	v_cvt_f32_f16_e32 v64, v0
.LBB47_2987:                            ;   in Loop: Header=BB47_17 Depth=1
	s_or_b64 exec, exec, s[60:61]
.LBB47_2988:                            ;   in Loop: Header=BB47_17 Depth=1
	s_or_b64 exec, exec, s[66:67]
                                        ; implicit-def: $vgpr0_vgpr1
.LBB47_2989:                            ;   in Loop: Header=BB47_17 Depth=1
	s_andn2_saveexec_b64 s[72:73], s[72:73]
	s_cbranch_execz .LBB47_3007
; %bb.2990:                             ;   in Loop: Header=BB47_17 Depth=1
	v_cmp_gt_i16_sdwa s[60:61], v7, v50 src0_sel:BYTE_0 src1_sel:DWORD
                                        ; implicit-def: $vgpr64
	s_and_saveexec_b64 s[62:63], s[60:61]
	s_xor_b64 s[74:75], exec, s[62:63]
	s_cbranch_execz .LBB47_3000
; %bb.2991:                             ;   in Loop: Header=BB47_17 Depth=1
	v_cmp_gt_i16_sdwa s[60:61], v7, v51 src0_sel:BYTE_0 src1_sel:DWORD
                                        ; implicit-def: $vgpr64
	s_and_saveexec_b64 s[62:63], s[60:61]
	s_xor_b64 s[66:67], exec, s[62:63]
	;; [unrolled: 6-line block ×3, first 2 shown]
	s_cbranch_execz .LBB47_2994
; %bb.2993:                             ;   in Loop: Header=BB47_17 Depth=1
	flat_load_dwordx2 v[0:1], v[0:1]
	s_waitcnt vmcnt(0) lgkmcnt(0)
	v_xor_b32_e32 v64, v0, v1
	v_ffbh_i32_e32 v54, v1
	v_ashrrev_i32_e32 v64, 31, v64
	v_add_u32_e32 v54, -1, v54
	v_add_u32_e32 v64, 32, v64
	v_min_u32_e32 v54, v54, v64
	v_lshlrev_b64 v[0:1], v54, v[0:1]
	v_min_u32_e32 v0, 1, v0
	v_or_b32_e32 v0, v1, v0
	v_cvt_f32_i32_e32 v0, v0
	v_sub_u32_e32 v1, 32, v54
	v_ldexp_f32 v64, v0, v1
                                        ; implicit-def: $vgpr0_vgpr1
.LBB47_2994:                            ;   in Loop: Header=BB47_17 Depth=1
	s_andn2_saveexec_b64 s[60:61], s[68:69]
	s_cbranch_execz .LBB47_2996
; %bb.2995:                             ;   in Loop: Header=BB47_17 Depth=1
	flat_load_dword v0, v[0:1]
	s_waitcnt vmcnt(0) lgkmcnt(0)
	v_cvt_f32_i32_e32 v64, v0
.LBB47_2996:                            ;   in Loop: Header=BB47_17 Depth=1
	s_or_b64 exec, exec, s[60:61]
                                        ; implicit-def: $vgpr0_vgpr1
.LBB47_2997:                            ;   in Loop: Header=BB47_17 Depth=1
	s_andn2_saveexec_b64 s[60:61], s[66:67]
	s_cbranch_execz .LBB47_2999
; %bb.2998:                             ;   in Loop: Header=BB47_17 Depth=1
	flat_load_sshort v0, v[0:1]
	s_waitcnt vmcnt(0) lgkmcnt(0)
	v_cvt_f32_i32_e32 v64, v0
.LBB47_2999:                            ;   in Loop: Header=BB47_17 Depth=1
	s_or_b64 exec, exec, s[60:61]
                                        ; implicit-def: $vgpr0_vgpr1
.LBB47_3000:                            ;   in Loop: Header=BB47_17 Depth=1
	s_andn2_saveexec_b64 s[66:67], s[74:75]
	s_cbranch_execz .LBB47_3006
; %bb.3001:                             ;   in Loop: Header=BB47_17 Depth=1
	v_cmp_gt_i16_sdwa s[60:61], v7, v14 src0_sel:BYTE_0 src1_sel:DWORD
                                        ; implicit-def: $vgpr64
	s_and_saveexec_b64 s[62:63], s[60:61]
	s_xor_b64 s[60:61], exec, s[62:63]
	s_cbranch_execz .LBB47_3003
; %bb.3002:                             ;   in Loop: Header=BB47_17 Depth=1
	flat_load_sbyte v0, v[0:1]
	s_waitcnt vmcnt(0) lgkmcnt(0)
	v_cvt_f32_i32_e32 v64, v0
                                        ; implicit-def: $vgpr0_vgpr1
.LBB47_3003:                            ;   in Loop: Header=BB47_17 Depth=1
	s_andn2_saveexec_b64 s[60:61], s[60:61]
	s_cbranch_execz .LBB47_3005
; %bb.3004:                             ;   in Loop: Header=BB47_17 Depth=1
	flat_load_ubyte v0, v[0:1]
	s_waitcnt vmcnt(0) lgkmcnt(0)
	v_cvt_f32_ubyte0_e32 v64, v0
.LBB47_3005:                            ;   in Loop: Header=BB47_17 Depth=1
	s_or_b64 exec, exec, s[60:61]
.LBB47_3006:                            ;   in Loop: Header=BB47_17 Depth=1
	s_or_b64 exec, exec, s[66:67]
.LBB47_3007:                            ;   in Loop: Header=BB47_17 Depth=1
	s_or_b64 exec, exec, s[72:73]
	s_andn2_b64 s[92:93], s[92:93], exec
	s_andn2_b64 s[94:95], s[94:95], exec
	s_or_b64 vcc, vcc, exec
	s_or_b64 exec, exec, s[78:79]
	s_mov_b64 s[66:67], 0
	s_and_saveexec_b64 s[84:85], vcc
	s_cbranch_execz .LBB47_3113
.LBB47_3008:                            ;   in Loop: Header=BB47_17 Depth=1
	v_mul_lo_u32 v0, v55, v10
	v_readlane_b32 s60, v44, 0
	v_add_co_u32_e32 v0, vcc, v4, v0
	v_add_u32_e32 v54, s60, v15
	v_addc_co_u32_e32 v1, vcc, 0, v5, vcc
	v_cmp_gt_i16_sdwa s[60:61], v8, v16 src0_sel:BYTE_0 src1_sel:DWORD
	s_mov_b64 s[78:79], 0
	s_waitcnt vmcnt(0) lgkmcnt(0)
	buffer_store_dword v64, v54, s[0:3], 0 offen offset:108
                                        ; implicit-def: $vcc
                                        ; implicit-def: $sgpr86_sgpr87
                                        ; implicit-def: $vgpr55
	s_and_saveexec_b64 s[62:63], s[60:61]
	s_xor_b64 s[62:63], exec, s[62:63]
	v_writelane_b32 v44, s62, 32
	v_writelane_b32 v44, s63, 33
	s_cbranch_execz .LBB47_3068
; %bb.3009:                             ;   in Loop: Header=BB47_17 Depth=1
	v_cmp_gt_i16_sdwa vcc, v8, v17 src0_sel:BYTE_0 src1_sel:DWORD
                                        ; implicit-def: $sgpr62_sgpr63
                                        ; implicit-def: $sgpr86_sgpr87
                                        ; implicit-def: $vgpr55
	s_and_saveexec_b64 s[60:61], vcc
	s_xor_b64 s[76:77], exec, s[60:61]
	s_cbranch_execz .LBB47_3041
; %bb.3010:                             ;   in Loop: Header=BB47_17 Depth=1
	v_cmp_gt_i16_sdwa vcc, v8, v18 src0_sel:BYTE_0 src1_sel:DWORD
                                        ; implicit-def: $sgpr72_sgpr73
                                        ; implicit-def: $sgpr86_sgpr87
                                        ; implicit-def: $vgpr55
	s_and_saveexec_b64 s[60:61], vcc
	s_xor_b64 s[80:81], exec, s[60:61]
	s_cbranch_execz .LBB47_3026
; %bb.3011:                             ;   in Loop: Header=BB47_17 Depth=1
	v_cmp_gt_i16_sdwa s[60:61], v8, v19 src0_sel:BYTE_0 src1_sel:DWORD
	s_mov_b64 s[74:75], 0
                                        ; implicit-def: $vcc
                                        ; implicit-def: $sgpr86_sgpr87
                                        ; implicit-def: $vgpr55
	s_and_saveexec_b64 s[62:63], s[60:61]
	s_xor_b64 s[72:73], exec, s[62:63]
	s_cbranch_execz .LBB47_3021
; %bb.3012:                             ;   in Loop: Header=BB47_17 Depth=1
	v_cmp_gt_i16_sdwa vcc, v8, v20 src0_sel:BYTE_0 src1_sel:DWORD
                                        ; implicit-def: $sgpr86_sgpr87
                                        ; implicit-def: $sgpr74_sgpr75
                                        ; implicit-def: $vgpr55
	s_and_saveexec_b64 s[60:61], vcc
	s_xor_b64 vcc, exec, s[60:61]
	s_cbranch_execz .LBB47_3016
; %bb.3013:                             ;   in Loop: Header=BB47_17 Depth=1
	v_cmp_eq_u16_sdwa s[62:63], v8, v21 src0_sel:BYTE_0 src1_sel:DWORD
	s_mov_b64 s[74:75], 0
                                        ; implicit-def: $vgpr55
	s_and_saveexec_b64 s[60:61], s[62:63]
	s_cbranch_execz .LBB47_3015
; %bb.3014:                             ;   in Loop: Header=BB47_17 Depth=1
	flat_load_dword v0, v[0:1]
	s_mov_b64 s[66:67], exec
	s_waitcnt vmcnt(0) lgkmcnt(0)
	v_lshlrev_b32_e32 v55, 16, v0
.LBB47_3015:                            ;   in Loop: Header=BB47_17 Depth=1
	s_or_b64 exec, exec, s[60:61]
	s_mov_b64 s[86:87], -1
	s_and_b64 s[78:79], s[66:67], exec
                                        ; implicit-def: $vgpr0_vgpr1
.LBB47_3016:                            ;   in Loop: Header=BB47_17 Depth=1
	s_andn2_saveexec_b64 s[66:67], vcc
	s_cbranch_execz .LBB47_3020
; %bb.3017:                             ;   in Loop: Header=BB47_17 Depth=1
	v_cmp_eq_u16_sdwa s[60:61], v8, v22 src0_sel:BYTE_0 src1_sel:DWORD
	s_mov_b64 vcc, s[78:79]
                                        ; implicit-def: $vgpr55
	s_and_saveexec_b64 s[68:69], s[60:61]
	s_cbranch_execz .LBB47_3019
; %bb.3018:                             ;   in Loop: Header=BB47_17 Depth=1
	flat_load_ubyte v0, v[0:1]
	s_movk_i32 vcc_lo, 0xff
	s_waitcnt vmcnt(0) lgkmcnt(0)
	v_lshlrev_b32_e32 v1, 23, v0
	v_cmp_ne_u32_e32 vcc, vcc_lo, v0
	v_cndmask_b32_e32 v1, v23, v1, vcc
	v_cmp_ne_u32_e32 vcc, 0, v0
	v_cndmask_b32_e32 v55, v24, v1, vcc
	s_or_b64 vcc, s[78:79], exec
.LBB47_3019:                            ;   in Loop: Header=BB47_17 Depth=1
	s_or_b64 exec, exec, s[68:69]
	s_andn2_b64 s[60:61], s[78:79], exec
	s_and_b64 vcc, vcc, exec
	s_or_b64 s[86:87], s[86:87], exec
	s_andn2_b64 s[74:75], s[74:75], exec
	s_or_b64 s[78:79], s[60:61], vcc
.LBB47_3020:                            ;   in Loop: Header=BB47_17 Depth=1
	s_or_b64 exec, exec, s[66:67]
	s_and_b64 s[86:87], s[86:87], exec
	s_and_b64 vcc, s[74:75], exec
	s_and_b64 s[74:75], s[78:79], exec
                                        ; implicit-def: $vgpr0_vgpr1
.LBB47_3021:                            ;   in Loop: Header=BB47_17 Depth=1
	s_andn2_saveexec_b64 s[66:67], s[72:73]
	s_cbranch_execz .LBB47_3025
; %bb.3022:                             ;   in Loop: Header=BB47_17 Depth=1
	v_cmp_eq_u16_sdwa s[60:61], v8, v25 src0_sel:BYTE_0 src1_sel:DWORD
	s_mov_b64 s[70:71], s[74:75]
                                        ; implicit-def: $vgpr55
	s_and_saveexec_b64 s[68:69], s[60:61]
	s_cbranch_execz .LBB47_3024
; %bb.3023:                             ;   in Loop: Header=BB47_17 Depth=1
	flat_load_dwordx2 v[0:1], v[0:1]
	s_or_b64 s[70:71], s[74:75], exec
	s_waitcnt vmcnt(0) lgkmcnt(0)
	v_ffbh_u32_e32 v55, v1
	v_min_u32_e32 v55, 32, v55
	s_waitcnt vmcnt(0) expcnt(0) lgkmcnt(0)
	v_swap_b32 v2, v55
	v_lshlrev_b64 v[0:1], v2, v[0:1]
	v_swap_b32 v55, v2
	v_min_u32_e32 v0, 1, v0
	v_or_b32_e32 v0, v1, v0
	v_cvt_f32_u32_e32 v0, v0
	v_sub_u32_e32 v1, 32, v55
	v_ldexp_f32 v55, v0, v1
.LBB47_3024:                            ;   in Loop: Header=BB47_17 Depth=1
	s_or_b64 exec, exec, s[68:69]
	s_andn2_b64 s[60:61], s[74:75], exec
	s_and_b64 s[62:63], s[70:71], exec
	s_or_b64 s[86:87], s[86:87], exec
	s_andn2_b64 vcc, vcc, exec
	s_or_b64 s[74:75], s[60:61], s[62:63]
.LBB47_3025:                            ;   in Loop: Header=BB47_17 Depth=1
	s_or_b64 exec, exec, s[66:67]
	s_and_b64 s[86:87], s[86:87], exec
	s_and_b64 s[72:73], vcc, exec
	s_and_b64 s[78:79], s[74:75], exec
                                        ; implicit-def: $vgpr0_vgpr1
.LBB47_3026:                            ;   in Loop: Header=BB47_17 Depth=1
	s_andn2_saveexec_b64 s[80:81], s[80:81]
	s_cbranch_execz .LBB47_3040
; %bb.3027:                             ;   in Loop: Header=BB47_17 Depth=1
	v_cmp_gt_i16_sdwa vcc, v8, v26 src0_sel:BYTE_0 src1_sel:DWORD
                                        ; implicit-def: $vgpr55
	s_and_saveexec_b64 s[60:61], vcc
	s_xor_b64 vcc, exec, s[60:61]
	s_cbranch_execz .LBB47_3033
; %bb.3028:                             ;   in Loop: Header=BB47_17 Depth=1
	v_cmp_gt_i16_sdwa s[60:61], v8, v27 src0_sel:BYTE_0 src1_sel:DWORD
                                        ; implicit-def: $vgpr55
	s_and_saveexec_b64 s[62:63], s[60:61]
	s_xor_b64 s[60:61], exec, s[62:63]
	s_cbranch_execz .LBB47_3030
; %bb.3029:                             ;   in Loop: Header=BB47_17 Depth=1
	flat_load_dword v0, v[0:1]
	s_waitcnt vmcnt(0) lgkmcnt(0)
	v_cvt_f32_u32_e32 v55, v0
                                        ; implicit-def: $vgpr0_vgpr1
.LBB47_3030:                            ;   in Loop: Header=BB47_17 Depth=1
	s_andn2_saveexec_b64 s[60:61], s[60:61]
	s_cbranch_execz .LBB47_3032
; %bb.3031:                             ;   in Loop: Header=BB47_17 Depth=1
	flat_load_ushort v0, v[0:1]
	s_waitcnt vmcnt(0) lgkmcnt(0)
	v_cvt_f32_u32_e32 v55, v0
.LBB47_3032:                            ;   in Loop: Header=BB47_17 Depth=1
	s_or_b64 exec, exec, s[60:61]
                                        ; implicit-def: $vgpr0_vgpr1
.LBB47_3033:                            ;   in Loop: Header=BB47_17 Depth=1
	s_andn2_saveexec_b64 s[74:75], vcc
	s_cbranch_execz .LBB47_3039
; %bb.3034:                             ;   in Loop: Header=BB47_17 Depth=1
	flat_load_ubyte v0, v[0:1]
	s_movk_i32 vcc_lo, 0x7f
	s_mov_b64 s[66:67], 0
                                        ; implicit-def: $sgpr70
	s_waitcnt vmcnt(0) lgkmcnt(0)
	v_cmp_lt_i16_e32 vcc, vcc_lo, v0
	s_and_saveexec_b64 s[60:61], vcc
	s_xor_b64 s[68:69], exec, s[60:61]
	s_cbranch_execnz .LBB47_3610
; %bb.3035:                             ;   in Loop: Header=BB47_17 Depth=1
	s_or_saveexec_b64 s[68:69], s[68:69]
	v_mov_b32_e32 v55, s70
	s_xor_b64 exec, exec, s[68:69]
	s_cbranch_execnz .LBB47_3613
.LBB47_3036:                            ;   in Loop: Header=BB47_17 Depth=1
	s_or_b64 exec, exec, s[68:69]
	s_and_saveexec_b64 s[68:69], s[66:67]
	s_cbranch_execz .LBB47_3038
.LBB47_3037:                            ;   in Loop: Header=BB47_17 Depth=1
	v_lshlrev_b32_e32 v1, 24, v0
	v_and_b32_e32 v0, 0xffff, v0
	v_and_b32_e32 v55, 7, v0
	v_ffbh_u32_e32 v65, v55
	v_min_u32_e32 v65, 32, v65
	v_subrev_u32_e32 v66, 28, v65
	v_bfe_u32 v64, v0, 3, 4
	v_lshlrev_b32_e32 v0, v66, v0
	v_sub_u32_e32 v65, 29, v65
	v_and_b32_e32 v0, 7, v0
	v_cmp_eq_u32_e32 vcc, 0, v64
	v_cndmask_b32_e32 v64, v64, v65, vcc
	v_cndmask_b32_e32 v0, v55, v0, vcc
	v_lshlrev_b32_e32 v0, 20, v0
	v_and_b32_e32 v1, 0x80000000, v1
	v_lshl_add_u32 v55, v64, 23, v28
	v_or3_b32 v55, v1, v55, v0
.LBB47_3038:                            ;   in Loop: Header=BB47_17 Depth=1
	s_or_b64 exec, exec, s[68:69]
.LBB47_3039:                            ;   in Loop: Header=BB47_17 Depth=1
	s_or_b64 exec, exec, s[74:75]
	s_andn2_b64 s[86:87], s[86:87], exec
	s_andn2_b64 s[72:73], s[72:73], exec
	s_or_b64 s[78:79], s[78:79], exec
.LBB47_3040:                            ;   in Loop: Header=BB47_17 Depth=1
	s_or_b64 exec, exec, s[80:81]
	s_and_b64 s[86:87], s[86:87], exec
	s_and_b64 s[62:63], s[72:73], exec
	;; [unrolled: 1-line block ×3, first 2 shown]
                                        ; implicit-def: $vgpr0_vgpr1
.LBB47_3041:                            ;   in Loop: Header=BB47_17 Depth=1
	s_andn2_saveexec_b64 s[80:81], s[76:77]
	s_cbranch_execz .LBB47_3067
; %bb.3042:                             ;   in Loop: Header=BB47_17 Depth=1
	v_writelane_b32 v44, s62, 34
	v_cmp_gt_i16_sdwa vcc, v8, v29 src0_sel:BYTE_0 src1_sel:DWORD
	s_mov_b64 s[74:75], s[78:79]
	v_writelane_b32 v44, s63, 35
                                        ; implicit-def: $vgpr55
	s_and_saveexec_b64 s[60:61], vcc
	s_xor_b64 s[72:73], exec, s[60:61]
	s_cbranch_execz .LBB47_3056
; %bb.3043:                             ;   in Loop: Header=BB47_17 Depth=1
	v_cmp_gt_i16_sdwa vcc, v8, v30 src0_sel:BYTE_0 src1_sel:DWORD
                                        ; implicit-def: $vgpr55
	s_and_saveexec_b64 s[60:61], vcc
	s_xor_b64 s[62:63], exec, s[60:61]
	s_cbranch_execz .LBB47_3053
; %bb.3044:                             ;   in Loop: Header=BB47_17 Depth=1
	v_cmp_gt_i16_sdwa vcc, v8, v31 src0_sel:BYTE_0 src1_sel:DWORD
                                        ; implicit-def: $vgpr55
	s_and_saveexec_b64 s[60:61], vcc
	s_xor_b64 s[74:75], exec, s[60:61]
	s_cbranch_execz .LBB47_3050
; %bb.3045:                             ;   in Loop: Header=BB47_17 Depth=1
	flat_load_ubyte v0, v[0:1]
	s_movk_i32 vcc_lo, 0x7f
	s_mov_b64 s[66:67], 0
                                        ; implicit-def: $sgpr70
	s_waitcnt vmcnt(0) lgkmcnt(0)
	v_cmp_lt_i16_e32 vcc, vcc_lo, v0
	s_and_saveexec_b64 s[60:61], vcc
	s_xor_b64 s[68:69], exec, s[60:61]
	s_cbranch_execnz .LBB47_3618
; %bb.3046:                             ;   in Loop: Header=BB47_17 Depth=1
	s_or_saveexec_b64 s[68:69], s[68:69]
	v_mov_b32_e32 v55, s70
	s_xor_b64 exec, exec, s[68:69]
	s_cbranch_execnz .LBB47_3621
.LBB47_3047:                            ;   in Loop: Header=BB47_17 Depth=1
	s_or_b64 exec, exec, s[68:69]
	s_and_saveexec_b64 s[68:69], s[66:67]
	s_cbranch_execz .LBB47_3049
.LBB47_3048:                            ;   in Loop: Header=BB47_17 Depth=1
	v_lshlrev_b32_e32 v1, 24, v0
	v_and_b32_e32 v0, 0xffff, v0
	v_and_b32_e32 v55, 3, v0
	v_ffbh_u32_e32 v65, v55
	v_min_u32_e32 v65, 32, v65
	v_subrev_u32_e32 v66, 29, v65
	v_bfe_u32 v64, v0, 2, 5
	v_lshlrev_b32_e32 v0, v66, v0
	v_sub_u32_e32 v65, 30, v65
	v_and_b32_e32 v0, 3, v0
	v_cmp_eq_u32_e32 vcc, 0, v64
	v_cndmask_b32_e32 v64, v64, v65, vcc
	v_cndmask_b32_e32 v0, v55, v0, vcc
	v_lshlrev_b32_e32 v0, 21, v0
	v_and_b32_e32 v1, 0x80000000, v1
	v_lshl_add_u32 v55, v64, 23, v32
	v_or3_b32 v55, v1, v55, v0
.LBB47_3049:                            ;   in Loop: Header=BB47_17 Depth=1
	s_or_b64 exec, exec, s[68:69]
                                        ; implicit-def: $vgpr0_vgpr1
.LBB47_3050:                            ;   in Loop: Header=BB47_17 Depth=1
	s_andn2_saveexec_b64 s[66:67], s[74:75]
	s_cbranch_execz .LBB47_3052
; %bb.3051:                             ;   in Loop: Header=BB47_17 Depth=1
	flat_load_ubyte v0, v[0:1]
	s_mov_b32 vcc_lo, 0x7f800000
	s_waitcnt vmcnt(0) lgkmcnt(0)
	v_lshlrev_b32_e32 v0, 24, v0
	v_and_b32_e32 v1, 0x7f000000, v0
	v_ffbh_u32_e32 v55, v1
	v_min_u32_e32 v55, 32, v55
	v_sub_u32_e64 v55, v55, 4 clamp
	v_lshlrev_b32_e32 v65, v55, v1
	v_lshlrev_b32_e32 v55, 23, v55
	v_lshrrev_b32_e32 v65, 4, v65
	v_add_u32_e32 v64, 0x1000000, v1
	v_sub_u32_e32 v55, v65, v55
	v_ashrrev_i32_e32 v64, 8, v64
	v_add_u32_e32 v55, 0x3c000000, v55
	v_and_or_b32 v55, v64, vcc_lo, v55
	v_cmp_ne_u32_e32 vcc, 0, v1
	v_cndmask_b32_e32 v1, 0, v55, vcc
	s_brev_b32 vcc_lo, 1
	v_and_or_b32 v55, v0, vcc_lo, v1
.LBB47_3052:                            ;   in Loop: Header=BB47_17 Depth=1
	s_or_b64 exec, exec, s[66:67]
                                        ; implicit-def: $vgpr0_vgpr1
.LBB47_3053:                            ;   in Loop: Header=BB47_17 Depth=1
	s_andn2_saveexec_b64 s[66:67], s[62:63]
	s_cbranch_execz .LBB47_3055
; %bb.3054:                             ;   in Loop: Header=BB47_17 Depth=1
	flat_load_ubyte v0, v[0:1]
	s_movk_i32 vcc_lo, 0x7f00
	s_waitcnt vmcnt(0) lgkmcnt(0)
	v_lshlrev_b16_e32 v1, 8, v0
	v_lshlrev_b32_e32 v0, 25, v0
	v_lshrrev_b32_e32 v55, 4, v0
	v_and_or_b32 v64, v1, vcc_lo, 0.5
	v_or_b32_e32 v55, 0x70000000, v55
	s_brev_b32 vcc_lo, 16
	v_add_f32_e32 v64, -0.5, v64
	v_mul_f32_e32 v55, 0x7800000, v55
	v_cmp_gt_u32_e32 vcc, vcc_lo, v0
	v_cndmask_b32_e32 v0, v55, v64, vcc
	v_bfe_i32 v1, v1, 0, 16
	s_brev_b32 vcc_lo, 1
	v_and_or_b32 v55, v1, vcc_lo, v0
.LBB47_3055:                            ;   in Loop: Header=BB47_17 Depth=1
	s_or_b64 exec, exec, s[66:67]
	s_or_b64 s[74:75], s[78:79], exec
                                        ; implicit-def: $vgpr0_vgpr1
.LBB47_3056:                            ;   in Loop: Header=BB47_17 Depth=1
	s_or_saveexec_b64 s[72:73], s[72:73]
                                        ; implicit-def: $vcc
                                        ; implicit-def: $sgpr68_sgpr69
	s_xor_b64 exec, exec, s[72:73]
	s_cbranch_execz .LBB47_3066
; %bb.3057:                             ;   in Loop: Header=BB47_17 Depth=1
	v_cmp_gt_i16_sdwa vcc, v8, v33 src0_sel:BYTE_0 src1_sel:DWORD
	s_mov_b64 s[66:67], s[74:75]
                                        ; implicit-def: $sgpr68_sgpr69
                                        ; implicit-def: $sgpr76_sgpr77
                                        ; implicit-def: $vgpr55
	s_and_saveexec_b64 s[60:61], vcc
	s_xor_b64 vcc, exec, s[60:61]
	s_cbranch_execz .LBB47_3061
; %bb.3058:                             ;   in Loop: Header=BB47_17 Depth=1
	v_cmp_eq_u16_sdwa s[62:63], v8, v34 src0_sel:BYTE_0 src1_sel:DWORD
	s_mov_b64 s[66:67], s[74:75]
                                        ; implicit-def: $vgpr55
	s_and_saveexec_b64 s[60:61], s[62:63]
	s_cbranch_execz .LBB47_3060
; %bb.3059:                             ;   in Loop: Header=BB47_17 Depth=1
	flat_load_ushort v0, v[0:1]
	s_or_b64 s[66:67], s[74:75], exec
	s_waitcnt vmcnt(0) lgkmcnt(0)
	v_lshlrev_b32_e32 v55, 16, v0
.LBB47_3060:                            ;   in Loop: Header=BB47_17 Depth=1
	s_or_b64 exec, exec, s[60:61]
	s_andn2_b64 s[60:61], s[74:75], exec
	s_and_b64 s[62:63], s[66:67], exec
	s_mov_b64 s[76:77], 0
	s_mov_b64 s[68:69], -1
	s_or_b64 s[66:67], s[60:61], s[62:63]
                                        ; implicit-def: $vgpr0_vgpr1
.LBB47_3061:                            ;   in Loop: Header=BB47_17 Depth=1
	s_andn2_saveexec_b64 s[70:71], vcc
	s_cbranch_execz .LBB47_3065
; %bb.3062:                             ;   in Loop: Header=BB47_17 Depth=1
	v_cmp_eq_u16_sdwa s[62:63], v8, v35 src0_sel:BYTE_0 src1_sel:DWORD
	s_mov_b64 vcc, s[66:67]
                                        ; implicit-def: $vgpr55
	s_and_saveexec_b64 s[60:61], s[62:63]
	s_cbranch_execz .LBB47_3064
; %bb.3063:                             ;   in Loop: Header=BB47_17 Depth=1
	flat_load_ubyte v0, v[0:1]
	s_waitcnt vmcnt(0) lgkmcnt(0)
	v_cmp_ne_u16_e32 vcc, 0, v0
	v_cndmask_b32_e64 v55, 0, 1.0, vcc
	s_or_b64 vcc, s[66:67], exec
.LBB47_3064:                            ;   in Loop: Header=BB47_17 Depth=1
	s_or_b64 exec, exec, s[60:61]
	s_andn2_b64 s[60:61], s[66:67], exec
	s_and_b64 vcc, vcc, exec
	s_or_b64 s[68:69], s[68:69], exec
	s_andn2_b64 s[76:77], s[76:77], exec
	s_or_b64 s[66:67], s[60:61], vcc
.LBB47_3065:                            ;   in Loop: Header=BB47_17 Depth=1
	s_or_b64 exec, exec, s[70:71]
	s_andn2_b64 s[60:61], s[74:75], exec
	s_and_b64 s[62:63], s[66:67], exec
	s_and_b64 s[68:69], s[68:69], exec
	s_and_b64 vcc, s[76:77], exec
	s_or_b64 s[74:75], s[60:61], s[62:63]
.LBB47_3066:                            ;   in Loop: Header=BB47_17 Depth=1
	s_or_b64 exec, exec, s[72:73]
	s_andn2_b64 s[60:61], s[86:87], exec
	s_and_b64 s[62:63], s[68:69], exec
	s_or_b64 s[86:87], s[60:61], s[62:63]
	v_readlane_b32 s60, v44, 34
	v_readlane_b32 s61, v44, 35
	s_andn2_b64 s[60:61], s[60:61], exec
	s_and_b64 vcc, vcc, exec
	s_or_b64 s[62:63], s[60:61], vcc
	s_andn2_b64 vcc, s[78:79], exec
	s_and_b64 s[60:61], s[74:75], exec
	s_or_b64 s[78:79], vcc, s[60:61]
.LBB47_3067:                            ;   in Loop: Header=BB47_17 Depth=1
	s_or_b64 exec, exec, s[80:81]
	s_and_b64 s[86:87], s[86:87], exec
	s_and_b64 vcc, s[62:63], exec
	s_and_b64 s[78:79], s[78:79], exec
                                        ; implicit-def: $vgpr0_vgpr1
.LBB47_3068:                            ;   in Loop: Header=BB47_17 Depth=1
	v_readlane_b32 s60, v44, 32
	v_readlane_b32 s61, v44, 33
	s_andn2_saveexec_b64 s[80:81], s[60:61]
	s_cbranch_execz .LBB47_3110
; %bb.3069:                             ;   in Loop: Header=BB47_17 Depth=1
	v_cmp_gt_i16_sdwa s[60:61], v8, v36 src0_sel:BYTE_0 src1_sel:DWORD
                                        ; implicit-def: $vgpr55
	s_and_saveexec_b64 s[62:63], s[60:61]
	s_xor_b64 s[72:73], exec, s[62:63]
	s_cbranch_execz .LBB47_3091
; %bb.3070:                             ;   in Loop: Header=BB47_17 Depth=1
	v_cmp_gt_i16_sdwa s[60:61], v8, v37 src0_sel:BYTE_0 src1_sel:DWORD
                                        ; implicit-def: $vgpr55
	s_and_saveexec_b64 s[62:63], s[60:61]
	s_xor_b64 s[66:67], exec, s[62:63]
	;; [unrolled: 6-line block ×4, first 2 shown]
	s_cbranch_execz .LBB47_3074
; %bb.3073:                             ;   in Loop: Header=BB47_17 Depth=1
	flat_load_dwordx2 v[0:1], v[0:1]
	s_waitcnt vmcnt(0) lgkmcnt(0)
	v_cvt_f32_f64_e32 v55, v[0:1]
                                        ; implicit-def: $vgpr0_vgpr1
.LBB47_3074:                            ;   in Loop: Header=BB47_17 Depth=1
	s_andn2_saveexec_b64 s[60:61], s[60:61]
	s_cbranch_execz .LBB47_3076
; %bb.3075:                             ;   in Loop: Header=BB47_17 Depth=1
	flat_load_dword v55, v[0:1]
.LBB47_3076:                            ;   in Loop: Header=BB47_17 Depth=1
	s_or_b64 exec, exec, s[60:61]
                                        ; implicit-def: $vgpr0_vgpr1
.LBB47_3077:                            ;   in Loop: Header=BB47_17 Depth=1
	s_andn2_saveexec_b64 s[60:61], s[68:69]
	s_cbranch_execz .LBB47_3079
; %bb.3078:                             ;   in Loop: Header=BB47_17 Depth=1
	flat_load_dword v0, v[0:1]
	s_waitcnt vmcnt(0) lgkmcnt(0)
	v_cvt_f32_f16_e32 v55, v0
.LBB47_3079:                            ;   in Loop: Header=BB47_17 Depth=1
	s_or_b64 exec, exec, s[60:61]
                                        ; implicit-def: $vgpr0_vgpr1
.LBB47_3080:                            ;   in Loop: Header=BB47_17 Depth=1
	s_andn2_saveexec_b64 s[66:67], s[66:67]
	s_cbranch_execz .LBB47_3090
; %bb.3081:                             ;   in Loop: Header=BB47_17 Depth=1
	v_cmp_gt_i16_sdwa s[60:61], v8, v48 src0_sel:BYTE_0 src1_sel:DWORD
                                        ; implicit-def: $vgpr55
	s_and_saveexec_b64 s[62:63], s[60:61]
	s_xor_b64 s[68:69], exec, s[62:63]
	s_cbranch_execz .LBB47_3087
; %bb.3082:                             ;   in Loop: Header=BB47_17 Depth=1
	v_cmp_gt_i16_sdwa s[60:61], v8, v49 src0_sel:BYTE_0 src1_sel:DWORD
                                        ; implicit-def: $vgpr55
	s_and_saveexec_b64 s[62:63], s[60:61]
	s_xor_b64 s[60:61], exec, s[62:63]
	s_cbranch_execz .LBB47_3084
; %bb.3083:                             ;   in Loop: Header=BB47_17 Depth=1
	flat_load_dwordx2 v[0:1], v[0:1]
	s_waitcnt vmcnt(0) lgkmcnt(0)
	v_cvt_f32_f64_e32 v55, v[0:1]
                                        ; implicit-def: $vgpr0_vgpr1
.LBB47_3084:                            ;   in Loop: Header=BB47_17 Depth=1
	s_andn2_saveexec_b64 s[60:61], s[60:61]
	s_cbranch_execz .LBB47_3086
; %bb.3085:                             ;   in Loop: Header=BB47_17 Depth=1
	s_waitcnt vmcnt(0) lgkmcnt(0)
	flat_load_dword v55, v[0:1]
.LBB47_3086:                            ;   in Loop: Header=BB47_17 Depth=1
	s_or_b64 exec, exec, s[60:61]
                                        ; implicit-def: $vgpr0_vgpr1
.LBB47_3087:                            ;   in Loop: Header=BB47_17 Depth=1
	s_andn2_saveexec_b64 s[60:61], s[68:69]
	s_cbranch_execz .LBB47_3089
; %bb.3088:                             ;   in Loop: Header=BB47_17 Depth=1
	flat_load_ushort v0, v[0:1]
	s_waitcnt vmcnt(0) lgkmcnt(0)
	v_cvt_f32_f16_e32 v55, v0
.LBB47_3089:                            ;   in Loop: Header=BB47_17 Depth=1
	s_or_b64 exec, exec, s[60:61]
.LBB47_3090:                            ;   in Loop: Header=BB47_17 Depth=1
	s_or_b64 exec, exec, s[66:67]
                                        ; implicit-def: $vgpr0_vgpr1
.LBB47_3091:                            ;   in Loop: Header=BB47_17 Depth=1
	s_andn2_saveexec_b64 s[72:73], s[72:73]
	s_cbranch_execz .LBB47_3109
; %bb.3092:                             ;   in Loop: Header=BB47_17 Depth=1
	v_cmp_gt_i16_sdwa s[60:61], v8, v50 src0_sel:BYTE_0 src1_sel:DWORD
                                        ; implicit-def: $vgpr55
	s_and_saveexec_b64 s[62:63], s[60:61]
	s_xor_b64 s[74:75], exec, s[62:63]
	s_cbranch_execz .LBB47_3102
; %bb.3093:                             ;   in Loop: Header=BB47_17 Depth=1
	v_cmp_gt_i16_sdwa s[60:61], v8, v51 src0_sel:BYTE_0 src1_sel:DWORD
                                        ; implicit-def: $vgpr55
	s_and_saveexec_b64 s[62:63], s[60:61]
	s_xor_b64 s[66:67], exec, s[62:63]
	;; [unrolled: 6-line block ×3, first 2 shown]
	s_cbranch_execz .LBB47_3096
; %bb.3095:                             ;   in Loop: Header=BB47_17 Depth=1
	flat_load_dwordx2 v[0:1], v[0:1]
	s_waitcnt vmcnt(0) lgkmcnt(0)
	v_xor_b32_e32 v64, v0, v1
	v_ffbh_i32_e32 v55, v1
	v_ashrrev_i32_e32 v64, 31, v64
	v_add_u32_e32 v55, -1, v55
	v_add_u32_e32 v64, 32, v64
	v_min_u32_e32 v55, v55, v64
	s_waitcnt vmcnt(0) expcnt(0) lgkmcnt(0)
	v_swap_b32 v2, v55
	v_lshlrev_b64 v[0:1], v2, v[0:1]
	v_swap_b32 v55, v2
	v_min_u32_e32 v0, 1, v0
	v_or_b32_e32 v0, v1, v0
	v_cvt_f32_i32_e32 v0, v0
	v_sub_u32_e32 v1, 32, v55
	v_ldexp_f32 v55, v0, v1
                                        ; implicit-def: $vgpr0_vgpr1
.LBB47_3096:                            ;   in Loop: Header=BB47_17 Depth=1
	s_andn2_saveexec_b64 s[60:61], s[68:69]
	s_cbranch_execz .LBB47_3098
; %bb.3097:                             ;   in Loop: Header=BB47_17 Depth=1
	flat_load_dword v0, v[0:1]
	s_waitcnt vmcnt(0) lgkmcnt(0)
	v_cvt_f32_i32_e32 v55, v0
.LBB47_3098:                            ;   in Loop: Header=BB47_17 Depth=1
	s_or_b64 exec, exec, s[60:61]
                                        ; implicit-def: $vgpr0_vgpr1
.LBB47_3099:                            ;   in Loop: Header=BB47_17 Depth=1
	s_andn2_saveexec_b64 s[60:61], s[66:67]
	s_cbranch_execz .LBB47_3101
; %bb.3100:                             ;   in Loop: Header=BB47_17 Depth=1
	flat_load_sshort v0, v[0:1]
	s_waitcnt vmcnt(0) lgkmcnt(0)
	v_cvt_f32_i32_e32 v55, v0
.LBB47_3101:                            ;   in Loop: Header=BB47_17 Depth=1
	s_or_b64 exec, exec, s[60:61]
                                        ; implicit-def: $vgpr0_vgpr1
.LBB47_3102:                            ;   in Loop: Header=BB47_17 Depth=1
	s_andn2_saveexec_b64 s[66:67], s[74:75]
	s_cbranch_execz .LBB47_3108
; %bb.3103:                             ;   in Loop: Header=BB47_17 Depth=1
	v_cmp_gt_i16_sdwa s[60:61], v8, v14 src0_sel:BYTE_0 src1_sel:DWORD
                                        ; implicit-def: $vgpr55
	s_and_saveexec_b64 s[62:63], s[60:61]
	s_xor_b64 s[60:61], exec, s[62:63]
	s_cbranch_execz .LBB47_3105
; %bb.3104:                             ;   in Loop: Header=BB47_17 Depth=1
	flat_load_sbyte v0, v[0:1]
	s_waitcnt vmcnt(0) lgkmcnt(0)
	v_cvt_f32_i32_e32 v55, v0
                                        ; implicit-def: $vgpr0_vgpr1
.LBB47_3105:                            ;   in Loop: Header=BB47_17 Depth=1
	s_andn2_saveexec_b64 s[60:61], s[60:61]
	s_cbranch_execz .LBB47_3107
; %bb.3106:                             ;   in Loop: Header=BB47_17 Depth=1
	flat_load_ubyte v0, v[0:1]
	s_waitcnt vmcnt(0) lgkmcnt(0)
	v_cvt_f32_ubyte0_e32 v55, v0
.LBB47_3107:                            ;   in Loop: Header=BB47_17 Depth=1
	s_or_b64 exec, exec, s[60:61]
.LBB47_3108:                            ;   in Loop: Header=BB47_17 Depth=1
	s_or_b64 exec, exec, s[66:67]
.LBB47_3109:                            ;   in Loop: Header=BB47_17 Depth=1
	s_or_b64 exec, exec, s[72:73]
	s_andn2_b64 s[86:87], s[86:87], exec
	s_andn2_b64 vcc, vcc, exec
	s_or_b64 s[78:79], s[78:79], exec
.LBB47_3110:                            ;   in Loop: Header=BB47_17 Depth=1
	s_or_b64 exec, exec, s[80:81]
	s_mov_b64 s[66:67], 0
	s_and_saveexec_b64 s[68:69], s[78:79]
	s_cbranch_execz .LBB47_3112
; %bb.3111:                             ;   in Loop: Header=BB47_17 Depth=1
	s_mov_b64 s[66:67], exec
	v_add_u32_e32 v53, 0x200, v53
	s_andn2_b64 s[86:87], s[86:87], exec
	s_andn2_b64 vcc, vcc, exec
	s_waitcnt vmcnt(0) lgkmcnt(0)
	buffer_store_dword v55, v54, s[0:3], 0 offen offset:104
.LBB47_3112:                            ;   in Loop: Header=BB47_17 Depth=1
	s_or_b64 exec, exec, s[68:69]
	s_andn2_b64 s[60:61], s[92:93], exec
	s_and_b64 s[62:63], s[86:87], exec
	s_or_b64 s[92:93], s[60:61], s[62:63]
	s_andn2_b64 s[60:61], s[94:95], exec
	s_and_b64 vcc, vcc, exec
	s_or_b64 s[94:95], s[60:61], vcc
	s_and_b64 s[66:67], s[66:67], exec
.LBB47_3113:                            ;   in Loop: Header=BB47_17 Depth=1
	s_or_b64 exec, exec, s[84:85]
	s_and_b64 vcc, s[92:93], exec
	v_writelane_b32 v44, vcc_lo, 28
	v_writelane_b32 v44, vcc_hi, 29
	s_and_b64 vcc, s[94:95], exec
	v_writelane_b32 v44, vcc_lo, 30
	v_writelane_b32 v44, vcc_hi, 31
	s_orn2_b64 s[66:67], s[66:67], exec
.LBB47_3114:                            ;   in Loop: Header=BB47_17 Depth=1
	s_or_b64 exec, exec, s[90:91]
	s_and_saveexec_b64 s[94:95], s[66:67]
	s_cbranch_execz .LBB47_3
; %bb.3115:                             ;   in Loop: Header=BB47_17 Depth=1
	s_mov_b64 s[60:61], -1
	v_cmp_lt_i32_e32 vcc, v53, v6
	v_writelane_b32 v44, s60, 36
	s_mov_b64 s[66:67], -1
	v_writelane_b32 v44, s61, 37
                                        ; implicit-def: $sgpr62_sgpr63
                                        ; implicit-def: $sgpr60_sgpr61
                                        ; kill: killed $sgpr60_sgpr61
	s_and_saveexec_b64 s[96:97], vcc
	s_cbranch_execz .LBB47_3341
; %bb.3116:                             ;   in Loop: Header=BB47_17 Depth=1
	v_readlane_b32 vcc_lo, v44, 1
	s_waitcnt vmcnt(0) lgkmcnt(0)
	v_add_u32_e32 v55, vcc_lo, v53
	v_mul_lo_u32 v0, v55, v9
	v_add_co_u32_e32 v0, vcc, v2, v0
	v_addc_co_u32_e32 v1, vcc, 0, v3, vcc
	v_cmp_gt_i16_sdwa s[60:61], v7, v16 src0_sel:BYTE_0 src1_sel:DWORD
	s_mov_b64 vcc, 0
                                        ; implicit-def: $sgpr92_sgpr93
                                        ; implicit-def: $sgpr90_sgpr91
                                        ; implicit-def: $vgpr64
	s_and_saveexec_b64 s[62:63], s[60:61]
	s_xor_b64 s[84:85], exec, s[62:63]
	s_cbranch_execnz .LBB47_3135
; %bb.3117:                             ;   in Loop: Header=BB47_17 Depth=1
	s_andn2_saveexec_b64 s[78:79], s[84:85]
	s_cbranch_execnz .LBB47_3194
.LBB47_3118:                            ;   in Loop: Header=BB47_17 Depth=1
	s_or_b64 exec, exec, s[78:79]
	s_mov_b64 s[66:67], 0
	s_and_saveexec_b64 s[84:85], vcc
	s_cbranch_execnz .LBB47_3235
	s_branch .LBB47_3340
.LBB47_3119:                            ;   in Loop: Header=BB47_17 Depth=1
	s_movk_i32 vcc_lo, 0x80
	v_cmp_eq_u16_e32 vcc, vcc_lo, v0
	s_mov_b64 s[86:87], -1
                                        ; implicit-def: $sgpr92
	s_and_saveexec_b64 s[90:91], vcc
; %bb.3120:                             ;   in Loop: Header=BB47_17 Depth=1
	s_mov_b32 s92, 0x7f800001
	s_xor_b64 s[86:87], exec, -1
; %bb.3121:                             ;   in Loop: Header=BB47_17 Depth=1
	s_or_b64 exec, exec, s[90:91]
	s_and_b64 s[86:87], s[86:87], exec
	s_or_saveexec_b64 s[88:89], s[88:89]
	v_mov_b32_e32 v54, s92
	s_xor_b64 exec, exec, s[88:89]
	s_cbranch_execz .LBB47_1938
.LBB47_3122:                            ;   in Loop: Header=BB47_17 Depth=1
	v_cmp_ne_u16_e32 vcc, 0, v0
	s_andn2_b64 s[86:87], s[86:87], exec
	s_and_b64 vcc, vcc, exec
	v_mov_b32_e32 v54, 0
	s_or_b64 s[86:87], s[86:87], vcc
	s_or_b64 exec, exec, s[88:89]
	s_and_saveexec_b64 s[88:89], s[86:87]
	s_cbranch_execnz .LBB47_1939
	s_branch .LBB47_1940
.LBB47_3123:                            ;   in Loop: Header=BB47_17 Depth=1
	s_movk_i32 vcc_lo, 0x80
	v_cmp_eq_u16_e32 vcc, vcc_lo, v0
	s_mov_b64 s[86:87], -1
                                        ; implicit-def: $sgpr90
	s_and_saveexec_b64 s[60:61], vcc
; %bb.3124:                             ;   in Loop: Header=BB47_17 Depth=1
	s_mov_b32 s90, 0x7f800001
	s_xor_b64 s[86:87], exec, -1
; %bb.3125:                             ;   in Loop: Header=BB47_17 Depth=1
	s_or_b64 exec, exec, s[60:61]
	s_and_b64 s[86:87], s[86:87], exec
	s_or_saveexec_b64 s[88:89], s[88:89]
	v_mov_b32_e32 v64, s90
	s_xor_b64 exec, exec, s[88:89]
	s_cbranch_execz .LBB47_2038
.LBB47_3126:                            ;   in Loop: Header=BB47_17 Depth=1
	v_cmp_ne_u16_e32 vcc, 0, v0
	s_andn2_b64 s[60:61], s[86:87], exec
	s_and_b64 vcc, vcc, exec
	v_mov_b32_e32 v64, 0
	s_or_b64 s[86:87], s[60:61], vcc
	s_or_b64 exec, exec, s[88:89]
	s_and_saveexec_b64 s[88:89], s[86:87]
	s_cbranch_execnz .LBB47_2039
	s_branch .LBB47_2040
.LBB47_3127:                            ;   in Loop: Header=BB47_17 Depth=1
	s_movk_i32 vcc_lo, 0x80
	v_cmp_eq_u16_e32 vcc, vcc_lo, v0
	s_mov_b64 s[90:91], -1
                                        ; implicit-def: $sgpr94
	s_and_saveexec_b64 s[60:61], vcc
; %bb.3128:                             ;   in Loop: Header=BB47_17 Depth=1
	s_mov_b32 s94, 0x7f800001
	s_xor_b64 s[90:91], exec, -1
; %bb.3129:                             ;   in Loop: Header=BB47_17 Depth=1
	s_or_b64 exec, exec, s[60:61]
	s_and_b64 s[90:91], s[90:91], exec
	s_or_saveexec_b64 s[92:93], s[92:93]
	v_mov_b32_e32 v54, s94
	s_xor_b64 exec, exec, s[92:93]
	s_cbranch_execz .LBB47_2154
.LBB47_3130:                            ;   in Loop: Header=BB47_17 Depth=1
	v_cmp_ne_u16_e32 vcc, 0, v0
	s_andn2_b64 s[60:61], s[90:91], exec
	s_and_b64 vcc, vcc, exec
	v_mov_b32_e32 v54, 0
	s_or_b64 s[90:91], s[60:61], vcc
	s_or_b64 exec, exec, s[92:93]
	s_and_saveexec_b64 s[92:93], s[90:91]
	s_cbranch_execnz .LBB47_2155
	s_branch .LBB47_2156
.LBB47_3131:                            ;   in Loop: Header=BB47_17 Depth=1
	s_movk_i32 vcc_lo, 0x80
	v_cmp_eq_u16_e32 vcc, vcc_lo, v0
	s_mov_b64 s[66:67], -1
                                        ; implicit-def: $sgpr70
	s_and_saveexec_b64 s[60:61], vcc
; %bb.3132:                             ;   in Loop: Header=BB47_17 Depth=1
	s_mov_b32 s70, 0x7f800001
	s_xor_b64 s[66:67], exec, -1
; %bb.3133:                             ;   in Loop: Header=BB47_17 Depth=1
	s_or_b64 exec, exec, s[60:61]
	s_and_b64 s[66:67], s[66:67], exec
	s_or_saveexec_b64 s[68:69], s[68:69]
	v_mov_b32_e32 v64, s70
	s_xor_b64 exec, exec, s[68:69]
	s_cbranch_execz .LBB47_2254
.LBB47_3134:                            ;   in Loop: Header=BB47_17 Depth=1
	v_cmp_ne_u16_e32 vcc, 0, v0
	s_andn2_b64 s[60:61], s[66:67], exec
	s_and_b64 vcc, vcc, exec
	v_mov_b32_e32 v64, 0
	s_or_b64 s[66:67], s[60:61], vcc
	s_or_b64 exec, exec, s[68:69]
	s_and_saveexec_b64 s[68:69], s[66:67]
	s_cbranch_execnz .LBB47_2255
	s_branch .LBB47_2256
.LBB47_3135:                            ;   in Loop: Header=BB47_17 Depth=1
	v_cmp_gt_i16_sdwa vcc, v7, v17 src0_sel:BYTE_0 src1_sel:DWORD
	s_mov_b64 s[78:79], 0
                                        ; implicit-def: $sgpr80_sgpr81
                                        ; implicit-def: $sgpr86_sgpr87
                                        ; implicit-def: $vgpr64
	s_and_saveexec_b64 s[60:61], vcc
	s_xor_b64 s[90:91], exec, s[60:61]
	s_cbranch_execz .LBB47_3167
; %bb.3136:                             ;   in Loop: Header=BB47_17 Depth=1
	v_cmp_gt_i16_sdwa vcc, v7, v18 src0_sel:BYTE_0 src1_sel:DWORD
                                        ; implicit-def: $sgpr72_sgpr73
                                        ; implicit-def: $sgpr86_sgpr87
                                        ; implicit-def: $vgpr64
	s_and_saveexec_b64 s[60:61], vcc
	s_xor_b64 s[80:81], exec, s[60:61]
	s_cbranch_execz .LBB47_3152
; %bb.3137:                             ;   in Loop: Header=BB47_17 Depth=1
	v_cmp_gt_i16_sdwa s[60:61], v7, v19 src0_sel:BYTE_0 src1_sel:DWORD
	s_mov_b64 s[74:75], 0
                                        ; implicit-def: $vcc
                                        ; implicit-def: $sgpr86_sgpr87
                                        ; implicit-def: $vgpr64
	s_and_saveexec_b64 s[62:63], s[60:61]
	s_xor_b64 s[72:73], exec, s[62:63]
	s_cbranch_execz .LBB47_3147
; %bb.3138:                             ;   in Loop: Header=BB47_17 Depth=1
	v_cmp_gt_i16_sdwa vcc, v7, v20 src0_sel:BYTE_0 src1_sel:DWORD
                                        ; implicit-def: $sgpr74_sgpr75
                                        ; implicit-def: $sgpr92_sgpr93
                                        ; implicit-def: $vgpr64
	s_and_saveexec_b64 s[60:61], vcc
	s_xor_b64 vcc, exec, s[60:61]
	s_cbranch_execz .LBB47_3142
; %bb.3139:                             ;   in Loop: Header=BB47_17 Depth=1
	v_cmp_eq_u16_sdwa s[62:63], v7, v21 src0_sel:BYTE_0 src1_sel:DWORD
	s_mov_b64 s[74:75], 0
	s_mov_b64 s[66:67], 0
                                        ; implicit-def: $vgpr64
	s_and_saveexec_b64 s[60:61], s[62:63]
	s_cbranch_execz .LBB47_3141
; %bb.3140:                             ;   in Loop: Header=BB47_17 Depth=1
	flat_load_dword v0, v[0:1]
	s_mov_b64 s[66:67], exec
	s_waitcnt vmcnt(0) lgkmcnt(0)
	v_lshlrev_b32_e32 v64, 16, v0
.LBB47_3141:                            ;   in Loop: Header=BB47_17 Depth=1
	s_or_b64 exec, exec, s[60:61]
	s_mov_b64 s[92:93], -1
	s_and_b64 s[78:79], s[66:67], exec
                                        ; implicit-def: $vgpr0_vgpr1
.LBB47_3142:                            ;   in Loop: Header=BB47_17 Depth=1
	s_andn2_saveexec_b64 s[66:67], vcc
	s_cbranch_execz .LBB47_3146
; %bb.3143:                             ;   in Loop: Header=BB47_17 Depth=1
	v_cmp_eq_u16_sdwa s[60:61], v7, v22 src0_sel:BYTE_0 src1_sel:DWORD
	s_mov_b64 vcc, s[78:79]
                                        ; implicit-def: $vgpr64
	s_and_saveexec_b64 s[68:69], s[60:61]
	s_cbranch_execz .LBB47_3145
; %bb.3144:                             ;   in Loop: Header=BB47_17 Depth=1
	flat_load_ubyte v0, v[0:1]
	s_movk_i32 vcc_lo, 0xff
	s_waitcnt vmcnt(0) lgkmcnt(0)
	v_lshlrev_b32_e32 v1, 23, v0
	v_cmp_ne_u32_e32 vcc, vcc_lo, v0
	v_cndmask_b32_e32 v1, v23, v1, vcc
	v_cmp_ne_u32_e32 vcc, 0, v0
	v_cndmask_b32_e32 v64, v24, v1, vcc
	s_or_b64 vcc, s[78:79], exec
.LBB47_3145:                            ;   in Loop: Header=BB47_17 Depth=1
	s_or_b64 exec, exec, s[68:69]
	s_andn2_b64 s[60:61], s[78:79], exec
	s_and_b64 vcc, vcc, exec
	s_andn2_b64 s[74:75], s[74:75], exec
	s_or_b64 s[92:93], s[92:93], exec
	s_or_b64 s[78:79], s[60:61], vcc
.LBB47_3146:                            ;   in Loop: Header=BB47_17 Depth=1
	s_or_b64 exec, exec, s[66:67]
	s_and_b64 s[86:87], s[74:75], exec
	s_and_b64 vcc, s[92:93], exec
	s_and_b64 s[74:75], s[78:79], exec
                                        ; implicit-def: $vgpr0_vgpr1
.LBB47_3147:                            ;   in Loop: Header=BB47_17 Depth=1
	s_andn2_saveexec_b64 s[66:67], s[72:73]
	s_cbranch_execz .LBB47_3151
; %bb.3148:                             ;   in Loop: Header=BB47_17 Depth=1
	v_cmp_eq_u16_sdwa s[60:61], v7, v25 src0_sel:BYTE_0 src1_sel:DWORD
	s_mov_b64 s[70:71], s[74:75]
                                        ; implicit-def: $vgpr64
	s_and_saveexec_b64 s[68:69], s[60:61]
	s_cbranch_execz .LBB47_3150
; %bb.3149:                             ;   in Loop: Header=BB47_17 Depth=1
	flat_load_dwordx2 v[0:1], v[0:1]
	s_or_b64 s[70:71], s[74:75], exec
	s_waitcnt vmcnt(0) lgkmcnt(0)
	v_ffbh_u32_e32 v54, v1
	v_min_u32_e32 v54, 32, v54
	v_lshlrev_b64 v[0:1], v54, v[0:1]
	v_min_u32_e32 v0, 1, v0
	v_or_b32_e32 v0, v1, v0
	v_cvt_f32_u32_e32 v0, v0
	v_sub_u32_e32 v1, 32, v54
	v_ldexp_f32 v64, v0, v1
.LBB47_3150:                            ;   in Loop: Header=BB47_17 Depth=1
	s_or_b64 exec, exec, s[68:69]
	s_andn2_b64 s[60:61], s[74:75], exec
	s_and_b64 s[62:63], s[70:71], exec
	s_andn2_b64 s[86:87], s[86:87], exec
	s_or_b64 vcc, vcc, exec
	s_or_b64 s[74:75], s[60:61], s[62:63]
.LBB47_3151:                            ;   in Loop: Header=BB47_17 Depth=1
	s_or_b64 exec, exec, s[66:67]
	s_and_b64 s[86:87], s[86:87], exec
	s_and_b64 s[72:73], vcc, exec
	s_and_b64 s[78:79], s[74:75], exec
                                        ; implicit-def: $vgpr0_vgpr1
.LBB47_3152:                            ;   in Loop: Header=BB47_17 Depth=1
	s_andn2_saveexec_b64 s[80:81], s[80:81]
	s_cbranch_execz .LBB47_3166
; %bb.3153:                             ;   in Loop: Header=BB47_17 Depth=1
	v_cmp_gt_i16_sdwa vcc, v7, v26 src0_sel:BYTE_0 src1_sel:DWORD
                                        ; implicit-def: $vgpr64
	s_and_saveexec_b64 s[60:61], vcc
	s_xor_b64 vcc, exec, s[60:61]
	s_cbranch_execz .LBB47_3159
; %bb.3154:                             ;   in Loop: Header=BB47_17 Depth=1
	v_cmp_gt_i16_sdwa s[60:61], v7, v27 src0_sel:BYTE_0 src1_sel:DWORD
                                        ; implicit-def: $vgpr64
	s_and_saveexec_b64 s[62:63], s[60:61]
	s_xor_b64 s[60:61], exec, s[62:63]
	s_cbranch_execz .LBB47_3156
; %bb.3155:                             ;   in Loop: Header=BB47_17 Depth=1
	flat_load_dword v0, v[0:1]
	s_waitcnt vmcnt(0) lgkmcnt(0)
	v_cvt_f32_u32_e32 v64, v0
                                        ; implicit-def: $vgpr0_vgpr1
.LBB47_3156:                            ;   in Loop: Header=BB47_17 Depth=1
	s_andn2_saveexec_b64 s[60:61], s[60:61]
	s_cbranch_execz .LBB47_3158
; %bb.3157:                             ;   in Loop: Header=BB47_17 Depth=1
	flat_load_ushort v0, v[0:1]
	s_waitcnt vmcnt(0) lgkmcnt(0)
	v_cvt_f32_u32_e32 v64, v0
.LBB47_3158:                            ;   in Loop: Header=BB47_17 Depth=1
	s_or_b64 exec, exec, s[60:61]
                                        ; implicit-def: $vgpr0_vgpr1
.LBB47_3159:                            ;   in Loop: Header=BB47_17 Depth=1
	s_andn2_saveexec_b64 s[74:75], vcc
	s_cbranch_execz .LBB47_3165
; %bb.3160:                             ;   in Loop: Header=BB47_17 Depth=1
	flat_load_ubyte v0, v[0:1]
	s_movk_i32 vcc_lo, 0x7f
	s_mov_b64 s[66:67], 0
                                        ; implicit-def: $sgpr70
	s_waitcnt vmcnt(0) lgkmcnt(0)
	v_cmp_lt_i16_e32 vcc, vcc_lo, v0
	s_and_saveexec_b64 s[60:61], vcc
	s_xor_b64 s[68:69], exec, s[60:61]
	s_cbranch_execnz .LBB47_3614
; %bb.3161:                             ;   in Loop: Header=BB47_17 Depth=1
	s_or_saveexec_b64 s[68:69], s[68:69]
	v_mov_b32_e32 v64, s70
	s_xor_b64 exec, exec, s[68:69]
	s_cbranch_execnz .LBB47_3617
.LBB47_3162:                            ;   in Loop: Header=BB47_17 Depth=1
	s_or_b64 exec, exec, s[68:69]
	s_and_saveexec_b64 s[68:69], s[66:67]
	s_cbranch_execz .LBB47_3164
.LBB47_3163:                            ;   in Loop: Header=BB47_17 Depth=1
	v_lshlrev_b32_e32 v1, 24, v0
	v_and_b32_e32 v0, 0xffff, v0
	v_and_b32_e32 v54, 7, v0
	v_ffbh_u32_e32 v65, v54
	v_min_u32_e32 v65, 32, v65
	v_subrev_u32_e32 v66, 28, v65
	v_bfe_u32 v64, v0, 3, 4
	v_lshlrev_b32_e32 v0, v66, v0
	v_sub_u32_e32 v65, 29, v65
	v_and_b32_e32 v0, 7, v0
	v_cmp_eq_u32_e32 vcc, 0, v64
	v_cndmask_b32_e32 v64, v64, v65, vcc
	v_cndmask_b32_e32 v0, v54, v0, vcc
	v_lshlrev_b32_e32 v0, 20, v0
	v_and_b32_e32 v1, 0x80000000, v1
	v_lshl_add_u32 v54, v64, 23, v28
	v_or3_b32 v64, v1, v54, v0
.LBB47_3164:                            ;   in Loop: Header=BB47_17 Depth=1
	s_or_b64 exec, exec, s[68:69]
.LBB47_3165:                            ;   in Loop: Header=BB47_17 Depth=1
	s_or_b64 exec, exec, s[74:75]
	s_andn2_b64 s[86:87], s[86:87], exec
	s_andn2_b64 s[72:73], s[72:73], exec
	s_or_b64 s[78:79], s[78:79], exec
.LBB47_3166:                            ;   in Loop: Header=BB47_17 Depth=1
	s_or_b64 exec, exec, s[80:81]
	s_and_b64 s[86:87], s[86:87], exec
	s_and_b64 s[80:81], s[72:73], exec
	;; [unrolled: 1-line block ×3, first 2 shown]
                                        ; implicit-def: $vgpr0_vgpr1
.LBB47_3167:                            ;   in Loop: Header=BB47_17 Depth=1
	s_andn2_saveexec_b64 s[90:91], s[90:91]
	s_cbranch_execz .LBB47_3193
; %bb.3168:                             ;   in Loop: Header=BB47_17 Depth=1
	v_cmp_gt_i16_sdwa vcc, v7, v29 src0_sel:BYTE_0 src1_sel:DWORD
	s_mov_b64 s[74:75], s[78:79]
                                        ; implicit-def: $vgpr64
	s_and_saveexec_b64 s[60:61], vcc
	s_xor_b64 s[72:73], exec, s[60:61]
	s_cbranch_execz .LBB47_3182
; %bb.3169:                             ;   in Loop: Header=BB47_17 Depth=1
	v_cmp_gt_i16_sdwa vcc, v7, v30 src0_sel:BYTE_0 src1_sel:DWORD
                                        ; implicit-def: $vgpr64
	s_and_saveexec_b64 s[60:61], vcc
	s_xor_b64 s[92:93], exec, s[60:61]
	s_cbranch_execz .LBB47_3179
; %bb.3170:                             ;   in Loop: Header=BB47_17 Depth=1
	v_cmp_gt_i16_sdwa vcc, v7, v31 src0_sel:BYTE_0 src1_sel:DWORD
                                        ; implicit-def: $vgpr64
	s_and_saveexec_b64 s[60:61], vcc
	s_xor_b64 s[74:75], exec, s[60:61]
	s_cbranch_execz .LBB47_3176
; %bb.3171:                             ;   in Loop: Header=BB47_17 Depth=1
	flat_load_ubyte v0, v[0:1]
	s_movk_i32 vcc_lo, 0x7f
	s_mov_b64 s[66:67], 0
                                        ; implicit-def: $sgpr70
	s_waitcnt vmcnt(0) lgkmcnt(0)
	v_cmp_lt_i16_e32 vcc, vcc_lo, v0
	s_and_saveexec_b64 s[60:61], vcc
	s_xor_b64 s[68:69], exec, s[60:61]
	s_cbranch_execnz .LBB47_3622
; %bb.3172:                             ;   in Loop: Header=BB47_17 Depth=1
	s_or_saveexec_b64 s[68:69], s[68:69]
	v_mov_b32_e32 v64, s70
	s_xor_b64 exec, exec, s[68:69]
	s_cbranch_execnz .LBB47_3625
.LBB47_3173:                            ;   in Loop: Header=BB47_17 Depth=1
	s_or_b64 exec, exec, s[68:69]
	s_and_saveexec_b64 s[68:69], s[66:67]
	s_cbranch_execz .LBB47_3175
.LBB47_3174:                            ;   in Loop: Header=BB47_17 Depth=1
	v_lshlrev_b32_e32 v1, 24, v0
	v_and_b32_e32 v0, 0xffff, v0
	v_and_b32_e32 v54, 3, v0
	v_ffbh_u32_e32 v65, v54
	v_min_u32_e32 v65, 32, v65
	v_subrev_u32_e32 v66, 29, v65
	v_bfe_u32 v64, v0, 2, 5
	v_lshlrev_b32_e32 v0, v66, v0
	v_sub_u32_e32 v65, 30, v65
	v_and_b32_e32 v0, 3, v0
	v_cmp_eq_u32_e32 vcc, 0, v64
	v_cndmask_b32_e32 v64, v64, v65, vcc
	v_cndmask_b32_e32 v0, v54, v0, vcc
	v_lshlrev_b32_e32 v0, 21, v0
	v_and_b32_e32 v1, 0x80000000, v1
	v_lshl_add_u32 v54, v64, 23, v32
	v_or3_b32 v64, v1, v54, v0
.LBB47_3175:                            ;   in Loop: Header=BB47_17 Depth=1
	s_or_b64 exec, exec, s[68:69]
                                        ; implicit-def: $vgpr0_vgpr1
.LBB47_3176:                            ;   in Loop: Header=BB47_17 Depth=1
	s_andn2_saveexec_b64 s[66:67], s[74:75]
	s_cbranch_execz .LBB47_3178
; %bb.3177:                             ;   in Loop: Header=BB47_17 Depth=1
	flat_load_ubyte v0, v[0:1]
	s_mov_b32 vcc_lo, 0x7f800000
	s_waitcnt vmcnt(0) lgkmcnt(0)
	v_lshlrev_b32_e32 v0, 24, v0
	v_and_b32_e32 v1, 0x7f000000, v0
	v_ffbh_u32_e32 v54, v1
	v_min_u32_e32 v54, 32, v54
	v_sub_u32_e64 v54, v54, 4 clamp
	v_lshlrev_b32_e32 v65, v54, v1
	v_lshlrev_b32_e32 v54, 23, v54
	v_lshrrev_b32_e32 v65, 4, v65
	v_add_u32_e32 v64, 0x1000000, v1
	v_sub_u32_e32 v54, v65, v54
	v_ashrrev_i32_e32 v64, 8, v64
	v_add_u32_e32 v54, 0x3c000000, v54
	v_and_or_b32 v54, v64, vcc_lo, v54
	v_cmp_ne_u32_e32 vcc, 0, v1
	v_cndmask_b32_e32 v1, 0, v54, vcc
	s_brev_b32 vcc_lo, 1
	v_and_or_b32 v64, v0, vcc_lo, v1
.LBB47_3178:                            ;   in Loop: Header=BB47_17 Depth=1
	s_or_b64 exec, exec, s[66:67]
                                        ; implicit-def: $vgpr0_vgpr1
.LBB47_3179:                            ;   in Loop: Header=BB47_17 Depth=1
	s_andn2_saveexec_b64 s[66:67], s[92:93]
	s_cbranch_execz .LBB47_3181
; %bb.3180:                             ;   in Loop: Header=BB47_17 Depth=1
	flat_load_ubyte v0, v[0:1]
	s_movk_i32 vcc_lo, 0x7f00
	s_waitcnt vmcnt(0) lgkmcnt(0)
	v_lshlrev_b16_e32 v1, 8, v0
	v_lshlrev_b32_e32 v0, 25, v0
	v_lshrrev_b32_e32 v54, 4, v0
	v_and_or_b32 v64, v1, vcc_lo, 0.5
	v_or_b32_e32 v54, 0x70000000, v54
	s_brev_b32 vcc_lo, 16
	v_add_f32_e32 v64, -0.5, v64
	v_mul_f32_e32 v54, 0x7800000, v54
	v_cmp_gt_u32_e32 vcc, vcc_lo, v0
	v_cndmask_b32_e32 v0, v54, v64, vcc
	v_bfe_i32 v1, v1, 0, 16
	s_brev_b32 vcc_lo, 1
	v_and_or_b32 v64, v1, vcc_lo, v0
.LBB47_3181:                            ;   in Loop: Header=BB47_17 Depth=1
	s_or_b64 exec, exec, s[66:67]
	s_or_b64 s[74:75], s[78:79], exec
                                        ; implicit-def: $vgpr0_vgpr1
.LBB47_3182:                            ;   in Loop: Header=BB47_17 Depth=1
	s_or_saveexec_b64 s[72:73], s[72:73]
                                        ; implicit-def: $vcc
                                        ; implicit-def: $sgpr68_sgpr69
	s_xor_b64 exec, exec, s[72:73]
	s_cbranch_execz .LBB47_3192
; %bb.3183:                             ;   in Loop: Header=BB47_17 Depth=1
	v_cmp_gt_i16_sdwa vcc, v7, v33 src0_sel:BYTE_0 src1_sel:DWORD
	s_mov_b64 s[66:67], s[74:75]
                                        ; implicit-def: $sgpr68_sgpr69
                                        ; implicit-def: $sgpr76_sgpr77
                                        ; implicit-def: $vgpr64
	s_and_saveexec_b64 s[60:61], vcc
	s_xor_b64 vcc, exec, s[60:61]
	s_cbranch_execz .LBB47_3187
; %bb.3184:                             ;   in Loop: Header=BB47_17 Depth=1
	v_cmp_eq_u16_sdwa s[62:63], v7, v34 src0_sel:BYTE_0 src1_sel:DWORD
	s_mov_b64 s[66:67], s[74:75]
                                        ; implicit-def: $vgpr64
	s_and_saveexec_b64 s[60:61], s[62:63]
	s_cbranch_execz .LBB47_3186
; %bb.3185:                             ;   in Loop: Header=BB47_17 Depth=1
	flat_load_ushort v0, v[0:1]
	s_or_b64 s[66:67], s[74:75], exec
	s_waitcnt vmcnt(0) lgkmcnt(0)
	v_lshlrev_b32_e32 v64, 16, v0
.LBB47_3186:                            ;   in Loop: Header=BB47_17 Depth=1
	s_or_b64 exec, exec, s[60:61]
	s_andn2_b64 s[60:61], s[74:75], exec
	s_and_b64 s[62:63], s[66:67], exec
	s_mov_b64 s[76:77], -1
	s_mov_b64 s[68:69], 0
	s_or_b64 s[66:67], s[60:61], s[62:63]
                                        ; implicit-def: $vgpr0_vgpr1
.LBB47_3187:                            ;   in Loop: Header=BB47_17 Depth=1
	s_andn2_saveexec_b64 s[70:71], vcc
	s_cbranch_execz .LBB47_3191
; %bb.3188:                             ;   in Loop: Header=BB47_17 Depth=1
	v_cmp_eq_u16_sdwa s[62:63], v7, v35 src0_sel:BYTE_0 src1_sel:DWORD
	s_mov_b64 vcc, s[66:67]
                                        ; implicit-def: $vgpr64
	s_and_saveexec_b64 s[60:61], s[62:63]
	s_cbranch_execz .LBB47_3190
; %bb.3189:                             ;   in Loop: Header=BB47_17 Depth=1
	flat_load_ubyte v0, v[0:1]
	s_waitcnt vmcnt(0) lgkmcnt(0)
	v_cmp_ne_u16_e32 vcc, 0, v0
	v_cndmask_b32_e64 v64, 0, 1.0, vcc
	s_or_b64 vcc, s[66:67], exec
.LBB47_3190:                            ;   in Loop: Header=BB47_17 Depth=1
	s_or_b64 exec, exec, s[60:61]
	s_andn2_b64 s[60:61], s[66:67], exec
	s_and_b64 vcc, vcc, exec
	s_andn2_b64 s[68:69], s[68:69], exec
	s_or_b64 s[76:77], s[76:77], exec
	s_or_b64 s[66:67], s[60:61], vcc
.LBB47_3191:                            ;   in Loop: Header=BB47_17 Depth=1
	s_or_b64 exec, exec, s[70:71]
	s_andn2_b64 s[60:61], s[74:75], exec
	s_and_b64 s[62:63], s[66:67], exec
	s_and_b64 s[68:69], s[68:69], exec
	s_and_b64 vcc, s[76:77], exec
	s_or_b64 s[74:75], s[60:61], s[62:63]
.LBB47_3192:                            ;   in Loop: Header=BB47_17 Depth=1
	s_or_b64 exec, exec, s[72:73]
	s_andn2_b64 s[60:61], s[86:87], exec
	s_and_b64 s[62:63], s[68:69], exec
	s_or_b64 s[86:87], s[60:61], s[62:63]
	s_andn2_b64 s[60:61], s[80:81], exec
	s_and_b64 vcc, vcc, exec
	s_or_b64 s[80:81], s[60:61], vcc
	s_andn2_b64 vcc, s[78:79], exec
	s_and_b64 s[60:61], s[74:75], exec
	s_or_b64 s[78:79], vcc, s[60:61]
.LBB47_3193:                            ;   in Loop: Header=BB47_17 Depth=1
	s_or_b64 exec, exec, s[90:91]
	s_and_b64 s[90:91], s[86:87], exec
	s_and_b64 s[92:93], s[80:81], exec
	s_and_b64 vcc, s[78:79], exec
                                        ; implicit-def: $vgpr0_vgpr1
	s_andn2_saveexec_b64 s[78:79], s[84:85]
	s_cbranch_execz .LBB47_3118
.LBB47_3194:                            ;   in Loop: Header=BB47_17 Depth=1
	v_cmp_gt_i16_sdwa s[60:61], v7, v36 src0_sel:BYTE_0 src1_sel:DWORD
                                        ; implicit-def: $vgpr64
	s_and_saveexec_b64 s[62:63], s[60:61]
	s_xor_b64 s[72:73], exec, s[62:63]
	s_cbranch_execz .LBB47_3216
; %bb.3195:                             ;   in Loop: Header=BB47_17 Depth=1
	v_cmp_gt_i16_sdwa s[60:61], v7, v37 src0_sel:BYTE_0 src1_sel:DWORD
                                        ; implicit-def: $vgpr64
	s_and_saveexec_b64 s[62:63], s[60:61]
	s_xor_b64 s[66:67], exec, s[62:63]
	s_cbranch_execz .LBB47_3205
; %bb.3196:                             ;   in Loop: Header=BB47_17 Depth=1
	;; [unrolled: 6-line block ×4, first 2 shown]
	flat_load_dwordx2 v[0:1], v[0:1]
	s_waitcnt vmcnt(0) lgkmcnt(0)
	v_cvt_f32_f64_e32 v64, v[0:1]
                                        ; implicit-def: $vgpr0_vgpr1
.LBB47_3199:                            ;   in Loop: Header=BB47_17 Depth=1
	s_andn2_saveexec_b64 s[60:61], s[60:61]
	s_cbranch_execz .LBB47_3201
; %bb.3200:                             ;   in Loop: Header=BB47_17 Depth=1
	flat_load_dword v64, v[0:1]
.LBB47_3201:                            ;   in Loop: Header=BB47_17 Depth=1
	s_or_b64 exec, exec, s[60:61]
                                        ; implicit-def: $vgpr0_vgpr1
.LBB47_3202:                            ;   in Loop: Header=BB47_17 Depth=1
	s_andn2_saveexec_b64 s[60:61], s[68:69]
	s_cbranch_execz .LBB47_3204
; %bb.3203:                             ;   in Loop: Header=BB47_17 Depth=1
	flat_load_dword v0, v[0:1]
	s_waitcnt vmcnt(0) lgkmcnt(0)
	v_cvt_f32_f16_e32 v64, v0
.LBB47_3204:                            ;   in Loop: Header=BB47_17 Depth=1
	s_or_b64 exec, exec, s[60:61]
                                        ; implicit-def: $vgpr0_vgpr1
.LBB47_3205:                            ;   in Loop: Header=BB47_17 Depth=1
	s_andn2_saveexec_b64 s[66:67], s[66:67]
	s_cbranch_execz .LBB47_3215
; %bb.3206:                             ;   in Loop: Header=BB47_17 Depth=1
	v_cmp_gt_i16_sdwa s[60:61], v7, v48 src0_sel:BYTE_0 src1_sel:DWORD
                                        ; implicit-def: $vgpr64
	s_and_saveexec_b64 s[62:63], s[60:61]
	s_xor_b64 s[68:69], exec, s[62:63]
	s_cbranch_execz .LBB47_3212
; %bb.3207:                             ;   in Loop: Header=BB47_17 Depth=1
	v_cmp_gt_i16_sdwa s[60:61], v7, v49 src0_sel:BYTE_0 src1_sel:DWORD
                                        ; implicit-def: $vgpr64
	s_and_saveexec_b64 s[62:63], s[60:61]
	s_xor_b64 s[60:61], exec, s[62:63]
	s_cbranch_execz .LBB47_3209
; %bb.3208:                             ;   in Loop: Header=BB47_17 Depth=1
	flat_load_dwordx2 v[0:1], v[0:1]
	s_waitcnt vmcnt(0) lgkmcnt(0)
	v_cvt_f32_f64_e32 v64, v[0:1]
                                        ; implicit-def: $vgpr0_vgpr1
.LBB47_3209:                            ;   in Loop: Header=BB47_17 Depth=1
	s_andn2_saveexec_b64 s[60:61], s[60:61]
	s_cbranch_execz .LBB47_3211
; %bb.3210:                             ;   in Loop: Header=BB47_17 Depth=1
	s_waitcnt vmcnt(0) lgkmcnt(0)
	flat_load_dword v64, v[0:1]
.LBB47_3211:                            ;   in Loop: Header=BB47_17 Depth=1
	s_or_b64 exec, exec, s[60:61]
                                        ; implicit-def: $vgpr0_vgpr1
.LBB47_3212:                            ;   in Loop: Header=BB47_17 Depth=1
	s_andn2_saveexec_b64 s[60:61], s[68:69]
	s_cbranch_execz .LBB47_3214
; %bb.3213:                             ;   in Loop: Header=BB47_17 Depth=1
	flat_load_ushort v0, v[0:1]
	s_waitcnt vmcnt(0) lgkmcnt(0)
	v_cvt_f32_f16_e32 v64, v0
.LBB47_3214:                            ;   in Loop: Header=BB47_17 Depth=1
	s_or_b64 exec, exec, s[60:61]
.LBB47_3215:                            ;   in Loop: Header=BB47_17 Depth=1
	s_or_b64 exec, exec, s[66:67]
                                        ; implicit-def: $vgpr0_vgpr1
.LBB47_3216:                            ;   in Loop: Header=BB47_17 Depth=1
	s_andn2_saveexec_b64 s[72:73], s[72:73]
	s_cbranch_execz .LBB47_3234
; %bb.3217:                             ;   in Loop: Header=BB47_17 Depth=1
	v_cmp_gt_i16_sdwa s[60:61], v7, v50 src0_sel:BYTE_0 src1_sel:DWORD
                                        ; implicit-def: $vgpr64
	s_and_saveexec_b64 s[62:63], s[60:61]
	s_xor_b64 s[74:75], exec, s[62:63]
	s_cbranch_execz .LBB47_3227
; %bb.3218:                             ;   in Loop: Header=BB47_17 Depth=1
	v_cmp_gt_i16_sdwa s[60:61], v7, v51 src0_sel:BYTE_0 src1_sel:DWORD
                                        ; implicit-def: $vgpr64
	s_and_saveexec_b64 s[62:63], s[60:61]
	s_xor_b64 s[66:67], exec, s[62:63]
	;; [unrolled: 6-line block ×3, first 2 shown]
	s_cbranch_execz .LBB47_3221
; %bb.3220:                             ;   in Loop: Header=BB47_17 Depth=1
	flat_load_dwordx2 v[0:1], v[0:1]
	s_waitcnt vmcnt(0) lgkmcnt(0)
	v_xor_b32_e32 v64, v0, v1
	v_ffbh_i32_e32 v54, v1
	v_ashrrev_i32_e32 v64, 31, v64
	v_add_u32_e32 v54, -1, v54
	v_add_u32_e32 v64, 32, v64
	v_min_u32_e32 v54, v54, v64
	v_lshlrev_b64 v[0:1], v54, v[0:1]
	v_min_u32_e32 v0, 1, v0
	v_or_b32_e32 v0, v1, v0
	v_cvt_f32_i32_e32 v0, v0
	v_sub_u32_e32 v1, 32, v54
	v_ldexp_f32 v64, v0, v1
                                        ; implicit-def: $vgpr0_vgpr1
.LBB47_3221:                            ;   in Loop: Header=BB47_17 Depth=1
	s_andn2_saveexec_b64 s[60:61], s[68:69]
	s_cbranch_execz .LBB47_3223
; %bb.3222:                             ;   in Loop: Header=BB47_17 Depth=1
	flat_load_dword v0, v[0:1]
	s_waitcnt vmcnt(0) lgkmcnt(0)
	v_cvt_f32_i32_e32 v64, v0
.LBB47_3223:                            ;   in Loop: Header=BB47_17 Depth=1
	s_or_b64 exec, exec, s[60:61]
                                        ; implicit-def: $vgpr0_vgpr1
.LBB47_3224:                            ;   in Loop: Header=BB47_17 Depth=1
	s_andn2_saveexec_b64 s[60:61], s[66:67]
	s_cbranch_execz .LBB47_3226
; %bb.3225:                             ;   in Loop: Header=BB47_17 Depth=1
	flat_load_sshort v0, v[0:1]
	s_waitcnt vmcnt(0) lgkmcnt(0)
	v_cvt_f32_i32_e32 v64, v0
.LBB47_3226:                            ;   in Loop: Header=BB47_17 Depth=1
	s_or_b64 exec, exec, s[60:61]
                                        ; implicit-def: $vgpr0_vgpr1
.LBB47_3227:                            ;   in Loop: Header=BB47_17 Depth=1
	s_andn2_saveexec_b64 s[66:67], s[74:75]
	s_cbranch_execz .LBB47_3233
; %bb.3228:                             ;   in Loop: Header=BB47_17 Depth=1
	v_cmp_gt_i16_sdwa s[60:61], v7, v14 src0_sel:BYTE_0 src1_sel:DWORD
                                        ; implicit-def: $vgpr64
	s_and_saveexec_b64 s[62:63], s[60:61]
	s_xor_b64 s[60:61], exec, s[62:63]
	s_cbranch_execz .LBB47_3230
; %bb.3229:                             ;   in Loop: Header=BB47_17 Depth=1
	flat_load_sbyte v0, v[0:1]
	s_waitcnt vmcnt(0) lgkmcnt(0)
	v_cvt_f32_i32_e32 v64, v0
                                        ; implicit-def: $vgpr0_vgpr1
.LBB47_3230:                            ;   in Loop: Header=BB47_17 Depth=1
	s_andn2_saveexec_b64 s[60:61], s[60:61]
	s_cbranch_execz .LBB47_3232
; %bb.3231:                             ;   in Loop: Header=BB47_17 Depth=1
	flat_load_ubyte v0, v[0:1]
	s_waitcnt vmcnt(0) lgkmcnt(0)
	v_cvt_f32_ubyte0_e32 v64, v0
.LBB47_3232:                            ;   in Loop: Header=BB47_17 Depth=1
	s_or_b64 exec, exec, s[60:61]
.LBB47_3233:                            ;   in Loop: Header=BB47_17 Depth=1
	s_or_b64 exec, exec, s[66:67]
.LBB47_3234:                            ;   in Loop: Header=BB47_17 Depth=1
	s_or_b64 exec, exec, s[72:73]
	s_andn2_b64 s[90:91], s[90:91], exec
	s_andn2_b64 s[92:93], s[92:93], exec
	s_or_b64 vcc, vcc, exec
	s_or_b64 exec, exec, s[78:79]
	s_mov_b64 s[66:67], 0
	s_and_saveexec_b64 s[84:85], vcc
	s_cbranch_execz .LBB47_3340
.LBB47_3235:                            ;   in Loop: Header=BB47_17 Depth=1
	v_mul_lo_u32 v0, v55, v10
	v_readlane_b32 s60, v44, 0
	v_add_co_u32_e32 v0, vcc, v4, v0
	v_add_u32_e32 v54, s60, v15
	v_addc_co_u32_e32 v1, vcc, 0, v5, vcc
	v_cmp_gt_i16_sdwa s[60:61], v8, v16 src0_sel:BYTE_0 src1_sel:DWORD
	s_mov_b64 s[78:79], 0
	s_waitcnt vmcnt(0) lgkmcnt(0)
	buffer_store_dword v64, v54, s[0:3], 0 offen offset:116
                                        ; implicit-def: $vcc
                                        ; implicit-def: $sgpr86_sgpr87
                                        ; implicit-def: $vgpr55
	s_and_saveexec_b64 s[62:63], s[60:61]
	s_xor_b64 s[62:63], exec, s[62:63]
	v_writelane_b32 v44, s62, 40
	v_writelane_b32 v44, s63, 41
	s_cbranch_execz .LBB47_3295
; %bb.3236:                             ;   in Loop: Header=BB47_17 Depth=1
	v_cmp_gt_i16_sdwa vcc, v8, v17 src0_sel:BYTE_0 src1_sel:DWORD
                                        ; implicit-def: $sgpr62_sgpr63
                                        ; implicit-def: $sgpr86_sgpr87
                                        ; implicit-def: $vgpr55
	s_and_saveexec_b64 s[60:61], vcc
	s_xor_b64 s[76:77], exec, s[60:61]
	s_cbranch_execz .LBB47_3268
; %bb.3237:                             ;   in Loop: Header=BB47_17 Depth=1
	v_cmp_gt_i16_sdwa vcc, v8, v18 src0_sel:BYTE_0 src1_sel:DWORD
                                        ; implicit-def: $sgpr72_sgpr73
                                        ; implicit-def: $sgpr86_sgpr87
                                        ; implicit-def: $vgpr55
	s_and_saveexec_b64 s[60:61], vcc
	s_xor_b64 s[80:81], exec, s[60:61]
	s_cbranch_execz .LBB47_3253
; %bb.3238:                             ;   in Loop: Header=BB47_17 Depth=1
	v_cmp_gt_i16_sdwa s[60:61], v8, v19 src0_sel:BYTE_0 src1_sel:DWORD
	s_mov_b64 s[74:75], 0
                                        ; implicit-def: $vcc
                                        ; implicit-def: $sgpr86_sgpr87
                                        ; implicit-def: $vgpr55
	s_and_saveexec_b64 s[62:63], s[60:61]
	s_xor_b64 s[72:73], exec, s[62:63]
	s_cbranch_execz .LBB47_3248
; %bb.3239:                             ;   in Loop: Header=BB47_17 Depth=1
	v_cmp_gt_i16_sdwa vcc, v8, v20 src0_sel:BYTE_0 src1_sel:DWORD
                                        ; implicit-def: $sgpr86_sgpr87
                                        ; implicit-def: $sgpr74_sgpr75
                                        ; implicit-def: $vgpr55
	s_and_saveexec_b64 s[60:61], vcc
	s_xor_b64 vcc, exec, s[60:61]
	s_cbranch_execz .LBB47_3243
; %bb.3240:                             ;   in Loop: Header=BB47_17 Depth=1
	v_cmp_eq_u16_sdwa s[62:63], v8, v21 src0_sel:BYTE_0 src1_sel:DWORD
	s_mov_b64 s[74:75], 0
                                        ; implicit-def: $vgpr55
	s_and_saveexec_b64 s[60:61], s[62:63]
	s_cbranch_execz .LBB47_3242
; %bb.3241:                             ;   in Loop: Header=BB47_17 Depth=1
	flat_load_dword v0, v[0:1]
	s_mov_b64 s[66:67], exec
	s_waitcnt vmcnt(0) lgkmcnt(0)
	v_lshlrev_b32_e32 v55, 16, v0
.LBB47_3242:                            ;   in Loop: Header=BB47_17 Depth=1
	s_or_b64 exec, exec, s[60:61]
	s_mov_b64 s[86:87], -1
	s_and_b64 s[78:79], s[66:67], exec
                                        ; implicit-def: $vgpr0_vgpr1
.LBB47_3243:                            ;   in Loop: Header=BB47_17 Depth=1
	s_andn2_saveexec_b64 s[66:67], vcc
	s_cbranch_execz .LBB47_3247
; %bb.3244:                             ;   in Loop: Header=BB47_17 Depth=1
	v_cmp_eq_u16_sdwa s[60:61], v8, v22 src0_sel:BYTE_0 src1_sel:DWORD
	s_mov_b64 vcc, s[78:79]
                                        ; implicit-def: $vgpr55
	s_and_saveexec_b64 s[68:69], s[60:61]
	s_cbranch_execz .LBB47_3246
; %bb.3245:                             ;   in Loop: Header=BB47_17 Depth=1
	flat_load_ubyte v0, v[0:1]
	s_movk_i32 vcc_lo, 0xff
	s_waitcnt vmcnt(0) lgkmcnt(0)
	v_lshlrev_b32_e32 v1, 23, v0
	v_cmp_ne_u32_e32 vcc, vcc_lo, v0
	v_cndmask_b32_e32 v1, v23, v1, vcc
	v_cmp_ne_u32_e32 vcc, 0, v0
	v_cndmask_b32_e32 v55, v24, v1, vcc
	s_or_b64 vcc, s[78:79], exec
.LBB47_3246:                            ;   in Loop: Header=BB47_17 Depth=1
	s_or_b64 exec, exec, s[68:69]
	s_andn2_b64 s[60:61], s[78:79], exec
	s_and_b64 vcc, vcc, exec
	s_or_b64 s[86:87], s[86:87], exec
	s_andn2_b64 s[74:75], s[74:75], exec
	s_or_b64 s[78:79], s[60:61], vcc
.LBB47_3247:                            ;   in Loop: Header=BB47_17 Depth=1
	s_or_b64 exec, exec, s[66:67]
	s_and_b64 s[86:87], s[86:87], exec
	s_and_b64 vcc, s[74:75], exec
	s_and_b64 s[74:75], s[78:79], exec
                                        ; implicit-def: $vgpr0_vgpr1
.LBB47_3248:                            ;   in Loop: Header=BB47_17 Depth=1
	s_andn2_saveexec_b64 s[66:67], s[72:73]
	s_cbranch_execz .LBB47_3252
; %bb.3249:                             ;   in Loop: Header=BB47_17 Depth=1
	v_cmp_eq_u16_sdwa s[60:61], v8, v25 src0_sel:BYTE_0 src1_sel:DWORD
	s_mov_b64 s[70:71], s[74:75]
                                        ; implicit-def: $vgpr55
	s_and_saveexec_b64 s[68:69], s[60:61]
	s_cbranch_execz .LBB47_3251
; %bb.3250:                             ;   in Loop: Header=BB47_17 Depth=1
	flat_load_dwordx2 v[0:1], v[0:1]
	s_or_b64 s[70:71], s[74:75], exec
	s_waitcnt vmcnt(0) lgkmcnt(0)
	v_ffbh_u32_e32 v55, v1
	v_min_u32_e32 v55, 32, v55
	s_waitcnt vmcnt(0) expcnt(0) lgkmcnt(0)
	v_swap_b32 v2, v55
	v_lshlrev_b64 v[0:1], v2, v[0:1]
	v_swap_b32 v55, v2
	v_min_u32_e32 v0, 1, v0
	v_or_b32_e32 v0, v1, v0
	v_cvt_f32_u32_e32 v0, v0
	v_sub_u32_e32 v1, 32, v55
	v_ldexp_f32 v55, v0, v1
.LBB47_3251:                            ;   in Loop: Header=BB47_17 Depth=1
	s_or_b64 exec, exec, s[68:69]
	s_andn2_b64 s[60:61], s[74:75], exec
	s_and_b64 s[62:63], s[70:71], exec
	s_or_b64 s[86:87], s[86:87], exec
	s_andn2_b64 vcc, vcc, exec
	s_or_b64 s[74:75], s[60:61], s[62:63]
.LBB47_3252:                            ;   in Loop: Header=BB47_17 Depth=1
	s_or_b64 exec, exec, s[66:67]
	s_and_b64 s[86:87], s[86:87], exec
	s_and_b64 s[72:73], vcc, exec
	s_and_b64 s[78:79], s[74:75], exec
                                        ; implicit-def: $vgpr0_vgpr1
.LBB47_3253:                            ;   in Loop: Header=BB47_17 Depth=1
	s_andn2_saveexec_b64 s[80:81], s[80:81]
	s_cbranch_execz .LBB47_3267
; %bb.3254:                             ;   in Loop: Header=BB47_17 Depth=1
	v_cmp_gt_i16_sdwa vcc, v8, v26 src0_sel:BYTE_0 src1_sel:DWORD
                                        ; implicit-def: $vgpr55
	s_and_saveexec_b64 s[60:61], vcc
	s_xor_b64 vcc, exec, s[60:61]
	s_cbranch_execz .LBB47_3260
; %bb.3255:                             ;   in Loop: Header=BB47_17 Depth=1
	v_cmp_gt_i16_sdwa s[60:61], v8, v27 src0_sel:BYTE_0 src1_sel:DWORD
                                        ; implicit-def: $vgpr55
	s_and_saveexec_b64 s[62:63], s[60:61]
	s_xor_b64 s[60:61], exec, s[62:63]
	s_cbranch_execz .LBB47_3257
; %bb.3256:                             ;   in Loop: Header=BB47_17 Depth=1
	flat_load_dword v0, v[0:1]
	s_waitcnt vmcnt(0) lgkmcnt(0)
	v_cvt_f32_u32_e32 v55, v0
                                        ; implicit-def: $vgpr0_vgpr1
.LBB47_3257:                            ;   in Loop: Header=BB47_17 Depth=1
	s_andn2_saveexec_b64 s[60:61], s[60:61]
	s_cbranch_execz .LBB47_3259
; %bb.3258:                             ;   in Loop: Header=BB47_17 Depth=1
	flat_load_ushort v0, v[0:1]
	s_waitcnt vmcnt(0) lgkmcnt(0)
	v_cvt_f32_u32_e32 v55, v0
.LBB47_3259:                            ;   in Loop: Header=BB47_17 Depth=1
	s_or_b64 exec, exec, s[60:61]
                                        ; implicit-def: $vgpr0_vgpr1
.LBB47_3260:                            ;   in Loop: Header=BB47_17 Depth=1
	s_andn2_saveexec_b64 s[74:75], vcc
	s_cbranch_execz .LBB47_3266
; %bb.3261:                             ;   in Loop: Header=BB47_17 Depth=1
	flat_load_ubyte v0, v[0:1]
	s_movk_i32 vcc_lo, 0x7f
	s_mov_b64 s[66:67], 0
                                        ; implicit-def: $sgpr70
	s_waitcnt vmcnt(0) lgkmcnt(0)
	v_cmp_lt_i16_e32 vcc, vcc_lo, v0
	s_and_saveexec_b64 s[60:61], vcc
	s_xor_b64 s[68:69], exec, s[60:61]
	s_cbranch_execnz .LBB47_3626
; %bb.3262:                             ;   in Loop: Header=BB47_17 Depth=1
	s_or_saveexec_b64 s[68:69], s[68:69]
	v_mov_b32_e32 v55, s70
	s_xor_b64 exec, exec, s[68:69]
	s_cbranch_execnz .LBB47_3629
.LBB47_3263:                            ;   in Loop: Header=BB47_17 Depth=1
	s_or_b64 exec, exec, s[68:69]
	s_and_saveexec_b64 s[68:69], s[66:67]
	s_cbranch_execz .LBB47_3265
.LBB47_3264:                            ;   in Loop: Header=BB47_17 Depth=1
	v_lshlrev_b32_e32 v1, 24, v0
	v_and_b32_e32 v0, 0xffff, v0
	v_and_b32_e32 v55, 7, v0
	v_ffbh_u32_e32 v65, v55
	v_min_u32_e32 v65, 32, v65
	v_subrev_u32_e32 v66, 28, v65
	v_bfe_u32 v64, v0, 3, 4
	v_lshlrev_b32_e32 v0, v66, v0
	v_sub_u32_e32 v65, 29, v65
	v_and_b32_e32 v0, 7, v0
	v_cmp_eq_u32_e32 vcc, 0, v64
	v_cndmask_b32_e32 v64, v64, v65, vcc
	v_cndmask_b32_e32 v0, v55, v0, vcc
	v_lshlrev_b32_e32 v0, 20, v0
	v_and_b32_e32 v1, 0x80000000, v1
	v_lshl_add_u32 v55, v64, 23, v28
	v_or3_b32 v55, v1, v55, v0
.LBB47_3265:                            ;   in Loop: Header=BB47_17 Depth=1
	s_or_b64 exec, exec, s[68:69]
.LBB47_3266:                            ;   in Loop: Header=BB47_17 Depth=1
	s_or_b64 exec, exec, s[74:75]
	s_andn2_b64 s[86:87], s[86:87], exec
	s_andn2_b64 s[72:73], s[72:73], exec
	s_or_b64 s[78:79], s[78:79], exec
.LBB47_3267:                            ;   in Loop: Header=BB47_17 Depth=1
	s_or_b64 exec, exec, s[80:81]
	s_and_b64 s[86:87], s[86:87], exec
	s_and_b64 s[62:63], s[72:73], exec
	;; [unrolled: 1-line block ×3, first 2 shown]
                                        ; implicit-def: $vgpr0_vgpr1
.LBB47_3268:                            ;   in Loop: Header=BB47_17 Depth=1
	s_andn2_saveexec_b64 s[80:81], s[76:77]
	s_cbranch_execz .LBB47_3294
; %bb.3269:                             ;   in Loop: Header=BB47_17 Depth=1
	v_writelane_b32 v44, s62, 42
	v_cmp_gt_i16_sdwa vcc, v8, v29 src0_sel:BYTE_0 src1_sel:DWORD
	s_mov_b64 s[74:75], s[78:79]
	v_writelane_b32 v44, s63, 43
                                        ; implicit-def: $vgpr55
	s_and_saveexec_b64 s[60:61], vcc
	s_xor_b64 s[72:73], exec, s[60:61]
	s_cbranch_execz .LBB47_3283
; %bb.3270:                             ;   in Loop: Header=BB47_17 Depth=1
	v_cmp_gt_i16_sdwa vcc, v8, v30 src0_sel:BYTE_0 src1_sel:DWORD
                                        ; implicit-def: $vgpr55
	s_and_saveexec_b64 s[60:61], vcc
	s_xor_b64 s[62:63], exec, s[60:61]
	s_cbranch_execz .LBB47_3280
; %bb.3271:                             ;   in Loop: Header=BB47_17 Depth=1
	v_cmp_gt_i16_sdwa vcc, v8, v31 src0_sel:BYTE_0 src1_sel:DWORD
                                        ; implicit-def: $vgpr55
	s_and_saveexec_b64 s[60:61], vcc
	s_xor_b64 s[74:75], exec, s[60:61]
	s_cbranch_execz .LBB47_3277
; %bb.3272:                             ;   in Loop: Header=BB47_17 Depth=1
	flat_load_ubyte v0, v[0:1]
	s_movk_i32 vcc_lo, 0x7f
	s_mov_b64 s[66:67], 0
                                        ; implicit-def: $sgpr70
	s_waitcnt vmcnt(0) lgkmcnt(0)
	v_cmp_lt_i16_e32 vcc, vcc_lo, v0
	s_and_saveexec_b64 s[60:61], vcc
	s_xor_b64 s[68:69], exec, s[60:61]
	s_cbranch_execnz .LBB47_3634
; %bb.3273:                             ;   in Loop: Header=BB47_17 Depth=1
	s_or_saveexec_b64 s[68:69], s[68:69]
	v_mov_b32_e32 v55, s70
	s_xor_b64 exec, exec, s[68:69]
	s_cbranch_execnz .LBB47_3637
.LBB47_3274:                            ;   in Loop: Header=BB47_17 Depth=1
	s_or_b64 exec, exec, s[68:69]
	s_and_saveexec_b64 s[68:69], s[66:67]
	s_cbranch_execz .LBB47_3276
.LBB47_3275:                            ;   in Loop: Header=BB47_17 Depth=1
	v_lshlrev_b32_e32 v1, 24, v0
	v_and_b32_e32 v0, 0xffff, v0
	v_and_b32_e32 v55, 3, v0
	v_ffbh_u32_e32 v65, v55
	v_min_u32_e32 v65, 32, v65
	v_subrev_u32_e32 v66, 29, v65
	v_bfe_u32 v64, v0, 2, 5
	v_lshlrev_b32_e32 v0, v66, v0
	v_sub_u32_e32 v65, 30, v65
	v_and_b32_e32 v0, 3, v0
	v_cmp_eq_u32_e32 vcc, 0, v64
	v_cndmask_b32_e32 v64, v64, v65, vcc
	v_cndmask_b32_e32 v0, v55, v0, vcc
	v_lshlrev_b32_e32 v0, 21, v0
	v_and_b32_e32 v1, 0x80000000, v1
	v_lshl_add_u32 v55, v64, 23, v32
	v_or3_b32 v55, v1, v55, v0
.LBB47_3276:                            ;   in Loop: Header=BB47_17 Depth=1
	s_or_b64 exec, exec, s[68:69]
                                        ; implicit-def: $vgpr0_vgpr1
.LBB47_3277:                            ;   in Loop: Header=BB47_17 Depth=1
	s_andn2_saveexec_b64 s[66:67], s[74:75]
	s_cbranch_execz .LBB47_3279
; %bb.3278:                             ;   in Loop: Header=BB47_17 Depth=1
	flat_load_ubyte v0, v[0:1]
	s_mov_b32 vcc_lo, 0x7f800000
	s_waitcnt vmcnt(0) lgkmcnt(0)
	v_lshlrev_b32_e32 v0, 24, v0
	v_and_b32_e32 v1, 0x7f000000, v0
	v_ffbh_u32_e32 v55, v1
	v_min_u32_e32 v55, 32, v55
	v_sub_u32_e64 v55, v55, 4 clamp
	v_lshlrev_b32_e32 v65, v55, v1
	v_lshlrev_b32_e32 v55, 23, v55
	v_lshrrev_b32_e32 v65, 4, v65
	v_add_u32_e32 v64, 0x1000000, v1
	v_sub_u32_e32 v55, v65, v55
	v_ashrrev_i32_e32 v64, 8, v64
	v_add_u32_e32 v55, 0x3c000000, v55
	v_and_or_b32 v55, v64, vcc_lo, v55
	v_cmp_ne_u32_e32 vcc, 0, v1
	v_cndmask_b32_e32 v1, 0, v55, vcc
	s_brev_b32 vcc_lo, 1
	v_and_or_b32 v55, v0, vcc_lo, v1
.LBB47_3279:                            ;   in Loop: Header=BB47_17 Depth=1
	s_or_b64 exec, exec, s[66:67]
                                        ; implicit-def: $vgpr0_vgpr1
.LBB47_3280:                            ;   in Loop: Header=BB47_17 Depth=1
	s_andn2_saveexec_b64 s[66:67], s[62:63]
	s_cbranch_execz .LBB47_3282
; %bb.3281:                             ;   in Loop: Header=BB47_17 Depth=1
	flat_load_ubyte v0, v[0:1]
	s_movk_i32 vcc_lo, 0x7f00
	s_waitcnt vmcnt(0) lgkmcnt(0)
	v_lshlrev_b16_e32 v1, 8, v0
	v_lshlrev_b32_e32 v0, 25, v0
	v_lshrrev_b32_e32 v55, 4, v0
	v_and_or_b32 v64, v1, vcc_lo, 0.5
	v_or_b32_e32 v55, 0x70000000, v55
	s_brev_b32 vcc_lo, 16
	v_add_f32_e32 v64, -0.5, v64
	v_mul_f32_e32 v55, 0x7800000, v55
	v_cmp_gt_u32_e32 vcc, vcc_lo, v0
	v_cndmask_b32_e32 v0, v55, v64, vcc
	v_bfe_i32 v1, v1, 0, 16
	s_brev_b32 vcc_lo, 1
	v_and_or_b32 v55, v1, vcc_lo, v0
.LBB47_3282:                            ;   in Loop: Header=BB47_17 Depth=1
	s_or_b64 exec, exec, s[66:67]
	s_or_b64 s[74:75], s[78:79], exec
                                        ; implicit-def: $vgpr0_vgpr1
.LBB47_3283:                            ;   in Loop: Header=BB47_17 Depth=1
	s_or_saveexec_b64 s[72:73], s[72:73]
                                        ; implicit-def: $vcc
                                        ; implicit-def: $sgpr68_sgpr69
	s_xor_b64 exec, exec, s[72:73]
	s_cbranch_execz .LBB47_3293
; %bb.3284:                             ;   in Loop: Header=BB47_17 Depth=1
	v_cmp_gt_i16_sdwa vcc, v8, v33 src0_sel:BYTE_0 src1_sel:DWORD
	s_mov_b64 s[66:67], s[74:75]
                                        ; implicit-def: $sgpr68_sgpr69
                                        ; implicit-def: $sgpr76_sgpr77
                                        ; implicit-def: $vgpr55
	s_and_saveexec_b64 s[60:61], vcc
	s_xor_b64 vcc, exec, s[60:61]
	s_cbranch_execz .LBB47_3288
; %bb.3285:                             ;   in Loop: Header=BB47_17 Depth=1
	v_cmp_eq_u16_sdwa s[62:63], v8, v34 src0_sel:BYTE_0 src1_sel:DWORD
	s_mov_b64 s[66:67], s[74:75]
                                        ; implicit-def: $vgpr55
	s_and_saveexec_b64 s[60:61], s[62:63]
	s_cbranch_execz .LBB47_3287
; %bb.3286:                             ;   in Loop: Header=BB47_17 Depth=1
	flat_load_ushort v0, v[0:1]
	s_or_b64 s[66:67], s[74:75], exec
	s_waitcnt vmcnt(0) lgkmcnt(0)
	v_lshlrev_b32_e32 v55, 16, v0
.LBB47_3287:                            ;   in Loop: Header=BB47_17 Depth=1
	s_or_b64 exec, exec, s[60:61]
	s_andn2_b64 s[60:61], s[74:75], exec
	s_and_b64 s[62:63], s[66:67], exec
	s_mov_b64 s[76:77], 0
	s_mov_b64 s[68:69], -1
	s_or_b64 s[66:67], s[60:61], s[62:63]
                                        ; implicit-def: $vgpr0_vgpr1
.LBB47_3288:                            ;   in Loop: Header=BB47_17 Depth=1
	s_andn2_saveexec_b64 s[70:71], vcc
	s_cbranch_execz .LBB47_3292
; %bb.3289:                             ;   in Loop: Header=BB47_17 Depth=1
	v_cmp_eq_u16_sdwa s[62:63], v8, v35 src0_sel:BYTE_0 src1_sel:DWORD
	s_mov_b64 vcc, s[66:67]
                                        ; implicit-def: $vgpr55
	s_and_saveexec_b64 s[60:61], s[62:63]
	s_cbranch_execz .LBB47_3291
; %bb.3290:                             ;   in Loop: Header=BB47_17 Depth=1
	flat_load_ubyte v0, v[0:1]
	s_waitcnt vmcnt(0) lgkmcnt(0)
	v_cmp_ne_u16_e32 vcc, 0, v0
	v_cndmask_b32_e64 v55, 0, 1.0, vcc
	s_or_b64 vcc, s[66:67], exec
.LBB47_3291:                            ;   in Loop: Header=BB47_17 Depth=1
	s_or_b64 exec, exec, s[60:61]
	s_andn2_b64 s[60:61], s[66:67], exec
	s_and_b64 vcc, vcc, exec
	s_or_b64 s[68:69], s[68:69], exec
	s_andn2_b64 s[76:77], s[76:77], exec
	s_or_b64 s[66:67], s[60:61], vcc
.LBB47_3292:                            ;   in Loop: Header=BB47_17 Depth=1
	s_or_b64 exec, exec, s[70:71]
	s_andn2_b64 s[60:61], s[74:75], exec
	s_and_b64 s[62:63], s[66:67], exec
	s_and_b64 s[68:69], s[68:69], exec
	s_and_b64 vcc, s[76:77], exec
	s_or_b64 s[74:75], s[60:61], s[62:63]
.LBB47_3293:                            ;   in Loop: Header=BB47_17 Depth=1
	s_or_b64 exec, exec, s[72:73]
	s_andn2_b64 s[60:61], s[86:87], exec
	s_and_b64 s[62:63], s[68:69], exec
	s_or_b64 s[86:87], s[60:61], s[62:63]
	v_readlane_b32 s60, v44, 42
	v_readlane_b32 s61, v44, 43
	s_andn2_b64 s[60:61], s[60:61], exec
	s_and_b64 vcc, vcc, exec
	s_or_b64 s[62:63], s[60:61], vcc
	s_andn2_b64 vcc, s[78:79], exec
	s_and_b64 s[60:61], s[74:75], exec
	s_or_b64 s[78:79], vcc, s[60:61]
.LBB47_3294:                            ;   in Loop: Header=BB47_17 Depth=1
	s_or_b64 exec, exec, s[80:81]
	s_and_b64 s[86:87], s[86:87], exec
	s_and_b64 vcc, s[62:63], exec
	s_and_b64 s[78:79], s[78:79], exec
                                        ; implicit-def: $vgpr0_vgpr1
.LBB47_3295:                            ;   in Loop: Header=BB47_17 Depth=1
	v_readlane_b32 s60, v44, 40
	v_readlane_b32 s61, v44, 41
	s_andn2_saveexec_b64 s[80:81], s[60:61]
	s_cbranch_execz .LBB47_3337
; %bb.3296:                             ;   in Loop: Header=BB47_17 Depth=1
	v_cmp_gt_i16_sdwa s[60:61], v8, v36 src0_sel:BYTE_0 src1_sel:DWORD
                                        ; implicit-def: $vgpr55
	s_and_saveexec_b64 s[62:63], s[60:61]
	s_xor_b64 s[72:73], exec, s[62:63]
	s_cbranch_execz .LBB47_3318
; %bb.3297:                             ;   in Loop: Header=BB47_17 Depth=1
	v_cmp_gt_i16_sdwa s[60:61], v8, v37 src0_sel:BYTE_0 src1_sel:DWORD
                                        ; implicit-def: $vgpr55
	s_and_saveexec_b64 s[62:63], s[60:61]
	s_xor_b64 s[66:67], exec, s[62:63]
	;; [unrolled: 6-line block ×4, first 2 shown]
	s_cbranch_execz .LBB47_3301
; %bb.3300:                             ;   in Loop: Header=BB47_17 Depth=1
	flat_load_dwordx2 v[0:1], v[0:1]
	s_waitcnt vmcnt(0) lgkmcnt(0)
	v_cvt_f32_f64_e32 v55, v[0:1]
                                        ; implicit-def: $vgpr0_vgpr1
.LBB47_3301:                            ;   in Loop: Header=BB47_17 Depth=1
	s_andn2_saveexec_b64 s[60:61], s[60:61]
	s_cbranch_execz .LBB47_3303
; %bb.3302:                             ;   in Loop: Header=BB47_17 Depth=1
	flat_load_dword v55, v[0:1]
.LBB47_3303:                            ;   in Loop: Header=BB47_17 Depth=1
	s_or_b64 exec, exec, s[60:61]
                                        ; implicit-def: $vgpr0_vgpr1
.LBB47_3304:                            ;   in Loop: Header=BB47_17 Depth=1
	s_andn2_saveexec_b64 s[60:61], s[68:69]
	s_cbranch_execz .LBB47_3306
; %bb.3305:                             ;   in Loop: Header=BB47_17 Depth=1
	flat_load_dword v0, v[0:1]
	s_waitcnt vmcnt(0) lgkmcnt(0)
	v_cvt_f32_f16_e32 v55, v0
.LBB47_3306:                            ;   in Loop: Header=BB47_17 Depth=1
	s_or_b64 exec, exec, s[60:61]
                                        ; implicit-def: $vgpr0_vgpr1
.LBB47_3307:                            ;   in Loop: Header=BB47_17 Depth=1
	s_andn2_saveexec_b64 s[66:67], s[66:67]
	s_cbranch_execz .LBB47_3317
; %bb.3308:                             ;   in Loop: Header=BB47_17 Depth=1
	v_cmp_gt_i16_sdwa s[60:61], v8, v48 src0_sel:BYTE_0 src1_sel:DWORD
                                        ; implicit-def: $vgpr55
	s_and_saveexec_b64 s[62:63], s[60:61]
	s_xor_b64 s[68:69], exec, s[62:63]
	s_cbranch_execz .LBB47_3314
; %bb.3309:                             ;   in Loop: Header=BB47_17 Depth=1
	v_cmp_gt_i16_sdwa s[60:61], v8, v49 src0_sel:BYTE_0 src1_sel:DWORD
                                        ; implicit-def: $vgpr55
	s_and_saveexec_b64 s[62:63], s[60:61]
	s_xor_b64 s[60:61], exec, s[62:63]
	s_cbranch_execz .LBB47_3311
; %bb.3310:                             ;   in Loop: Header=BB47_17 Depth=1
	flat_load_dwordx2 v[0:1], v[0:1]
	s_waitcnt vmcnt(0) lgkmcnt(0)
	v_cvt_f32_f64_e32 v55, v[0:1]
                                        ; implicit-def: $vgpr0_vgpr1
.LBB47_3311:                            ;   in Loop: Header=BB47_17 Depth=1
	s_andn2_saveexec_b64 s[60:61], s[60:61]
	s_cbranch_execz .LBB47_3313
; %bb.3312:                             ;   in Loop: Header=BB47_17 Depth=1
	s_waitcnt vmcnt(0) lgkmcnt(0)
	flat_load_dword v55, v[0:1]
.LBB47_3313:                            ;   in Loop: Header=BB47_17 Depth=1
	s_or_b64 exec, exec, s[60:61]
                                        ; implicit-def: $vgpr0_vgpr1
.LBB47_3314:                            ;   in Loop: Header=BB47_17 Depth=1
	s_andn2_saveexec_b64 s[60:61], s[68:69]
	s_cbranch_execz .LBB47_3316
; %bb.3315:                             ;   in Loop: Header=BB47_17 Depth=1
	flat_load_ushort v0, v[0:1]
	s_waitcnt vmcnt(0) lgkmcnt(0)
	v_cvt_f32_f16_e32 v55, v0
.LBB47_3316:                            ;   in Loop: Header=BB47_17 Depth=1
	s_or_b64 exec, exec, s[60:61]
.LBB47_3317:                            ;   in Loop: Header=BB47_17 Depth=1
	s_or_b64 exec, exec, s[66:67]
                                        ; implicit-def: $vgpr0_vgpr1
.LBB47_3318:                            ;   in Loop: Header=BB47_17 Depth=1
	s_andn2_saveexec_b64 s[72:73], s[72:73]
	s_cbranch_execz .LBB47_3336
; %bb.3319:                             ;   in Loop: Header=BB47_17 Depth=1
	v_cmp_gt_i16_sdwa s[60:61], v8, v50 src0_sel:BYTE_0 src1_sel:DWORD
                                        ; implicit-def: $vgpr55
	s_and_saveexec_b64 s[62:63], s[60:61]
	s_xor_b64 s[74:75], exec, s[62:63]
	s_cbranch_execz .LBB47_3329
; %bb.3320:                             ;   in Loop: Header=BB47_17 Depth=1
	v_cmp_gt_i16_sdwa s[60:61], v8, v51 src0_sel:BYTE_0 src1_sel:DWORD
                                        ; implicit-def: $vgpr55
	s_and_saveexec_b64 s[62:63], s[60:61]
	s_xor_b64 s[66:67], exec, s[62:63]
	s_cbranch_execz .LBB47_3326
; %bb.3321:                             ;   in Loop: Header=BB47_17 Depth=1
	v_cmp_gt_i16_sdwa s[60:61], v8, v52 src0_sel:BYTE_0 src1_sel:DWORD
                                        ; implicit-def: $vgpr55
	s_and_saveexec_b64 s[62:63], s[60:61]
	s_xor_b64 s[68:69], exec, s[62:63]
	s_cbranch_execz .LBB47_3323
; %bb.3322:                             ;   in Loop: Header=BB47_17 Depth=1
	flat_load_dwordx2 v[0:1], v[0:1]
	s_waitcnt vmcnt(0) lgkmcnt(0)
	v_xor_b32_e32 v64, v0, v1
	v_ffbh_i32_e32 v55, v1
	v_ashrrev_i32_e32 v64, 31, v64
	v_add_u32_e32 v55, -1, v55
	v_add_u32_e32 v64, 32, v64
	v_min_u32_e32 v55, v55, v64
	s_waitcnt vmcnt(0) expcnt(0) lgkmcnt(0)
	v_swap_b32 v2, v55
	v_lshlrev_b64 v[0:1], v2, v[0:1]
	v_swap_b32 v55, v2
	v_min_u32_e32 v0, 1, v0
	v_or_b32_e32 v0, v1, v0
	v_cvt_f32_i32_e32 v0, v0
	v_sub_u32_e32 v1, 32, v55
	v_ldexp_f32 v55, v0, v1
                                        ; implicit-def: $vgpr0_vgpr1
.LBB47_3323:                            ;   in Loop: Header=BB47_17 Depth=1
	s_andn2_saveexec_b64 s[60:61], s[68:69]
	s_cbranch_execz .LBB47_3325
; %bb.3324:                             ;   in Loop: Header=BB47_17 Depth=1
	flat_load_dword v0, v[0:1]
	s_waitcnt vmcnt(0) lgkmcnt(0)
	v_cvt_f32_i32_e32 v55, v0
.LBB47_3325:                            ;   in Loop: Header=BB47_17 Depth=1
	s_or_b64 exec, exec, s[60:61]
                                        ; implicit-def: $vgpr0_vgpr1
.LBB47_3326:                            ;   in Loop: Header=BB47_17 Depth=1
	s_andn2_saveexec_b64 s[60:61], s[66:67]
	s_cbranch_execz .LBB47_3328
; %bb.3327:                             ;   in Loop: Header=BB47_17 Depth=1
	flat_load_sshort v0, v[0:1]
	s_waitcnt vmcnt(0) lgkmcnt(0)
	v_cvt_f32_i32_e32 v55, v0
.LBB47_3328:                            ;   in Loop: Header=BB47_17 Depth=1
	s_or_b64 exec, exec, s[60:61]
                                        ; implicit-def: $vgpr0_vgpr1
.LBB47_3329:                            ;   in Loop: Header=BB47_17 Depth=1
	s_andn2_saveexec_b64 s[66:67], s[74:75]
	s_cbranch_execz .LBB47_3335
; %bb.3330:                             ;   in Loop: Header=BB47_17 Depth=1
	v_cmp_gt_i16_sdwa s[60:61], v8, v14 src0_sel:BYTE_0 src1_sel:DWORD
                                        ; implicit-def: $vgpr55
	s_and_saveexec_b64 s[62:63], s[60:61]
	s_xor_b64 s[60:61], exec, s[62:63]
	s_cbranch_execz .LBB47_3332
; %bb.3331:                             ;   in Loop: Header=BB47_17 Depth=1
	flat_load_sbyte v0, v[0:1]
	s_waitcnt vmcnt(0) lgkmcnt(0)
	v_cvt_f32_i32_e32 v55, v0
                                        ; implicit-def: $vgpr0_vgpr1
.LBB47_3332:                            ;   in Loop: Header=BB47_17 Depth=1
	s_andn2_saveexec_b64 s[60:61], s[60:61]
	s_cbranch_execz .LBB47_3334
; %bb.3333:                             ;   in Loop: Header=BB47_17 Depth=1
	flat_load_ubyte v0, v[0:1]
	s_waitcnt vmcnt(0) lgkmcnt(0)
	v_cvt_f32_ubyte0_e32 v55, v0
.LBB47_3334:                            ;   in Loop: Header=BB47_17 Depth=1
	s_or_b64 exec, exec, s[60:61]
.LBB47_3335:                            ;   in Loop: Header=BB47_17 Depth=1
	s_or_b64 exec, exec, s[66:67]
.LBB47_3336:                            ;   in Loop: Header=BB47_17 Depth=1
	s_or_b64 exec, exec, s[72:73]
	s_andn2_b64 s[86:87], s[86:87], exec
	s_andn2_b64 vcc, vcc, exec
	s_or_b64 s[78:79], s[78:79], exec
.LBB47_3337:                            ;   in Loop: Header=BB47_17 Depth=1
	s_or_b64 exec, exec, s[80:81]
	s_mov_b64 s[66:67], 0
	s_and_saveexec_b64 s[68:69], s[78:79]
	s_cbranch_execz .LBB47_3339
; %bb.3338:                             ;   in Loop: Header=BB47_17 Depth=1
	s_mov_b64 s[66:67], exec
	v_add_u32_e32 v53, 0x200, v53
	s_andn2_b64 s[86:87], s[86:87], exec
	s_andn2_b64 vcc, vcc, exec
	s_waitcnt vmcnt(0) lgkmcnt(0)
	buffer_store_dword v55, v54, s[0:3], 0 offen offset:112
.LBB47_3339:                            ;   in Loop: Header=BB47_17 Depth=1
	s_or_b64 exec, exec, s[68:69]
	s_andn2_b64 s[60:61], s[90:91], exec
	s_and_b64 s[62:63], s[86:87], exec
	s_or_b64 s[90:91], s[60:61], s[62:63]
	s_andn2_b64 s[60:61], s[92:93], exec
	s_and_b64 vcc, vcc, exec
	s_or_b64 s[92:93], s[60:61], vcc
	s_and_b64 s[66:67], s[66:67], exec
.LBB47_3340:                            ;   in Loop: Header=BB47_17 Depth=1
	s_or_b64 exec, exec, s[84:85]
	s_and_b64 vcc, s[90:91], exec
	v_writelane_b32 v44, vcc_lo, 38
	v_writelane_b32 v44, vcc_hi, 39
	s_and_b64 s[62:63], s[92:93], exec
	s_orn2_b64 s[66:67], s[66:67], exec
.LBB47_3341:                            ;   in Loop: Header=BB47_17 Depth=1
	s_or_b64 exec, exec, s[96:97]
	s_and_saveexec_b64 s[96:97], s[66:67]
	s_cbranch_execz .LBB47_2
; %bb.3342:                             ;   in Loop: Header=BB47_17 Depth=1
	v_writelane_b32 v44, s62, 44
	v_writelane_b32 v44, s63, 45
	s_mov_b64 s[60:61], -1
	v_cmp_lt_i32_e32 vcc, v53, v6
	v_writelane_b32 v44, s60, 46
	s_mov_b64 s[70:71], -1
	v_writelane_b32 v44, s61, 47
                                        ; implicit-def: $sgpr66_sgpr67
                                        ; implicit-def: $sgpr68_sgpr69
	s_and_saveexec_b64 s[90:91], vcc
	s_cbranch_execz .LBB47_3468
; %bb.3343:                             ;   in Loop: Header=BB47_17 Depth=1
	v_readlane_b32 vcc_lo, v44, 1
	s_waitcnt vmcnt(0) lgkmcnt(0)
	v_add_u32_e32 v55, vcc_lo, v53
	v_mul_lo_u32 v0, v55, v9
	v_add_co_u32_e32 v0, vcc, v2, v0
	v_addc_co_u32_e32 v1, vcc, 0, v3, vcc
	v_cmp_gt_i16_sdwa s[60:61], v7, v16 src0_sel:BYTE_0 src1_sel:DWORD
	s_mov_b64 vcc, 0
                                        ; implicit-def: $sgpr76_sgpr77
                                        ; implicit-def: $sgpr92_sgpr93
                                        ; implicit-def: $vgpr64
	s_and_saveexec_b64 s[62:63], s[60:61]
	s_xor_b64 s[84:85], exec, s[62:63]
	s_cbranch_execnz .LBB47_3362
; %bb.3344:                             ;   in Loop: Header=BB47_17 Depth=1
	s_andn2_saveexec_b64 s[78:79], s[84:85]
	s_cbranch_execnz .LBB47_3421
.LBB47_3345:                            ;   in Loop: Header=BB47_17 Depth=1
	s_or_b64 exec, exec, s[78:79]
	s_mov_b64 s[70:71], 0
	s_and_saveexec_b64 s[84:85], vcc
	s_cbranch_execnz .LBB47_3462
	s_branch .LBB47_3467
.LBB47_3346:                            ;   in Loop: Header=BB47_17 Depth=1
	s_movk_i32 vcc_lo, 0x80
	v_cmp_eq_u16_e32 vcc, vcc_lo, v0
	s_mov_b64 s[92:93], -1
                                        ; implicit-def: $sgpr96
	s_and_saveexec_b64 s[60:61], vcc
; %bb.3347:                             ;   in Loop: Header=BB47_17 Depth=1
	s_mov_b32 s96, 0x7f800001
	s_xor_b64 s[92:93], exec, -1
; %bb.3348:                             ;   in Loop: Header=BB47_17 Depth=1
	s_or_b64 exec, exec, s[60:61]
	s_and_b64 s[92:93], s[92:93], exec
	s_or_saveexec_b64 s[94:95], s[94:95]
	v_mov_b32_e32 v54, s96
	s_xor_b64 exec, exec, s[94:95]
	s_cbranch_execz .LBB47_2165
.LBB47_3349:                            ;   in Loop: Header=BB47_17 Depth=1
	v_cmp_ne_u16_e32 vcc, 0, v0
	s_andn2_b64 s[60:61], s[92:93], exec
	s_and_b64 vcc, vcc, exec
	v_mov_b32_e32 v54, 0
	s_or_b64 s[92:93], s[60:61], vcc
	s_or_b64 exec, exec, s[94:95]
	s_and_saveexec_b64 s[94:95], s[92:93]
	s_cbranch_execnz .LBB47_2166
	s_branch .LBB47_2167
.LBB47_3350:                            ;   in Loop: Header=BB47_17 Depth=1
	s_movk_i32 vcc_lo, 0x80
	v_cmp_eq_u16_e32 vcc, vcc_lo, v0
	s_mov_b64 s[66:67], -1
                                        ; implicit-def: $sgpr70
	s_and_saveexec_b64 s[60:61], vcc
; %bb.3351:                             ;   in Loop: Header=BB47_17 Depth=1
	s_mov_b32 s70, 0x7f800001
	s_xor_b64 s[66:67], exec, -1
; %bb.3352:                             ;   in Loop: Header=BB47_17 Depth=1
	s_or_b64 exec, exec, s[60:61]
	s_and_b64 s[66:67], s[66:67], exec
	s_or_saveexec_b64 s[68:69], s[68:69]
	v_mov_b32_e32 v64, s70
	s_xor_b64 exec, exec, s[68:69]
	s_cbranch_execz .LBB47_2265
.LBB47_3353:                            ;   in Loop: Header=BB47_17 Depth=1
	v_cmp_ne_u16_e32 vcc, 0, v0
	s_andn2_b64 s[60:61], s[66:67], exec
	s_and_b64 vcc, vcc, exec
	v_mov_b32_e32 v64, 0
	s_or_b64 s[66:67], s[60:61], vcc
	s_or_b64 exec, exec, s[68:69]
	s_and_saveexec_b64 s[68:69], s[66:67]
	s_cbranch_execnz .LBB47_2266
	s_branch .LBB47_2267
.LBB47_3354:                            ;   in Loop: Header=BB47_17 Depth=1
	s_movk_i32 vcc_lo, 0x80
	v_cmp_eq_u16_e32 vcc, vcc_lo, v0
	s_mov_b64 s[66:67], -1
                                        ; implicit-def: $sgpr70
	s_and_saveexec_b64 s[60:61], vcc
; %bb.3355:                             ;   in Loop: Header=BB47_17 Depth=1
	s_mov_b32 s70, 0x7f800001
	s_xor_b64 s[66:67], exec, -1
; %bb.3356:                             ;   in Loop: Header=BB47_17 Depth=1
	s_or_b64 exec, exec, s[60:61]
	s_and_b64 s[66:67], s[66:67], exec
	s_or_saveexec_b64 s[68:69], s[68:69]
	v_mov_b32_e32 v55, s70
	s_xor_b64 exec, exec, s[68:69]
	s_cbranch_execz .LBB47_2381
.LBB47_3357:                            ;   in Loop: Header=BB47_17 Depth=1
	v_cmp_ne_u16_e32 vcc, 0, v0
	s_andn2_b64 s[60:61], s[66:67], exec
	s_and_b64 vcc, vcc, exec
	v_mov_b32_e32 v55, 0
	s_or_b64 s[66:67], s[60:61], vcc
	s_or_b64 exec, exec, s[68:69]
	s_and_saveexec_b64 s[68:69], s[66:67]
	s_cbranch_execnz .LBB47_2382
	s_branch .LBB47_2383
.LBB47_3358:                            ;   in Loop: Header=BB47_17 Depth=1
	s_movk_i32 vcc_lo, 0x80
	v_cmp_eq_u16_e32 vcc, vcc_lo, v0
	s_mov_b64 s[66:67], -1
                                        ; implicit-def: $sgpr70
	s_and_saveexec_b64 s[60:61], vcc
; %bb.3359:                             ;   in Loop: Header=BB47_17 Depth=1
	s_mov_b32 s70, 0x7f800001
	s_xor_b64 s[66:67], exec, -1
; %bb.3360:                             ;   in Loop: Header=BB47_17 Depth=1
	s_or_b64 exec, exec, s[60:61]
	s_and_b64 s[66:67], s[66:67], exec
	s_or_saveexec_b64 s[68:69], s[68:69]
	v_mov_b32_e32 v64, s70
	s_xor_b64 exec, exec, s[68:69]
	s_cbranch_execz .LBB47_2481
.LBB47_3361:                            ;   in Loop: Header=BB47_17 Depth=1
	v_cmp_ne_u16_e32 vcc, 0, v0
	s_andn2_b64 s[60:61], s[66:67], exec
	s_and_b64 vcc, vcc, exec
	v_mov_b32_e32 v64, 0
	s_or_b64 s[66:67], s[60:61], vcc
	s_or_b64 exec, exec, s[68:69]
	s_and_saveexec_b64 s[68:69], s[66:67]
	s_cbranch_execnz .LBB47_2482
	s_branch .LBB47_2483
.LBB47_3362:                            ;   in Loop: Header=BB47_17 Depth=1
	v_cmp_gt_i16_sdwa vcc, v7, v17 src0_sel:BYTE_0 src1_sel:DWORD
	s_mov_b64 s[78:79], 0
                                        ; implicit-def: $sgpr80_sgpr81
                                        ; implicit-def: $sgpr86_sgpr87
                                        ; implicit-def: $vgpr64
	s_and_saveexec_b64 s[60:61], vcc
	s_xor_b64 s[92:93], exec, s[60:61]
	s_cbranch_execz .LBB47_3394
; %bb.3363:                             ;   in Loop: Header=BB47_17 Depth=1
	v_cmp_gt_i16_sdwa vcc, v7, v18 src0_sel:BYTE_0 src1_sel:DWORD
                                        ; implicit-def: $sgpr72_sgpr73
                                        ; implicit-def: $sgpr86_sgpr87
                                        ; implicit-def: $vgpr64
	s_and_saveexec_b64 s[60:61], vcc
	s_xor_b64 s[80:81], exec, s[60:61]
	s_cbranch_execz .LBB47_3379
; %bb.3364:                             ;   in Loop: Header=BB47_17 Depth=1
	v_cmp_gt_i16_sdwa s[60:61], v7, v19 src0_sel:BYTE_0 src1_sel:DWORD
	s_mov_b64 s[74:75], 0
                                        ; implicit-def: $vcc
                                        ; implicit-def: $sgpr86_sgpr87
                                        ; implicit-def: $vgpr64
	s_and_saveexec_b64 s[62:63], s[60:61]
	s_xor_b64 s[72:73], exec, s[62:63]
	s_cbranch_execz .LBB47_3374
; %bb.3365:                             ;   in Loop: Header=BB47_17 Depth=1
	v_cmp_gt_i16_sdwa vcc, v7, v20 src0_sel:BYTE_0 src1_sel:DWORD
                                        ; implicit-def: $sgpr86_sgpr87
                                        ; implicit-def: $sgpr74_sgpr75
                                        ; implicit-def: $vgpr64
	s_and_saveexec_b64 s[60:61], vcc
	s_xor_b64 vcc, exec, s[60:61]
	s_cbranch_execz .LBB47_3369
; %bb.3366:                             ;   in Loop: Header=BB47_17 Depth=1
	v_cmp_eq_u16_sdwa s[62:63], v7, v21 src0_sel:BYTE_0 src1_sel:DWORD
	s_mov_b64 s[86:87], 0
	s_mov_b64 s[66:67], 0
                                        ; implicit-def: $vgpr64
	s_and_saveexec_b64 s[60:61], s[62:63]
	s_cbranch_execz .LBB47_3368
; %bb.3367:                             ;   in Loop: Header=BB47_17 Depth=1
	flat_load_dword v0, v[0:1]
	s_mov_b64 s[66:67], exec
	s_waitcnt vmcnt(0) lgkmcnt(0)
	v_lshlrev_b32_e32 v64, 16, v0
.LBB47_3368:                            ;   in Loop: Header=BB47_17 Depth=1
	s_or_b64 exec, exec, s[60:61]
	s_mov_b64 s[74:75], -1
	s_and_b64 s[78:79], s[66:67], exec
                                        ; implicit-def: $vgpr0_vgpr1
.LBB47_3369:                            ;   in Loop: Header=BB47_17 Depth=1
	s_andn2_saveexec_b64 s[66:67], vcc
	s_cbranch_execz .LBB47_3373
; %bb.3370:                             ;   in Loop: Header=BB47_17 Depth=1
	v_cmp_eq_u16_sdwa s[60:61], v7, v22 src0_sel:BYTE_0 src1_sel:DWORD
	s_mov_b64 vcc, s[78:79]
                                        ; implicit-def: $vgpr64
	s_and_saveexec_b64 s[68:69], s[60:61]
	s_cbranch_execz .LBB47_3372
; %bb.3371:                             ;   in Loop: Header=BB47_17 Depth=1
	flat_load_ubyte v0, v[0:1]
	s_movk_i32 vcc_lo, 0xff
	s_waitcnt vmcnt(0) lgkmcnt(0)
	v_lshlrev_b32_e32 v1, 23, v0
	v_cmp_ne_u32_e32 vcc, vcc_lo, v0
	v_cndmask_b32_e32 v1, v23, v1, vcc
	v_cmp_ne_u32_e32 vcc, 0, v0
	v_cndmask_b32_e32 v64, v24, v1, vcc
	s_or_b64 vcc, s[78:79], exec
.LBB47_3372:                            ;   in Loop: Header=BB47_17 Depth=1
	s_or_b64 exec, exec, s[68:69]
	s_andn2_b64 s[60:61], s[78:79], exec
	s_and_b64 vcc, vcc, exec
	s_andn2_b64 s[86:87], s[86:87], exec
	s_or_b64 s[74:75], s[74:75], exec
	s_or_b64 s[78:79], s[60:61], vcc
.LBB47_3373:                            ;   in Loop: Header=BB47_17 Depth=1
	s_or_b64 exec, exec, s[66:67]
	s_and_b64 s[86:87], s[86:87], exec
	s_and_b64 vcc, s[74:75], exec
	s_and_b64 s[74:75], s[78:79], exec
                                        ; implicit-def: $vgpr0_vgpr1
.LBB47_3374:                            ;   in Loop: Header=BB47_17 Depth=1
	s_andn2_saveexec_b64 s[66:67], s[72:73]
	s_cbranch_execz .LBB47_3378
; %bb.3375:                             ;   in Loop: Header=BB47_17 Depth=1
	v_cmp_eq_u16_sdwa s[60:61], v7, v25 src0_sel:BYTE_0 src1_sel:DWORD
	s_mov_b64 s[70:71], s[74:75]
                                        ; implicit-def: $vgpr64
	s_and_saveexec_b64 s[68:69], s[60:61]
	s_cbranch_execz .LBB47_3377
; %bb.3376:                             ;   in Loop: Header=BB47_17 Depth=1
	flat_load_dwordx2 v[0:1], v[0:1]
	s_or_b64 s[70:71], s[74:75], exec
	s_waitcnt vmcnt(0) lgkmcnt(0)
	v_ffbh_u32_e32 v54, v1
	v_min_u32_e32 v54, 32, v54
	v_lshlrev_b64 v[0:1], v54, v[0:1]
	v_min_u32_e32 v0, 1, v0
	v_or_b32_e32 v0, v1, v0
	v_cvt_f32_u32_e32 v0, v0
	v_sub_u32_e32 v1, 32, v54
	v_ldexp_f32 v64, v0, v1
.LBB47_3377:                            ;   in Loop: Header=BB47_17 Depth=1
	s_or_b64 exec, exec, s[68:69]
	s_andn2_b64 s[60:61], s[74:75], exec
	s_and_b64 s[62:63], s[70:71], exec
	s_andn2_b64 s[86:87], s[86:87], exec
	s_or_b64 vcc, vcc, exec
	s_or_b64 s[74:75], s[60:61], s[62:63]
.LBB47_3378:                            ;   in Loop: Header=BB47_17 Depth=1
	s_or_b64 exec, exec, s[66:67]
	s_and_b64 s[86:87], s[86:87], exec
	s_and_b64 s[72:73], vcc, exec
	s_and_b64 s[78:79], s[74:75], exec
                                        ; implicit-def: $vgpr0_vgpr1
.LBB47_3379:                            ;   in Loop: Header=BB47_17 Depth=1
	s_andn2_saveexec_b64 s[80:81], s[80:81]
	s_cbranch_execz .LBB47_3393
; %bb.3380:                             ;   in Loop: Header=BB47_17 Depth=1
	v_cmp_gt_i16_sdwa vcc, v7, v26 src0_sel:BYTE_0 src1_sel:DWORD
                                        ; implicit-def: $vgpr64
	s_and_saveexec_b64 s[60:61], vcc
	s_xor_b64 vcc, exec, s[60:61]
	s_cbranch_execz .LBB47_3386
; %bb.3381:                             ;   in Loop: Header=BB47_17 Depth=1
	v_cmp_gt_i16_sdwa s[60:61], v7, v27 src0_sel:BYTE_0 src1_sel:DWORD
                                        ; implicit-def: $vgpr64
	s_and_saveexec_b64 s[62:63], s[60:61]
	s_xor_b64 s[60:61], exec, s[62:63]
	s_cbranch_execz .LBB47_3383
; %bb.3382:                             ;   in Loop: Header=BB47_17 Depth=1
	flat_load_dword v0, v[0:1]
	s_waitcnt vmcnt(0) lgkmcnt(0)
	v_cvt_f32_u32_e32 v64, v0
                                        ; implicit-def: $vgpr0_vgpr1
.LBB47_3383:                            ;   in Loop: Header=BB47_17 Depth=1
	s_andn2_saveexec_b64 s[60:61], s[60:61]
	s_cbranch_execz .LBB47_3385
; %bb.3384:                             ;   in Loop: Header=BB47_17 Depth=1
	flat_load_ushort v0, v[0:1]
	s_waitcnt vmcnt(0) lgkmcnt(0)
	v_cvt_f32_u32_e32 v64, v0
.LBB47_3385:                            ;   in Loop: Header=BB47_17 Depth=1
	s_or_b64 exec, exec, s[60:61]
                                        ; implicit-def: $vgpr0_vgpr1
.LBB47_3386:                            ;   in Loop: Header=BB47_17 Depth=1
	s_andn2_saveexec_b64 s[74:75], vcc
	s_cbranch_execz .LBB47_3392
; %bb.3387:                             ;   in Loop: Header=BB47_17 Depth=1
	flat_load_ubyte v0, v[0:1]
	s_movk_i32 vcc_lo, 0x7f
	s_mov_b64 s[66:67], 0
                                        ; implicit-def: $sgpr70
	s_waitcnt vmcnt(0) lgkmcnt(0)
	v_cmp_lt_i16_e32 vcc, vcc_lo, v0
	s_and_saveexec_b64 s[60:61], vcc
	s_xor_b64 s[68:69], exec, s[60:61]
	s_cbranch_execnz .LBB47_3630
; %bb.3388:                             ;   in Loop: Header=BB47_17 Depth=1
	s_or_saveexec_b64 s[68:69], s[68:69]
	v_mov_b32_e32 v64, s70
	s_xor_b64 exec, exec, s[68:69]
	s_cbranch_execnz .LBB47_3633
.LBB47_3389:                            ;   in Loop: Header=BB47_17 Depth=1
	s_or_b64 exec, exec, s[68:69]
	s_and_saveexec_b64 s[68:69], s[66:67]
	s_cbranch_execz .LBB47_3391
.LBB47_3390:                            ;   in Loop: Header=BB47_17 Depth=1
	v_lshlrev_b32_e32 v1, 24, v0
	v_and_b32_e32 v0, 0xffff, v0
	v_and_b32_e32 v54, 7, v0
	v_ffbh_u32_e32 v65, v54
	v_min_u32_e32 v65, 32, v65
	v_subrev_u32_e32 v66, 28, v65
	v_bfe_u32 v64, v0, 3, 4
	v_lshlrev_b32_e32 v0, v66, v0
	v_sub_u32_e32 v65, 29, v65
	v_and_b32_e32 v0, 7, v0
	v_cmp_eq_u32_e32 vcc, 0, v64
	v_cndmask_b32_e32 v64, v64, v65, vcc
	v_cndmask_b32_e32 v0, v54, v0, vcc
	v_lshlrev_b32_e32 v0, 20, v0
	v_and_b32_e32 v1, 0x80000000, v1
	v_lshl_add_u32 v54, v64, 23, v28
	v_or3_b32 v64, v1, v54, v0
.LBB47_3391:                            ;   in Loop: Header=BB47_17 Depth=1
	s_or_b64 exec, exec, s[68:69]
.LBB47_3392:                            ;   in Loop: Header=BB47_17 Depth=1
	s_or_b64 exec, exec, s[74:75]
	s_andn2_b64 s[86:87], s[86:87], exec
	s_andn2_b64 s[72:73], s[72:73], exec
	s_or_b64 s[78:79], s[78:79], exec
.LBB47_3393:                            ;   in Loop: Header=BB47_17 Depth=1
	s_or_b64 exec, exec, s[80:81]
	s_and_b64 s[86:87], s[86:87], exec
	s_and_b64 s[80:81], s[72:73], exec
	;; [unrolled: 1-line block ×3, first 2 shown]
                                        ; implicit-def: $vgpr0_vgpr1
.LBB47_3394:                            ;   in Loop: Header=BB47_17 Depth=1
	s_andn2_saveexec_b64 s[92:93], s[92:93]
	s_cbranch_execz .LBB47_3420
; %bb.3395:                             ;   in Loop: Header=BB47_17 Depth=1
	v_cmp_gt_i16_sdwa vcc, v7, v29 src0_sel:BYTE_0 src1_sel:DWORD
	s_mov_b64 s[74:75], s[78:79]
                                        ; implicit-def: $vgpr64
	s_and_saveexec_b64 s[60:61], vcc
	s_xor_b64 s[72:73], exec, s[60:61]
	s_cbranch_execz .LBB47_3409
; %bb.3396:                             ;   in Loop: Header=BB47_17 Depth=1
	v_cmp_gt_i16_sdwa vcc, v7, v30 src0_sel:BYTE_0 src1_sel:DWORD
                                        ; implicit-def: $vgpr64
	s_and_saveexec_b64 s[60:61], vcc
	s_xor_b64 s[62:63], exec, s[60:61]
	s_cbranch_execz .LBB47_3406
; %bb.3397:                             ;   in Loop: Header=BB47_17 Depth=1
	v_cmp_gt_i16_sdwa vcc, v7, v31 src0_sel:BYTE_0 src1_sel:DWORD
                                        ; implicit-def: $vgpr64
	s_and_saveexec_b64 s[60:61], vcc
	s_xor_b64 s[74:75], exec, s[60:61]
	s_cbranch_execz .LBB47_3403
; %bb.3398:                             ;   in Loop: Header=BB47_17 Depth=1
	flat_load_ubyte v0, v[0:1]
	s_movk_i32 vcc_lo, 0x7f
	s_mov_b64 s[66:67], 0
                                        ; implicit-def: $sgpr70
	s_waitcnt vmcnt(0) lgkmcnt(0)
	v_cmp_lt_i16_e32 vcc, vcc_lo, v0
	s_and_saveexec_b64 s[60:61], vcc
	s_xor_b64 s[68:69], exec, s[60:61]
	s_cbranch_execnz .LBB47_3638
; %bb.3399:                             ;   in Loop: Header=BB47_17 Depth=1
	s_or_saveexec_b64 s[68:69], s[68:69]
	v_mov_b32_e32 v64, s70
	s_xor_b64 exec, exec, s[68:69]
	s_cbranch_execnz .LBB47_3641
.LBB47_3400:                            ;   in Loop: Header=BB47_17 Depth=1
	s_or_b64 exec, exec, s[68:69]
	s_and_saveexec_b64 s[68:69], s[66:67]
	s_cbranch_execz .LBB47_3402
.LBB47_3401:                            ;   in Loop: Header=BB47_17 Depth=1
	v_lshlrev_b32_e32 v1, 24, v0
	v_and_b32_e32 v0, 0xffff, v0
	v_and_b32_e32 v54, 3, v0
	v_ffbh_u32_e32 v65, v54
	v_min_u32_e32 v65, 32, v65
	v_subrev_u32_e32 v66, 29, v65
	v_bfe_u32 v64, v0, 2, 5
	v_lshlrev_b32_e32 v0, v66, v0
	v_sub_u32_e32 v65, 30, v65
	v_and_b32_e32 v0, 3, v0
	v_cmp_eq_u32_e32 vcc, 0, v64
	v_cndmask_b32_e32 v64, v64, v65, vcc
	v_cndmask_b32_e32 v0, v54, v0, vcc
	v_lshlrev_b32_e32 v0, 21, v0
	v_and_b32_e32 v1, 0x80000000, v1
	v_lshl_add_u32 v54, v64, 23, v32
	v_or3_b32 v64, v1, v54, v0
.LBB47_3402:                            ;   in Loop: Header=BB47_17 Depth=1
	s_or_b64 exec, exec, s[68:69]
                                        ; implicit-def: $vgpr0_vgpr1
.LBB47_3403:                            ;   in Loop: Header=BB47_17 Depth=1
	s_andn2_saveexec_b64 s[66:67], s[74:75]
	s_cbranch_execz .LBB47_3405
; %bb.3404:                             ;   in Loop: Header=BB47_17 Depth=1
	flat_load_ubyte v0, v[0:1]
	s_mov_b32 vcc_lo, 0x7f800000
	s_waitcnt vmcnt(0) lgkmcnt(0)
	v_lshlrev_b32_e32 v0, 24, v0
	v_and_b32_e32 v1, 0x7f000000, v0
	v_ffbh_u32_e32 v54, v1
	v_min_u32_e32 v54, 32, v54
	v_sub_u32_e64 v54, v54, 4 clamp
	v_lshlrev_b32_e32 v65, v54, v1
	v_lshlrev_b32_e32 v54, 23, v54
	v_lshrrev_b32_e32 v65, 4, v65
	v_add_u32_e32 v64, 0x1000000, v1
	v_sub_u32_e32 v54, v65, v54
	v_ashrrev_i32_e32 v64, 8, v64
	v_add_u32_e32 v54, 0x3c000000, v54
	v_and_or_b32 v54, v64, vcc_lo, v54
	v_cmp_ne_u32_e32 vcc, 0, v1
	v_cndmask_b32_e32 v1, 0, v54, vcc
	s_brev_b32 vcc_lo, 1
	v_and_or_b32 v64, v0, vcc_lo, v1
.LBB47_3405:                            ;   in Loop: Header=BB47_17 Depth=1
	s_or_b64 exec, exec, s[66:67]
                                        ; implicit-def: $vgpr0_vgpr1
.LBB47_3406:                            ;   in Loop: Header=BB47_17 Depth=1
	s_andn2_saveexec_b64 s[66:67], s[62:63]
	s_cbranch_execz .LBB47_3408
; %bb.3407:                             ;   in Loop: Header=BB47_17 Depth=1
	flat_load_ubyte v0, v[0:1]
	s_movk_i32 vcc_lo, 0x7f00
	s_waitcnt vmcnt(0) lgkmcnt(0)
	v_lshlrev_b16_e32 v1, 8, v0
	v_lshlrev_b32_e32 v0, 25, v0
	v_lshrrev_b32_e32 v54, 4, v0
	v_and_or_b32 v64, v1, vcc_lo, 0.5
	v_or_b32_e32 v54, 0x70000000, v54
	s_brev_b32 vcc_lo, 16
	v_add_f32_e32 v64, -0.5, v64
	v_mul_f32_e32 v54, 0x7800000, v54
	v_cmp_gt_u32_e32 vcc, vcc_lo, v0
	v_cndmask_b32_e32 v0, v54, v64, vcc
	v_bfe_i32 v1, v1, 0, 16
	s_brev_b32 vcc_lo, 1
	v_and_or_b32 v64, v1, vcc_lo, v0
.LBB47_3408:                            ;   in Loop: Header=BB47_17 Depth=1
	s_or_b64 exec, exec, s[66:67]
	s_or_b64 s[74:75], s[78:79], exec
                                        ; implicit-def: $vgpr0_vgpr1
.LBB47_3409:                            ;   in Loop: Header=BB47_17 Depth=1
	s_or_saveexec_b64 s[72:73], s[72:73]
                                        ; implicit-def: $vcc
                                        ; implicit-def: $sgpr68_sgpr69
	s_xor_b64 exec, exec, s[72:73]
	s_cbranch_execz .LBB47_3419
; %bb.3410:                             ;   in Loop: Header=BB47_17 Depth=1
	v_cmp_gt_i16_sdwa vcc, v7, v33 src0_sel:BYTE_0 src1_sel:DWORD
	s_mov_b64 s[66:67], s[74:75]
                                        ; implicit-def: $sgpr68_sgpr69
                                        ; implicit-def: $sgpr76_sgpr77
                                        ; implicit-def: $vgpr64
	s_and_saveexec_b64 s[60:61], vcc
	s_xor_b64 vcc, exec, s[60:61]
	s_cbranch_execz .LBB47_3414
; %bb.3411:                             ;   in Loop: Header=BB47_17 Depth=1
	v_cmp_eq_u16_sdwa s[62:63], v7, v34 src0_sel:BYTE_0 src1_sel:DWORD
	s_mov_b64 s[66:67], s[74:75]
                                        ; implicit-def: $vgpr64
	s_and_saveexec_b64 s[60:61], s[62:63]
	s_cbranch_execz .LBB47_3413
; %bb.3412:                             ;   in Loop: Header=BB47_17 Depth=1
	flat_load_ushort v0, v[0:1]
	s_or_b64 s[66:67], s[74:75], exec
	s_waitcnt vmcnt(0) lgkmcnt(0)
	v_lshlrev_b32_e32 v64, 16, v0
.LBB47_3413:                            ;   in Loop: Header=BB47_17 Depth=1
	s_or_b64 exec, exec, s[60:61]
	s_andn2_b64 s[60:61], s[74:75], exec
	s_and_b64 s[62:63], s[66:67], exec
	s_mov_b64 s[76:77], -1
	s_mov_b64 s[68:69], 0
	s_or_b64 s[66:67], s[60:61], s[62:63]
                                        ; implicit-def: $vgpr0_vgpr1
.LBB47_3414:                            ;   in Loop: Header=BB47_17 Depth=1
	s_andn2_saveexec_b64 s[70:71], vcc
	s_cbranch_execz .LBB47_3418
; %bb.3415:                             ;   in Loop: Header=BB47_17 Depth=1
	v_cmp_eq_u16_sdwa s[62:63], v7, v35 src0_sel:BYTE_0 src1_sel:DWORD
	s_mov_b64 vcc, s[66:67]
                                        ; implicit-def: $vgpr64
	s_and_saveexec_b64 s[60:61], s[62:63]
	s_cbranch_execz .LBB47_3417
; %bb.3416:                             ;   in Loop: Header=BB47_17 Depth=1
	flat_load_ubyte v0, v[0:1]
	s_waitcnt vmcnt(0) lgkmcnt(0)
	v_cmp_ne_u16_e32 vcc, 0, v0
	v_cndmask_b32_e64 v64, 0, 1.0, vcc
	s_or_b64 vcc, s[66:67], exec
.LBB47_3417:                            ;   in Loop: Header=BB47_17 Depth=1
	s_or_b64 exec, exec, s[60:61]
	s_andn2_b64 s[60:61], s[66:67], exec
	s_and_b64 vcc, vcc, exec
	s_andn2_b64 s[68:69], s[68:69], exec
	s_or_b64 s[76:77], s[76:77], exec
	s_or_b64 s[66:67], s[60:61], vcc
.LBB47_3418:                            ;   in Loop: Header=BB47_17 Depth=1
	s_or_b64 exec, exec, s[70:71]
	s_andn2_b64 s[60:61], s[74:75], exec
	s_and_b64 s[62:63], s[66:67], exec
	s_and_b64 s[68:69], s[68:69], exec
	s_and_b64 vcc, s[76:77], exec
	s_or_b64 s[74:75], s[60:61], s[62:63]
.LBB47_3419:                            ;   in Loop: Header=BB47_17 Depth=1
	s_or_b64 exec, exec, s[72:73]
	s_andn2_b64 s[60:61], s[86:87], exec
	s_and_b64 s[62:63], s[68:69], exec
	s_or_b64 s[86:87], s[60:61], s[62:63]
	s_andn2_b64 s[60:61], s[80:81], exec
	s_and_b64 vcc, vcc, exec
	s_or_b64 s[80:81], s[60:61], vcc
	s_andn2_b64 vcc, s[78:79], exec
	s_and_b64 s[60:61], s[74:75], exec
	s_or_b64 s[78:79], vcc, s[60:61]
.LBB47_3420:                            ;   in Loop: Header=BB47_17 Depth=1
	s_or_b64 exec, exec, s[92:93]
	s_and_b64 s[92:93], s[86:87], exec
	s_and_b64 s[76:77], s[80:81], exec
	s_and_b64 vcc, s[78:79], exec
                                        ; implicit-def: $vgpr0_vgpr1
	s_andn2_saveexec_b64 s[78:79], s[84:85]
	s_cbranch_execz .LBB47_3345
.LBB47_3421:                            ;   in Loop: Header=BB47_17 Depth=1
	v_cmp_gt_i16_sdwa s[60:61], v7, v36 src0_sel:BYTE_0 src1_sel:DWORD
                                        ; implicit-def: $vgpr64
	s_and_saveexec_b64 s[62:63], s[60:61]
	s_xor_b64 s[72:73], exec, s[62:63]
	s_cbranch_execz .LBB47_3443
; %bb.3422:                             ;   in Loop: Header=BB47_17 Depth=1
	v_cmp_gt_i16_sdwa s[60:61], v7, v37 src0_sel:BYTE_0 src1_sel:DWORD
                                        ; implicit-def: $vgpr64
	s_and_saveexec_b64 s[62:63], s[60:61]
	s_xor_b64 s[66:67], exec, s[62:63]
	s_cbranch_execz .LBB47_3432
; %bb.3423:                             ;   in Loop: Header=BB47_17 Depth=1
	;; [unrolled: 6-line block ×4, first 2 shown]
	flat_load_dwordx2 v[0:1], v[0:1]
	s_waitcnt vmcnt(0) lgkmcnt(0)
	v_cvt_f32_f64_e32 v64, v[0:1]
                                        ; implicit-def: $vgpr0_vgpr1
.LBB47_3426:                            ;   in Loop: Header=BB47_17 Depth=1
	s_andn2_saveexec_b64 s[60:61], s[60:61]
	s_cbranch_execz .LBB47_3428
; %bb.3427:                             ;   in Loop: Header=BB47_17 Depth=1
	flat_load_dword v64, v[0:1]
.LBB47_3428:                            ;   in Loop: Header=BB47_17 Depth=1
	s_or_b64 exec, exec, s[60:61]
                                        ; implicit-def: $vgpr0_vgpr1
.LBB47_3429:                            ;   in Loop: Header=BB47_17 Depth=1
	s_andn2_saveexec_b64 s[60:61], s[68:69]
	s_cbranch_execz .LBB47_3431
; %bb.3430:                             ;   in Loop: Header=BB47_17 Depth=1
	flat_load_dword v0, v[0:1]
	s_waitcnt vmcnt(0) lgkmcnt(0)
	v_cvt_f32_f16_e32 v64, v0
.LBB47_3431:                            ;   in Loop: Header=BB47_17 Depth=1
	s_or_b64 exec, exec, s[60:61]
                                        ; implicit-def: $vgpr0_vgpr1
.LBB47_3432:                            ;   in Loop: Header=BB47_17 Depth=1
	s_andn2_saveexec_b64 s[66:67], s[66:67]
	s_cbranch_execz .LBB47_3442
; %bb.3433:                             ;   in Loop: Header=BB47_17 Depth=1
	v_cmp_gt_i16_sdwa s[60:61], v7, v48 src0_sel:BYTE_0 src1_sel:DWORD
                                        ; implicit-def: $vgpr64
	s_and_saveexec_b64 s[62:63], s[60:61]
	s_xor_b64 s[68:69], exec, s[62:63]
	s_cbranch_execz .LBB47_3439
; %bb.3434:                             ;   in Loop: Header=BB47_17 Depth=1
	v_cmp_gt_i16_sdwa s[60:61], v7, v49 src0_sel:BYTE_0 src1_sel:DWORD
                                        ; implicit-def: $vgpr64
	s_and_saveexec_b64 s[62:63], s[60:61]
	s_xor_b64 s[60:61], exec, s[62:63]
	s_cbranch_execz .LBB47_3436
; %bb.3435:                             ;   in Loop: Header=BB47_17 Depth=1
	flat_load_dwordx2 v[0:1], v[0:1]
	s_waitcnt vmcnt(0) lgkmcnt(0)
	v_cvt_f32_f64_e32 v64, v[0:1]
                                        ; implicit-def: $vgpr0_vgpr1
.LBB47_3436:                            ;   in Loop: Header=BB47_17 Depth=1
	s_andn2_saveexec_b64 s[60:61], s[60:61]
	s_cbranch_execz .LBB47_3438
; %bb.3437:                             ;   in Loop: Header=BB47_17 Depth=1
	s_waitcnt vmcnt(0) lgkmcnt(0)
	flat_load_dword v64, v[0:1]
.LBB47_3438:                            ;   in Loop: Header=BB47_17 Depth=1
	s_or_b64 exec, exec, s[60:61]
                                        ; implicit-def: $vgpr0_vgpr1
.LBB47_3439:                            ;   in Loop: Header=BB47_17 Depth=1
	s_andn2_saveexec_b64 s[60:61], s[68:69]
	s_cbranch_execz .LBB47_3441
; %bb.3440:                             ;   in Loop: Header=BB47_17 Depth=1
	flat_load_ushort v0, v[0:1]
	s_waitcnt vmcnt(0) lgkmcnt(0)
	v_cvt_f32_f16_e32 v64, v0
.LBB47_3441:                            ;   in Loop: Header=BB47_17 Depth=1
	s_or_b64 exec, exec, s[60:61]
.LBB47_3442:                            ;   in Loop: Header=BB47_17 Depth=1
	s_or_b64 exec, exec, s[66:67]
                                        ; implicit-def: $vgpr0_vgpr1
.LBB47_3443:                            ;   in Loop: Header=BB47_17 Depth=1
	s_andn2_saveexec_b64 s[72:73], s[72:73]
	s_cbranch_execz .LBB47_3461
; %bb.3444:                             ;   in Loop: Header=BB47_17 Depth=1
	v_cmp_gt_i16_sdwa s[60:61], v7, v50 src0_sel:BYTE_0 src1_sel:DWORD
                                        ; implicit-def: $vgpr64
	s_and_saveexec_b64 s[62:63], s[60:61]
	s_xor_b64 s[74:75], exec, s[62:63]
	s_cbranch_execz .LBB47_3454
; %bb.3445:                             ;   in Loop: Header=BB47_17 Depth=1
	v_cmp_gt_i16_sdwa s[60:61], v7, v51 src0_sel:BYTE_0 src1_sel:DWORD
                                        ; implicit-def: $vgpr64
	s_and_saveexec_b64 s[62:63], s[60:61]
	s_xor_b64 s[66:67], exec, s[62:63]
	;; [unrolled: 6-line block ×3, first 2 shown]
	s_cbranch_execz .LBB47_3448
; %bb.3447:                             ;   in Loop: Header=BB47_17 Depth=1
	flat_load_dwordx2 v[0:1], v[0:1]
	s_waitcnt vmcnt(0) lgkmcnt(0)
	v_xor_b32_e32 v64, v0, v1
	v_ffbh_i32_e32 v54, v1
	v_ashrrev_i32_e32 v64, 31, v64
	v_add_u32_e32 v54, -1, v54
	v_add_u32_e32 v64, 32, v64
	v_min_u32_e32 v54, v54, v64
	v_lshlrev_b64 v[0:1], v54, v[0:1]
	v_min_u32_e32 v0, 1, v0
	v_or_b32_e32 v0, v1, v0
	v_cvt_f32_i32_e32 v0, v0
	v_sub_u32_e32 v1, 32, v54
	v_ldexp_f32 v64, v0, v1
                                        ; implicit-def: $vgpr0_vgpr1
.LBB47_3448:                            ;   in Loop: Header=BB47_17 Depth=1
	s_andn2_saveexec_b64 s[60:61], s[68:69]
	s_cbranch_execz .LBB47_3450
; %bb.3449:                             ;   in Loop: Header=BB47_17 Depth=1
	flat_load_dword v0, v[0:1]
	s_waitcnt vmcnt(0) lgkmcnt(0)
	v_cvt_f32_i32_e32 v64, v0
.LBB47_3450:                            ;   in Loop: Header=BB47_17 Depth=1
	s_or_b64 exec, exec, s[60:61]
                                        ; implicit-def: $vgpr0_vgpr1
.LBB47_3451:                            ;   in Loop: Header=BB47_17 Depth=1
	s_andn2_saveexec_b64 s[60:61], s[66:67]
	s_cbranch_execz .LBB47_3453
; %bb.3452:                             ;   in Loop: Header=BB47_17 Depth=1
	flat_load_sshort v0, v[0:1]
	s_waitcnt vmcnt(0) lgkmcnt(0)
	v_cvt_f32_i32_e32 v64, v0
.LBB47_3453:                            ;   in Loop: Header=BB47_17 Depth=1
	s_or_b64 exec, exec, s[60:61]
                                        ; implicit-def: $vgpr0_vgpr1
.LBB47_3454:                            ;   in Loop: Header=BB47_17 Depth=1
	s_andn2_saveexec_b64 s[66:67], s[74:75]
	s_cbranch_execz .LBB47_3460
; %bb.3455:                             ;   in Loop: Header=BB47_17 Depth=1
	v_cmp_gt_i16_sdwa s[60:61], v7, v14 src0_sel:BYTE_0 src1_sel:DWORD
                                        ; implicit-def: $vgpr64
	s_and_saveexec_b64 s[62:63], s[60:61]
	s_xor_b64 s[60:61], exec, s[62:63]
	s_cbranch_execz .LBB47_3457
; %bb.3456:                             ;   in Loop: Header=BB47_17 Depth=1
	flat_load_sbyte v0, v[0:1]
	s_waitcnt vmcnt(0) lgkmcnt(0)
	v_cvt_f32_i32_e32 v64, v0
                                        ; implicit-def: $vgpr0_vgpr1
.LBB47_3457:                            ;   in Loop: Header=BB47_17 Depth=1
	s_andn2_saveexec_b64 s[60:61], s[60:61]
	s_cbranch_execz .LBB47_3459
; %bb.3458:                             ;   in Loop: Header=BB47_17 Depth=1
	flat_load_ubyte v0, v[0:1]
	s_waitcnt vmcnt(0) lgkmcnt(0)
	v_cvt_f32_ubyte0_e32 v64, v0
.LBB47_3459:                            ;   in Loop: Header=BB47_17 Depth=1
	s_or_b64 exec, exec, s[60:61]
.LBB47_3460:                            ;   in Loop: Header=BB47_17 Depth=1
	s_or_b64 exec, exec, s[66:67]
.LBB47_3461:                            ;   in Loop: Header=BB47_17 Depth=1
	s_or_b64 exec, exec, s[72:73]
	s_andn2_b64 s[92:93], s[92:93], exec
	s_andn2_b64 s[76:77], s[76:77], exec
	s_or_b64 vcc, vcc, exec
	s_or_b64 exec, exec, s[78:79]
	s_mov_b64 s[70:71], 0
	s_and_saveexec_b64 s[84:85], vcc
	s_cbranch_execz .LBB47_3467
.LBB47_3462:                            ;   in Loop: Header=BB47_17 Depth=1
	v_mul_lo_u32 v0, v55, v10
	v_readlane_b32 s60, v44, 0
	v_add_co_u32_e32 v0, vcc, v4, v0
	v_add_u32_e32 v54, s60, v15
	v_addc_co_u32_e32 v1, vcc, 0, v5, vcc
	v_cmp_gt_i16_sdwa s[60:61], v8, v16 src0_sel:BYTE_0 src1_sel:DWORD
	s_mov_b64 s[78:79], 0
	s_waitcnt vmcnt(0) lgkmcnt(0)
	buffer_store_dword v64, v54, s[0:3], 0 offen offset:124
                                        ; implicit-def: $vcc
                                        ; implicit-def: $sgpr86_sgpr87
                                        ; implicit-def: $vgpr55
	s_and_saveexec_b64 s[62:63], s[60:61]
	s_xor_b64 s[62:63], exec, s[62:63]
	s_cbranch_execnz .LBB47_3486
; %bb.3463:                             ;   in Loop: Header=BB47_17 Depth=1
	s_andn2_saveexec_b64 s[80:81], s[62:63]
	s_cbranch_execnz .LBB47_3545
.LBB47_3464:                            ;   in Loop: Header=BB47_17 Depth=1
	s_or_b64 exec, exec, s[80:81]
	s_mov_b64 s[66:67], 0
	s_and_saveexec_b64 s[68:69], s[78:79]
	s_cbranch_execz .LBB47_3466
.LBB47_3465:                            ;   in Loop: Header=BB47_17 Depth=1
	s_mov_b64 s[66:67], exec
	v_add_u32_e32 v53, 0x200, v53
	s_andn2_b64 s[86:87], s[86:87], exec
	s_andn2_b64 vcc, vcc, exec
	s_waitcnt vmcnt(0) lgkmcnt(0)
	buffer_store_dword v55, v54, s[0:3], 0 offen offset:120
.LBB47_3466:                            ;   in Loop: Header=BB47_17 Depth=1
	s_or_b64 exec, exec, s[68:69]
	s_andn2_b64 s[60:61], s[92:93], exec
	s_and_b64 s[62:63], s[86:87], exec
	s_or_b64 s[92:93], s[60:61], s[62:63]
	s_andn2_b64 s[60:61], s[76:77], exec
	s_and_b64 vcc, vcc, exec
	s_or_b64 s[76:77], s[60:61], vcc
	s_and_b64 s[70:71], s[66:67], exec
.LBB47_3467:                            ;   in Loop: Header=BB47_17 Depth=1
	s_or_b64 exec, exec, s[84:85]
	s_and_b64 s[68:69], s[92:93], exec
	s_and_b64 s[66:67], s[76:77], exec
	s_orn2_b64 s[70:71], s[70:71], exec
.LBB47_3468:                            ;   in Loop: Header=BB47_17 Depth=1
	s_or_b64 exec, exec, s[90:91]
	s_and_saveexec_b64 vcc, s[70:71]
	s_cbranch_execz .LBB47_1
; %bb.3469:                             ;   in Loop: Header=BB47_17 Depth=1
	v_readlane_b32 s60, v44, 0
	s_addk_i32 s60, 0x80
	s_cmpk_eq_i32 s60, 0x100
	v_writelane_b32 v44, s60, 0
	s_cselect_b64 s[60:61], -1, 0
	s_orn2_b64 s[60:61], s[60:61], exec
	s_andn2_b64 s[68:69], s[68:69], exec
	s_andn2_b64 s[66:67], s[66:67], exec
	v_writelane_b32 v44, s60, 46
	v_writelane_b32 v44, s61, 47
	s_branch .LBB47_1
.LBB47_3470:                            ;   in Loop: Header=BB47_17 Depth=1
	s_movk_i32 vcc_lo, 0x80
	v_cmp_eq_u16_e32 vcc, vcc_lo, v0
	s_mov_b64 s[66:67], -1
                                        ; implicit-def: $sgpr70
	s_and_saveexec_b64 s[60:61], vcc
; %bb.3471:                             ;   in Loop: Header=BB47_17 Depth=1
	s_mov_b32 s70, 0x7f800001
	s_xor_b64 s[66:67], exec, -1
; %bb.3472:                             ;   in Loop: Header=BB47_17 Depth=1
	s_or_b64 exec, exec, s[60:61]
	s_and_b64 s[66:67], s[66:67], exec
	s_or_saveexec_b64 s[68:69], s[68:69]
	v_mov_b32_e32 v55, s70
	s_xor_b64 exec, exec, s[68:69]
	s_cbranch_execz .LBB47_2392
.LBB47_3473:                            ;   in Loop: Header=BB47_17 Depth=1
	v_cmp_ne_u16_e32 vcc, 0, v0
	s_andn2_b64 s[60:61], s[66:67], exec
	s_and_b64 vcc, vcc, exec
	v_mov_b32_e32 v55, 0
	s_or_b64 s[66:67], s[60:61], vcc
	s_or_b64 exec, exec, s[68:69]
	s_and_saveexec_b64 s[68:69], s[66:67]
	s_cbranch_execnz .LBB47_2393
	s_branch .LBB47_2394
.LBB47_3474:                            ;   in Loop: Header=BB47_17 Depth=1
	s_movk_i32 vcc_lo, 0x80
	v_cmp_eq_u16_e32 vcc, vcc_lo, v0
	s_mov_b64 s[66:67], -1
                                        ; implicit-def: $sgpr70
	s_and_saveexec_b64 s[60:61], vcc
; %bb.3475:                             ;   in Loop: Header=BB47_17 Depth=1
	s_mov_b32 s70, 0x7f800001
	s_xor_b64 s[66:67], exec, -1
; %bb.3476:                             ;   in Loop: Header=BB47_17 Depth=1
	s_or_b64 exec, exec, s[60:61]
	s_and_b64 s[66:67], s[66:67], exec
	s_or_saveexec_b64 s[68:69], s[68:69]
	v_mov_b32_e32 v64, s70
	s_xor_b64 exec, exec, s[68:69]
	s_cbranch_execz .LBB47_2492
.LBB47_3477:                            ;   in Loop: Header=BB47_17 Depth=1
	v_cmp_ne_u16_e32 vcc, 0, v0
	s_andn2_b64 s[60:61], s[66:67], exec
	s_and_b64 vcc, vcc, exec
	v_mov_b32_e32 v64, 0
	s_or_b64 s[66:67], s[60:61], vcc
	s_or_b64 exec, exec, s[68:69]
	s_and_saveexec_b64 s[68:69], s[66:67]
	s_cbranch_execnz .LBB47_2493
	s_branch .LBB47_2494
.LBB47_3478:                            ;   in Loop: Header=BB47_17 Depth=1
	s_movk_i32 vcc_lo, 0x80
	v_cmp_eq_u16_e32 vcc, vcc_lo, v0
	s_mov_b64 s[66:67], -1
                                        ; implicit-def: $sgpr70
	s_and_saveexec_b64 s[60:61], vcc
; %bb.3479:                             ;   in Loop: Header=BB47_17 Depth=1
	s_mov_b32 s70, 0x7f800001
	s_xor_b64 s[66:67], exec, -1
; %bb.3480:                             ;   in Loop: Header=BB47_17 Depth=1
	s_or_b64 exec, exec, s[60:61]
	s_and_b64 s[66:67], s[66:67], exec
	s_or_saveexec_b64 s[68:69], s[68:69]
	v_mov_b32_e32 v55, s70
	s_xor_b64 exec, exec, s[68:69]
	s_cbranch_execz .LBB47_2608
.LBB47_3481:                            ;   in Loop: Header=BB47_17 Depth=1
	v_cmp_ne_u16_e32 vcc, 0, v0
	s_andn2_b64 s[60:61], s[66:67], exec
	s_and_b64 vcc, vcc, exec
	v_mov_b32_e32 v55, 0
	s_or_b64 s[66:67], s[60:61], vcc
	s_or_b64 exec, exec, s[68:69]
	s_and_saveexec_b64 s[68:69], s[66:67]
	s_cbranch_execnz .LBB47_2609
	s_branch .LBB47_2610
.LBB47_3482:                            ;   in Loop: Header=BB47_17 Depth=1
	s_movk_i32 vcc_lo, 0x80
	v_cmp_eq_u16_e32 vcc, vcc_lo, v0
	s_mov_b64 s[66:67], -1
                                        ; implicit-def: $sgpr70
	s_and_saveexec_b64 s[60:61], vcc
; %bb.3483:                             ;   in Loop: Header=BB47_17 Depth=1
	s_mov_b32 s70, 0x7f800001
	s_xor_b64 s[66:67], exec, -1
; %bb.3484:                             ;   in Loop: Header=BB47_17 Depth=1
	s_or_b64 exec, exec, s[60:61]
	s_and_b64 s[66:67], s[66:67], exec
	s_or_saveexec_b64 s[68:69], s[68:69]
	v_mov_b32_e32 v64, s70
	s_xor_b64 exec, exec, s[68:69]
	s_cbranch_execz .LBB47_2708
.LBB47_3485:                            ;   in Loop: Header=BB47_17 Depth=1
	v_cmp_ne_u16_e32 vcc, 0, v0
	s_andn2_b64 s[60:61], s[66:67], exec
	s_and_b64 vcc, vcc, exec
	v_mov_b32_e32 v64, 0
	s_or_b64 s[66:67], s[60:61], vcc
	s_or_b64 exec, exec, s[68:69]
	s_and_saveexec_b64 s[68:69], s[66:67]
	s_cbranch_execnz .LBB47_2709
	s_branch .LBB47_2710
.LBB47_3486:                            ;   in Loop: Header=BB47_17 Depth=1
	v_cmp_gt_i16_sdwa vcc, v8, v17 src0_sel:BYTE_0 src1_sel:DWORD
                                        ; implicit-def: $sgpr66_sgpr67
                                        ; implicit-def: $sgpr86_sgpr87
                                        ; implicit-def: $vgpr55
	s_and_saveexec_b64 s[60:61], vcc
	s_xor_b64 s[60:61], exec, s[60:61]
	v_writelane_b32 v44, s62, 48
	v_writelane_b32 v44, s63, 49
	s_cbranch_execz .LBB47_3518
; %bb.3487:                             ;   in Loop: Header=BB47_17 Depth=1
	v_writelane_b32 v44, s60, 50
	v_cmp_gt_i16_sdwa vcc, v8, v18 src0_sel:BYTE_0 src1_sel:DWORD
	v_writelane_b32 v44, s61, 51
                                        ; implicit-def: $sgpr72_sgpr73
                                        ; implicit-def: $sgpr86_sgpr87
                                        ; implicit-def: $vgpr55
	s_and_saveexec_b64 s[60:61], vcc
	s_xor_b64 s[80:81], exec, s[60:61]
	s_cbranch_execz .LBB47_3503
; %bb.3488:                             ;   in Loop: Header=BB47_17 Depth=1
	v_cmp_gt_i16_sdwa s[60:61], v8, v19 src0_sel:BYTE_0 src1_sel:DWORD
	s_mov_b64 s[74:75], 0
                                        ; implicit-def: $vcc
                                        ; implicit-def: $sgpr86_sgpr87
                                        ; implicit-def: $vgpr55
	s_and_saveexec_b64 s[62:63], s[60:61]
	s_xor_b64 s[72:73], exec, s[62:63]
	s_cbranch_execz .LBB47_3498
; %bb.3489:                             ;   in Loop: Header=BB47_17 Depth=1
	v_cmp_gt_i16_sdwa vcc, v8, v20 src0_sel:BYTE_0 src1_sel:DWORD
                                        ; implicit-def: $sgpr86_sgpr87
                                        ; implicit-def: $sgpr74_sgpr75
                                        ; implicit-def: $vgpr55
	s_and_saveexec_b64 s[60:61], vcc
	s_xor_b64 vcc, exec, s[60:61]
	s_cbranch_execz .LBB47_3493
; %bb.3490:                             ;   in Loop: Header=BB47_17 Depth=1
	v_cmp_eq_u16_sdwa s[62:63], v8, v21 src0_sel:BYTE_0 src1_sel:DWORD
	s_mov_b64 s[74:75], 0
	s_mov_b64 s[66:67], 0
                                        ; implicit-def: $vgpr55
	s_and_saveexec_b64 s[60:61], s[62:63]
	s_cbranch_execz .LBB47_3492
; %bb.3491:                             ;   in Loop: Header=BB47_17 Depth=1
	flat_load_dword v0, v[0:1]
	s_mov_b64 s[66:67], exec
	s_waitcnt vmcnt(0) lgkmcnt(0)
	v_lshlrev_b32_e32 v55, 16, v0
.LBB47_3492:                            ;   in Loop: Header=BB47_17 Depth=1
	s_or_b64 exec, exec, s[60:61]
	s_mov_b64 s[86:87], -1
	s_and_b64 s[78:79], s[66:67], exec
                                        ; implicit-def: $vgpr0_vgpr1
.LBB47_3493:                            ;   in Loop: Header=BB47_17 Depth=1
	s_andn2_saveexec_b64 s[66:67], vcc
	s_cbranch_execz .LBB47_3497
; %bb.3494:                             ;   in Loop: Header=BB47_17 Depth=1
	v_cmp_eq_u16_sdwa s[60:61], v8, v22 src0_sel:BYTE_0 src1_sel:DWORD
	s_mov_b64 vcc, s[78:79]
                                        ; implicit-def: $vgpr55
	s_and_saveexec_b64 s[68:69], s[60:61]
	s_cbranch_execz .LBB47_3496
; %bb.3495:                             ;   in Loop: Header=BB47_17 Depth=1
	flat_load_ubyte v0, v[0:1]
	s_movk_i32 vcc_lo, 0xff
	s_waitcnt vmcnt(0) lgkmcnt(0)
	v_lshlrev_b32_e32 v1, 23, v0
	v_cmp_ne_u32_e32 vcc, vcc_lo, v0
	v_cndmask_b32_e32 v1, v23, v1, vcc
	v_cmp_ne_u32_e32 vcc, 0, v0
	v_cndmask_b32_e32 v55, v24, v1, vcc
	s_or_b64 vcc, s[78:79], exec
.LBB47_3496:                            ;   in Loop: Header=BB47_17 Depth=1
	s_or_b64 exec, exec, s[68:69]
	s_andn2_b64 s[60:61], s[78:79], exec
	s_and_b64 vcc, vcc, exec
	s_or_b64 s[86:87], s[86:87], exec
	s_andn2_b64 s[74:75], s[74:75], exec
	s_or_b64 s[78:79], s[60:61], vcc
.LBB47_3497:                            ;   in Loop: Header=BB47_17 Depth=1
	s_or_b64 exec, exec, s[66:67]
	s_and_b64 s[86:87], s[86:87], exec
	s_and_b64 vcc, s[74:75], exec
	s_and_b64 s[74:75], s[78:79], exec
                                        ; implicit-def: $vgpr0_vgpr1
.LBB47_3498:                            ;   in Loop: Header=BB47_17 Depth=1
	s_andn2_saveexec_b64 s[66:67], s[72:73]
	s_cbranch_execz .LBB47_3502
; %bb.3499:                             ;   in Loop: Header=BB47_17 Depth=1
	v_cmp_eq_u16_sdwa s[60:61], v8, v25 src0_sel:BYTE_0 src1_sel:DWORD
	s_mov_b64 s[70:71], s[74:75]
                                        ; implicit-def: $vgpr55
	s_and_saveexec_b64 s[68:69], s[60:61]
	s_cbranch_execz .LBB47_3501
; %bb.3500:                             ;   in Loop: Header=BB47_17 Depth=1
	flat_load_dwordx2 v[0:1], v[0:1]
	s_or_b64 s[70:71], s[74:75], exec
	s_waitcnt vmcnt(0) lgkmcnt(0)
	v_ffbh_u32_e32 v55, v1
	v_min_u32_e32 v55, 32, v55
	s_waitcnt vmcnt(0) expcnt(0) lgkmcnt(0)
	v_swap_b32 v2, v55
	v_lshlrev_b64 v[0:1], v2, v[0:1]
	v_swap_b32 v55, v2
	v_min_u32_e32 v0, 1, v0
	v_or_b32_e32 v0, v1, v0
	v_cvt_f32_u32_e32 v0, v0
	v_sub_u32_e32 v1, 32, v55
	v_ldexp_f32 v55, v0, v1
.LBB47_3501:                            ;   in Loop: Header=BB47_17 Depth=1
	s_or_b64 exec, exec, s[68:69]
	s_andn2_b64 s[60:61], s[74:75], exec
	s_and_b64 s[62:63], s[70:71], exec
	s_or_b64 s[86:87], s[86:87], exec
	s_andn2_b64 vcc, vcc, exec
	s_or_b64 s[74:75], s[60:61], s[62:63]
.LBB47_3502:                            ;   in Loop: Header=BB47_17 Depth=1
	s_or_b64 exec, exec, s[66:67]
	s_and_b64 s[86:87], s[86:87], exec
	s_and_b64 s[72:73], vcc, exec
	s_and_b64 s[78:79], s[74:75], exec
                                        ; implicit-def: $vgpr0_vgpr1
.LBB47_3503:                            ;   in Loop: Header=BB47_17 Depth=1
	s_andn2_saveexec_b64 s[80:81], s[80:81]
	s_cbranch_execz .LBB47_3517
; %bb.3504:                             ;   in Loop: Header=BB47_17 Depth=1
	v_cmp_gt_i16_sdwa vcc, v8, v26 src0_sel:BYTE_0 src1_sel:DWORD
                                        ; implicit-def: $vgpr55
	s_and_saveexec_b64 s[60:61], vcc
	s_xor_b64 vcc, exec, s[60:61]
	s_cbranch_execz .LBB47_3510
; %bb.3505:                             ;   in Loop: Header=BB47_17 Depth=1
	v_cmp_gt_i16_sdwa s[60:61], v8, v27 src0_sel:BYTE_0 src1_sel:DWORD
                                        ; implicit-def: $vgpr55
	s_and_saveexec_b64 s[62:63], s[60:61]
	s_xor_b64 s[60:61], exec, s[62:63]
	s_cbranch_execz .LBB47_3507
; %bb.3506:                             ;   in Loop: Header=BB47_17 Depth=1
	flat_load_dword v0, v[0:1]
	s_waitcnt vmcnt(0) lgkmcnt(0)
	v_cvt_f32_u32_e32 v55, v0
                                        ; implicit-def: $vgpr0_vgpr1
.LBB47_3507:                            ;   in Loop: Header=BB47_17 Depth=1
	s_andn2_saveexec_b64 s[60:61], s[60:61]
	s_cbranch_execz .LBB47_3509
; %bb.3508:                             ;   in Loop: Header=BB47_17 Depth=1
	flat_load_ushort v0, v[0:1]
	s_waitcnt vmcnt(0) lgkmcnt(0)
	v_cvt_f32_u32_e32 v55, v0
.LBB47_3509:                            ;   in Loop: Header=BB47_17 Depth=1
	s_or_b64 exec, exec, s[60:61]
                                        ; implicit-def: $vgpr0_vgpr1
.LBB47_3510:                            ;   in Loop: Header=BB47_17 Depth=1
	s_andn2_saveexec_b64 s[74:75], vcc
	s_cbranch_execz .LBB47_3516
; %bb.3511:                             ;   in Loop: Header=BB47_17 Depth=1
	flat_load_ubyte v0, v[0:1]
	s_movk_i32 vcc_lo, 0x7f
	s_mov_b64 s[66:67], 0
                                        ; implicit-def: $sgpr70
	s_waitcnt vmcnt(0) lgkmcnt(0)
	v_cmp_lt_i16_e32 vcc, vcc_lo, v0
	s_and_saveexec_b64 s[60:61], vcc
	s_xor_b64 s[68:69], exec, s[60:61]
	s_cbranch_execnz .LBB47_3642
; %bb.3512:                             ;   in Loop: Header=BB47_17 Depth=1
	s_or_saveexec_b64 s[68:69], s[68:69]
	v_mov_b32_e32 v55, s70
	s_xor_b64 exec, exec, s[68:69]
	s_cbranch_execnz .LBB47_3645
.LBB47_3513:                            ;   in Loop: Header=BB47_17 Depth=1
	s_or_b64 exec, exec, s[68:69]
	s_and_saveexec_b64 s[68:69], s[66:67]
	s_cbranch_execz .LBB47_3515
.LBB47_3514:                            ;   in Loop: Header=BB47_17 Depth=1
	v_lshlrev_b32_e32 v1, 24, v0
	v_and_b32_e32 v0, 0xffff, v0
	v_and_b32_e32 v55, 7, v0
	v_ffbh_u32_e32 v65, v55
	v_min_u32_e32 v65, 32, v65
	v_subrev_u32_e32 v66, 28, v65
	v_bfe_u32 v64, v0, 3, 4
	v_lshlrev_b32_e32 v0, v66, v0
	v_sub_u32_e32 v65, 29, v65
	v_and_b32_e32 v0, 7, v0
	v_cmp_eq_u32_e32 vcc, 0, v64
	v_cndmask_b32_e32 v64, v64, v65, vcc
	v_cndmask_b32_e32 v0, v55, v0, vcc
	v_lshlrev_b32_e32 v0, 20, v0
	v_and_b32_e32 v1, 0x80000000, v1
	v_lshl_add_u32 v55, v64, 23, v28
	v_or3_b32 v55, v1, v55, v0
.LBB47_3515:                            ;   in Loop: Header=BB47_17 Depth=1
	s_or_b64 exec, exec, s[68:69]
.LBB47_3516:                            ;   in Loop: Header=BB47_17 Depth=1
	s_or_b64 exec, exec, s[74:75]
	s_andn2_b64 s[86:87], s[86:87], exec
	s_andn2_b64 s[72:73], s[72:73], exec
	s_or_b64 s[78:79], s[78:79], exec
.LBB47_3517:                            ;   in Loop: Header=BB47_17 Depth=1
	s_or_b64 exec, exec, s[80:81]
	v_readlane_b32 s62, v44, 48
	v_readlane_b32 s60, v44, 50
	s_and_b64 s[86:87], s[86:87], exec
	s_and_b64 s[66:67], s[72:73], exec
	;; [unrolled: 1-line block ×3, first 2 shown]
	v_readlane_b32 s63, v44, 49
	v_readlane_b32 s61, v44, 51
                                        ; implicit-def: $vgpr0_vgpr1
.LBB47_3518:                            ;   in Loop: Header=BB47_17 Depth=1
	s_andn2_saveexec_b64 s[80:81], s[60:61]
	s_cbranch_execz .LBB47_3544
; %bb.3519:                             ;   in Loop: Header=BB47_17 Depth=1
	v_writelane_b32 v44, s66, 52
	v_writelane_b32 v44, s67, 53
	v_writelane_b32 v44, s76, 54
	v_cmp_gt_i16_sdwa vcc, v8, v29 src0_sel:BYTE_0 src1_sel:DWORD
	s_mov_b64 s[74:75], s[78:79]
	v_writelane_b32 v44, s77, 55
                                        ; implicit-def: $vgpr55
	s_and_saveexec_b64 s[60:61], vcc
	s_xor_b64 s[72:73], exec, s[60:61]
	s_cbranch_execz .LBB47_3533
; %bb.3520:                             ;   in Loop: Header=BB47_17 Depth=1
	v_cmp_gt_i16_sdwa vcc, v8, v30 src0_sel:BYTE_0 src1_sel:DWORD
                                        ; implicit-def: $vgpr55
	s_and_saveexec_b64 s[60:61], vcc
	s_xor_b64 s[62:63], exec, s[60:61]
	s_cbranch_execz .LBB47_3530
; %bb.3521:                             ;   in Loop: Header=BB47_17 Depth=1
	v_cmp_gt_i16_sdwa vcc, v8, v31 src0_sel:BYTE_0 src1_sel:DWORD
                                        ; implicit-def: $vgpr55
	s_and_saveexec_b64 s[60:61], vcc
	s_xor_b64 s[74:75], exec, s[60:61]
	s_cbranch_execz .LBB47_3527
; %bb.3522:                             ;   in Loop: Header=BB47_17 Depth=1
	flat_load_ubyte v0, v[0:1]
	s_movk_i32 vcc_lo, 0x7f
	s_mov_b64 s[66:67], 0
                                        ; implicit-def: $sgpr70
	s_waitcnt vmcnt(0) lgkmcnt(0)
	v_cmp_lt_i16_e32 vcc, vcc_lo, v0
	s_and_saveexec_b64 s[60:61], vcc
	s_xor_b64 s[68:69], exec, s[60:61]
	s_cbranch_execnz .LBB47_3646
; %bb.3523:                             ;   in Loop: Header=BB47_17 Depth=1
	s_or_saveexec_b64 s[68:69], s[68:69]
	v_mov_b32_e32 v55, s70
	s_xor_b64 exec, exec, s[68:69]
	s_cbranch_execnz .LBB47_3649
.LBB47_3524:                            ;   in Loop: Header=BB47_17 Depth=1
	s_or_b64 exec, exec, s[68:69]
	s_and_saveexec_b64 s[68:69], s[66:67]
	s_cbranch_execz .LBB47_3526
.LBB47_3525:                            ;   in Loop: Header=BB47_17 Depth=1
	v_lshlrev_b32_e32 v1, 24, v0
	v_and_b32_e32 v0, 0xffff, v0
	v_and_b32_e32 v55, 3, v0
	v_ffbh_u32_e32 v65, v55
	v_min_u32_e32 v65, 32, v65
	v_subrev_u32_e32 v66, 29, v65
	v_bfe_u32 v64, v0, 2, 5
	v_lshlrev_b32_e32 v0, v66, v0
	v_sub_u32_e32 v65, 30, v65
	v_and_b32_e32 v0, 3, v0
	v_cmp_eq_u32_e32 vcc, 0, v64
	v_cndmask_b32_e32 v64, v64, v65, vcc
	v_cndmask_b32_e32 v0, v55, v0, vcc
	v_lshlrev_b32_e32 v0, 21, v0
	v_and_b32_e32 v1, 0x80000000, v1
	v_lshl_add_u32 v55, v64, 23, v32
	v_or3_b32 v55, v1, v55, v0
.LBB47_3526:                            ;   in Loop: Header=BB47_17 Depth=1
	s_or_b64 exec, exec, s[68:69]
                                        ; implicit-def: $vgpr0_vgpr1
.LBB47_3527:                            ;   in Loop: Header=BB47_17 Depth=1
	s_andn2_saveexec_b64 s[66:67], s[74:75]
	s_cbranch_execz .LBB47_3529
; %bb.3528:                             ;   in Loop: Header=BB47_17 Depth=1
	flat_load_ubyte v0, v[0:1]
	s_mov_b32 vcc_lo, 0x7f800000
	s_waitcnt vmcnt(0) lgkmcnt(0)
	v_lshlrev_b32_e32 v0, 24, v0
	v_and_b32_e32 v1, 0x7f000000, v0
	v_ffbh_u32_e32 v55, v1
	v_min_u32_e32 v55, 32, v55
	v_sub_u32_e64 v55, v55, 4 clamp
	v_lshlrev_b32_e32 v65, v55, v1
	v_lshlrev_b32_e32 v55, 23, v55
	v_lshrrev_b32_e32 v65, 4, v65
	v_add_u32_e32 v64, 0x1000000, v1
	v_sub_u32_e32 v55, v65, v55
	v_ashrrev_i32_e32 v64, 8, v64
	v_add_u32_e32 v55, 0x3c000000, v55
	v_and_or_b32 v55, v64, vcc_lo, v55
	v_cmp_ne_u32_e32 vcc, 0, v1
	v_cndmask_b32_e32 v1, 0, v55, vcc
	s_brev_b32 vcc_lo, 1
	v_and_or_b32 v55, v0, vcc_lo, v1
.LBB47_3529:                            ;   in Loop: Header=BB47_17 Depth=1
	s_or_b64 exec, exec, s[66:67]
                                        ; implicit-def: $vgpr0_vgpr1
.LBB47_3530:                            ;   in Loop: Header=BB47_17 Depth=1
	s_andn2_saveexec_b64 s[66:67], s[62:63]
	s_cbranch_execz .LBB47_3532
; %bb.3531:                             ;   in Loop: Header=BB47_17 Depth=1
	flat_load_ubyte v0, v[0:1]
	s_movk_i32 vcc_lo, 0x7f00
	s_waitcnt vmcnt(0) lgkmcnt(0)
	v_lshlrev_b16_e32 v1, 8, v0
	v_lshlrev_b32_e32 v0, 25, v0
	v_lshrrev_b32_e32 v55, 4, v0
	v_and_or_b32 v64, v1, vcc_lo, 0.5
	v_or_b32_e32 v55, 0x70000000, v55
	s_brev_b32 vcc_lo, 16
	v_add_f32_e32 v64, -0.5, v64
	v_mul_f32_e32 v55, 0x7800000, v55
	v_cmp_gt_u32_e32 vcc, vcc_lo, v0
	v_cndmask_b32_e32 v0, v55, v64, vcc
	v_bfe_i32 v1, v1, 0, 16
	s_brev_b32 vcc_lo, 1
	v_and_or_b32 v55, v1, vcc_lo, v0
.LBB47_3532:                            ;   in Loop: Header=BB47_17 Depth=1
	s_or_b64 exec, exec, s[66:67]
	s_or_b64 s[74:75], s[78:79], exec
                                        ; implicit-def: $vgpr0_vgpr1
.LBB47_3533:                            ;   in Loop: Header=BB47_17 Depth=1
	s_or_saveexec_b64 s[72:73], s[72:73]
                                        ; implicit-def: $vcc
                                        ; implicit-def: $sgpr68_sgpr69
	s_xor_b64 exec, exec, s[72:73]
	s_cbranch_execz .LBB47_3543
; %bb.3534:                             ;   in Loop: Header=BB47_17 Depth=1
	v_cmp_gt_i16_sdwa vcc, v8, v33 src0_sel:BYTE_0 src1_sel:DWORD
	s_mov_b64 s[66:67], s[74:75]
                                        ; implicit-def: $sgpr68_sgpr69
                                        ; implicit-def: $sgpr76_sgpr77
                                        ; implicit-def: $vgpr55
	s_and_saveexec_b64 s[60:61], vcc
	s_xor_b64 vcc, exec, s[60:61]
	s_cbranch_execz .LBB47_3538
; %bb.3535:                             ;   in Loop: Header=BB47_17 Depth=1
	v_cmp_eq_u16_sdwa s[62:63], v8, v34 src0_sel:BYTE_0 src1_sel:DWORD
	s_mov_b64 s[66:67], s[74:75]
                                        ; implicit-def: $vgpr55
	s_and_saveexec_b64 s[60:61], s[62:63]
	s_cbranch_execz .LBB47_3537
; %bb.3536:                             ;   in Loop: Header=BB47_17 Depth=1
	flat_load_ushort v0, v[0:1]
	s_or_b64 s[66:67], s[74:75], exec
	s_waitcnt vmcnt(0) lgkmcnt(0)
	v_lshlrev_b32_e32 v55, 16, v0
.LBB47_3537:                            ;   in Loop: Header=BB47_17 Depth=1
	s_or_b64 exec, exec, s[60:61]
	s_andn2_b64 s[60:61], s[74:75], exec
	s_and_b64 s[62:63], s[66:67], exec
	s_mov_b64 s[76:77], 0
	s_mov_b64 s[68:69], -1
	s_or_b64 s[66:67], s[60:61], s[62:63]
                                        ; implicit-def: $vgpr0_vgpr1
.LBB47_3538:                            ;   in Loop: Header=BB47_17 Depth=1
	s_andn2_saveexec_b64 s[70:71], vcc
	s_cbranch_execz .LBB47_3542
; %bb.3539:                             ;   in Loop: Header=BB47_17 Depth=1
	v_cmp_eq_u16_sdwa s[62:63], v8, v35 src0_sel:BYTE_0 src1_sel:DWORD
	s_mov_b64 vcc, s[66:67]
                                        ; implicit-def: $vgpr55
	s_and_saveexec_b64 s[60:61], s[62:63]
	s_cbranch_execz .LBB47_3541
; %bb.3540:                             ;   in Loop: Header=BB47_17 Depth=1
	flat_load_ubyte v0, v[0:1]
	s_waitcnt vmcnt(0) lgkmcnt(0)
	v_cmp_ne_u16_e32 vcc, 0, v0
	v_cndmask_b32_e64 v55, 0, 1.0, vcc
	s_or_b64 vcc, s[66:67], exec
.LBB47_3541:                            ;   in Loop: Header=BB47_17 Depth=1
	s_or_b64 exec, exec, s[60:61]
	s_andn2_b64 s[60:61], s[66:67], exec
	s_and_b64 vcc, vcc, exec
	s_or_b64 s[68:69], s[68:69], exec
	s_andn2_b64 s[76:77], s[76:77], exec
	s_or_b64 s[66:67], s[60:61], vcc
.LBB47_3542:                            ;   in Loop: Header=BB47_17 Depth=1
	s_or_b64 exec, exec, s[70:71]
	s_andn2_b64 s[60:61], s[74:75], exec
	s_and_b64 s[62:63], s[66:67], exec
	s_and_b64 s[68:69], s[68:69], exec
	s_and_b64 vcc, s[76:77], exec
	s_or_b64 s[74:75], s[60:61], s[62:63]
.LBB47_3543:                            ;   in Loop: Header=BB47_17 Depth=1
	s_or_b64 exec, exec, s[72:73]
	s_andn2_b64 s[60:61], s[86:87], exec
	s_and_b64 s[62:63], s[68:69], exec
	s_or_b64 s[86:87], s[60:61], s[62:63]
	v_readlane_b32 s60, v44, 52
	v_readlane_b32 s61, v44, 53
	s_andn2_b64 s[60:61], s[60:61], exec
	s_and_b64 vcc, vcc, exec
	s_or_b64 s[66:67], s[60:61], vcc
	s_andn2_b64 vcc, s[78:79], exec
	s_and_b64 s[60:61], s[74:75], exec
	v_readlane_b32 s76, v44, 54
	v_readlane_b32 s62, v44, 48
	s_or_b64 s[78:79], vcc, s[60:61]
	v_readlane_b32 s77, v44, 55
	v_readlane_b32 s63, v44, 49
.LBB47_3544:                            ;   in Loop: Header=BB47_17 Depth=1
	s_or_b64 exec, exec, s[80:81]
	s_and_b64 s[86:87], s[86:87], exec
	s_and_b64 vcc, s[66:67], exec
	s_and_b64 s[78:79], s[78:79], exec
                                        ; implicit-def: $vgpr0_vgpr1
	s_andn2_saveexec_b64 s[80:81], s[62:63]
	s_cbranch_execz .LBB47_3464
.LBB47_3545:                            ;   in Loop: Header=BB47_17 Depth=1
	v_cmp_gt_i16_sdwa s[60:61], v8, v36 src0_sel:BYTE_0 src1_sel:DWORD
                                        ; implicit-def: $vgpr55
	s_and_saveexec_b64 s[62:63], s[60:61]
	s_xor_b64 s[72:73], exec, s[62:63]
	s_cbranch_execz .LBB47_3567
; %bb.3546:                             ;   in Loop: Header=BB47_17 Depth=1
	v_cmp_gt_i16_sdwa s[60:61], v8, v37 src0_sel:BYTE_0 src1_sel:DWORD
                                        ; implicit-def: $vgpr55
	s_and_saveexec_b64 s[62:63], s[60:61]
	s_xor_b64 s[66:67], exec, s[62:63]
	s_cbranch_execz .LBB47_3556
; %bb.3547:                             ;   in Loop: Header=BB47_17 Depth=1
	;; [unrolled: 6-line block ×4, first 2 shown]
	flat_load_dwordx2 v[0:1], v[0:1]
	s_waitcnt vmcnt(0) lgkmcnt(0)
	v_cvt_f32_f64_e32 v55, v[0:1]
                                        ; implicit-def: $vgpr0_vgpr1
.LBB47_3550:                            ;   in Loop: Header=BB47_17 Depth=1
	s_andn2_saveexec_b64 s[60:61], s[60:61]
	s_cbranch_execz .LBB47_3552
; %bb.3551:                             ;   in Loop: Header=BB47_17 Depth=1
	flat_load_dword v55, v[0:1]
.LBB47_3552:                            ;   in Loop: Header=BB47_17 Depth=1
	s_or_b64 exec, exec, s[60:61]
                                        ; implicit-def: $vgpr0_vgpr1
.LBB47_3553:                            ;   in Loop: Header=BB47_17 Depth=1
	s_andn2_saveexec_b64 s[60:61], s[68:69]
	s_cbranch_execz .LBB47_3555
; %bb.3554:                             ;   in Loop: Header=BB47_17 Depth=1
	flat_load_dword v0, v[0:1]
	s_waitcnt vmcnt(0) lgkmcnt(0)
	v_cvt_f32_f16_e32 v55, v0
.LBB47_3555:                            ;   in Loop: Header=BB47_17 Depth=1
	s_or_b64 exec, exec, s[60:61]
                                        ; implicit-def: $vgpr0_vgpr1
.LBB47_3556:                            ;   in Loop: Header=BB47_17 Depth=1
	s_andn2_saveexec_b64 s[66:67], s[66:67]
	s_cbranch_execz .LBB47_3566
; %bb.3557:                             ;   in Loop: Header=BB47_17 Depth=1
	v_cmp_gt_i16_sdwa s[60:61], v8, v48 src0_sel:BYTE_0 src1_sel:DWORD
                                        ; implicit-def: $vgpr55
	s_and_saveexec_b64 s[62:63], s[60:61]
	s_xor_b64 s[68:69], exec, s[62:63]
	s_cbranch_execz .LBB47_3563
; %bb.3558:                             ;   in Loop: Header=BB47_17 Depth=1
	v_cmp_gt_i16_sdwa s[60:61], v8, v49 src0_sel:BYTE_0 src1_sel:DWORD
                                        ; implicit-def: $vgpr55
	s_and_saveexec_b64 s[62:63], s[60:61]
	s_xor_b64 s[60:61], exec, s[62:63]
	s_cbranch_execz .LBB47_3560
; %bb.3559:                             ;   in Loop: Header=BB47_17 Depth=1
	flat_load_dwordx2 v[0:1], v[0:1]
	s_waitcnt vmcnt(0) lgkmcnt(0)
	v_cvt_f32_f64_e32 v55, v[0:1]
                                        ; implicit-def: $vgpr0_vgpr1
.LBB47_3560:                            ;   in Loop: Header=BB47_17 Depth=1
	s_andn2_saveexec_b64 s[60:61], s[60:61]
	s_cbranch_execz .LBB47_3562
; %bb.3561:                             ;   in Loop: Header=BB47_17 Depth=1
	s_waitcnt vmcnt(0) lgkmcnt(0)
	flat_load_dword v55, v[0:1]
.LBB47_3562:                            ;   in Loop: Header=BB47_17 Depth=1
	s_or_b64 exec, exec, s[60:61]
                                        ; implicit-def: $vgpr0_vgpr1
.LBB47_3563:                            ;   in Loop: Header=BB47_17 Depth=1
	s_andn2_saveexec_b64 s[60:61], s[68:69]
	s_cbranch_execz .LBB47_3565
; %bb.3564:                             ;   in Loop: Header=BB47_17 Depth=1
	flat_load_ushort v0, v[0:1]
	s_waitcnt vmcnt(0) lgkmcnt(0)
	v_cvt_f32_f16_e32 v55, v0
.LBB47_3565:                            ;   in Loop: Header=BB47_17 Depth=1
	s_or_b64 exec, exec, s[60:61]
.LBB47_3566:                            ;   in Loop: Header=BB47_17 Depth=1
	s_or_b64 exec, exec, s[66:67]
                                        ; implicit-def: $vgpr0_vgpr1
.LBB47_3567:                            ;   in Loop: Header=BB47_17 Depth=1
	s_andn2_saveexec_b64 s[72:73], s[72:73]
	s_cbranch_execz .LBB47_3585
; %bb.3568:                             ;   in Loop: Header=BB47_17 Depth=1
	v_cmp_gt_i16_sdwa s[60:61], v8, v50 src0_sel:BYTE_0 src1_sel:DWORD
                                        ; implicit-def: $vgpr55
	s_and_saveexec_b64 s[62:63], s[60:61]
	s_xor_b64 s[74:75], exec, s[62:63]
	s_cbranch_execz .LBB47_3578
; %bb.3569:                             ;   in Loop: Header=BB47_17 Depth=1
	v_cmp_gt_i16_sdwa s[60:61], v8, v51 src0_sel:BYTE_0 src1_sel:DWORD
                                        ; implicit-def: $vgpr55
	s_and_saveexec_b64 s[62:63], s[60:61]
	s_xor_b64 s[66:67], exec, s[62:63]
	;; [unrolled: 6-line block ×3, first 2 shown]
	s_cbranch_execz .LBB47_3572
; %bb.3571:                             ;   in Loop: Header=BB47_17 Depth=1
	flat_load_dwordx2 v[0:1], v[0:1]
	s_waitcnt vmcnt(0) lgkmcnt(0)
	v_xor_b32_e32 v64, v0, v1
	v_ffbh_i32_e32 v55, v1
	v_ashrrev_i32_e32 v64, 31, v64
	v_add_u32_e32 v55, -1, v55
	v_add_u32_e32 v64, 32, v64
	v_min_u32_e32 v55, v55, v64
	s_waitcnt vmcnt(0) expcnt(0) lgkmcnt(0)
	v_swap_b32 v2, v55
	v_lshlrev_b64 v[0:1], v2, v[0:1]
	v_swap_b32 v55, v2
	v_min_u32_e32 v0, 1, v0
	v_or_b32_e32 v0, v1, v0
	v_cvt_f32_i32_e32 v0, v0
	v_sub_u32_e32 v1, 32, v55
	v_ldexp_f32 v55, v0, v1
                                        ; implicit-def: $vgpr0_vgpr1
.LBB47_3572:                            ;   in Loop: Header=BB47_17 Depth=1
	s_andn2_saveexec_b64 s[60:61], s[68:69]
	s_cbranch_execz .LBB47_3574
; %bb.3573:                             ;   in Loop: Header=BB47_17 Depth=1
	flat_load_dword v0, v[0:1]
	s_waitcnt vmcnt(0) lgkmcnt(0)
	v_cvt_f32_i32_e32 v55, v0
.LBB47_3574:                            ;   in Loop: Header=BB47_17 Depth=1
	s_or_b64 exec, exec, s[60:61]
                                        ; implicit-def: $vgpr0_vgpr1
.LBB47_3575:                            ;   in Loop: Header=BB47_17 Depth=1
	s_andn2_saveexec_b64 s[60:61], s[66:67]
	s_cbranch_execz .LBB47_3577
; %bb.3576:                             ;   in Loop: Header=BB47_17 Depth=1
	flat_load_sshort v0, v[0:1]
	s_waitcnt vmcnt(0) lgkmcnt(0)
	v_cvt_f32_i32_e32 v55, v0
.LBB47_3577:                            ;   in Loop: Header=BB47_17 Depth=1
	s_or_b64 exec, exec, s[60:61]
                                        ; implicit-def: $vgpr0_vgpr1
.LBB47_3578:                            ;   in Loop: Header=BB47_17 Depth=1
	s_andn2_saveexec_b64 s[66:67], s[74:75]
	s_cbranch_execz .LBB47_3584
; %bb.3579:                             ;   in Loop: Header=BB47_17 Depth=1
	v_cmp_gt_i16_sdwa s[60:61], v8, v14 src0_sel:BYTE_0 src1_sel:DWORD
                                        ; implicit-def: $vgpr55
	s_and_saveexec_b64 s[62:63], s[60:61]
	s_xor_b64 s[60:61], exec, s[62:63]
	s_cbranch_execz .LBB47_3581
; %bb.3580:                             ;   in Loop: Header=BB47_17 Depth=1
	flat_load_sbyte v0, v[0:1]
	s_waitcnt vmcnt(0) lgkmcnt(0)
	v_cvt_f32_i32_e32 v55, v0
                                        ; implicit-def: $vgpr0_vgpr1
.LBB47_3581:                            ;   in Loop: Header=BB47_17 Depth=1
	s_andn2_saveexec_b64 s[60:61], s[60:61]
	s_cbranch_execz .LBB47_3583
; %bb.3582:                             ;   in Loop: Header=BB47_17 Depth=1
	flat_load_ubyte v0, v[0:1]
	s_waitcnt vmcnt(0) lgkmcnt(0)
	v_cvt_f32_ubyte0_e32 v55, v0
.LBB47_3583:                            ;   in Loop: Header=BB47_17 Depth=1
	s_or_b64 exec, exec, s[60:61]
.LBB47_3584:                            ;   in Loop: Header=BB47_17 Depth=1
	s_or_b64 exec, exec, s[66:67]
.LBB47_3585:                            ;   in Loop: Header=BB47_17 Depth=1
	s_or_b64 exec, exec, s[72:73]
	s_andn2_b64 s[86:87], s[86:87], exec
	s_andn2_b64 vcc, vcc, exec
	s_or_b64 s[78:79], s[78:79], exec
	s_or_b64 exec, exec, s[80:81]
	s_mov_b64 s[66:67], 0
	s_and_saveexec_b64 s[68:69], s[78:79]
	s_cbranch_execnz .LBB47_3465
	s_branch .LBB47_3466
.LBB47_3586:                            ;   in Loop: Header=BB47_17 Depth=1
	s_movk_i32 vcc_lo, 0x80
	v_cmp_eq_u16_e32 vcc, vcc_lo, v0
	s_mov_b64 s[66:67], -1
                                        ; implicit-def: $sgpr70
	s_and_saveexec_b64 s[60:61], vcc
; %bb.3587:                             ;   in Loop: Header=BB47_17 Depth=1
	s_mov_b32 s70, 0x7f800001
	s_xor_b64 s[66:67], exec, -1
; %bb.3588:                             ;   in Loop: Header=BB47_17 Depth=1
	s_or_b64 exec, exec, s[60:61]
	s_and_b64 s[66:67], s[66:67], exec
	s_or_saveexec_b64 s[68:69], s[68:69]
	v_mov_b32_e32 v55, s70
	s_xor_b64 exec, exec, s[68:69]
	s_cbranch_execz .LBB47_2619
.LBB47_3589:                            ;   in Loop: Header=BB47_17 Depth=1
	v_cmp_ne_u16_e32 vcc, 0, v0
	s_andn2_b64 s[60:61], s[66:67], exec
	s_and_b64 vcc, vcc, exec
	v_mov_b32_e32 v55, 0
	s_or_b64 s[66:67], s[60:61], vcc
	s_or_b64 exec, exec, s[68:69]
	s_and_saveexec_b64 s[68:69], s[66:67]
	s_cbranch_execnz .LBB47_2620
	s_branch .LBB47_2621
.LBB47_3590:                            ;   in Loop: Header=BB47_17 Depth=1
	s_movk_i32 vcc_lo, 0x80
	v_cmp_eq_u16_e32 vcc, vcc_lo, v0
	s_mov_b64 s[66:67], -1
                                        ; implicit-def: $sgpr70
	s_and_saveexec_b64 s[60:61], vcc
; %bb.3591:                             ;   in Loop: Header=BB47_17 Depth=1
	s_mov_b32 s70, 0x7f800001
	s_xor_b64 s[66:67], exec, -1
; %bb.3592:                             ;   in Loop: Header=BB47_17 Depth=1
	s_or_b64 exec, exec, s[60:61]
	s_and_b64 s[66:67], s[66:67], exec
	s_or_saveexec_b64 s[68:69], s[68:69]
	v_mov_b32_e32 v64, s70
	s_xor_b64 exec, exec, s[68:69]
	s_cbranch_execz .LBB47_2719
.LBB47_3593:                            ;   in Loop: Header=BB47_17 Depth=1
	v_cmp_ne_u16_e32 vcc, 0, v0
	s_andn2_b64 s[60:61], s[66:67], exec
	s_and_b64 vcc, vcc, exec
	v_mov_b32_e32 v64, 0
	s_or_b64 s[66:67], s[60:61], vcc
	s_or_b64 exec, exec, s[68:69]
	s_and_saveexec_b64 s[68:69], s[66:67]
	s_cbranch_execnz .LBB47_2720
	s_branch .LBB47_2721
.LBB47_3594:                            ;   in Loop: Header=BB47_17 Depth=1
	s_movk_i32 vcc_lo, 0x80
	v_cmp_eq_u16_e32 vcc, vcc_lo, v0
	s_mov_b64 s[66:67], -1
                                        ; implicit-def: $sgpr70
	s_and_saveexec_b64 s[60:61], vcc
; %bb.3595:                             ;   in Loop: Header=BB47_17 Depth=1
	s_mov_b32 s70, 0x7f800001
	s_xor_b64 s[66:67], exec, -1
; %bb.3596:                             ;   in Loop: Header=BB47_17 Depth=1
	s_or_b64 exec, exec, s[60:61]
	s_and_b64 s[66:67], s[66:67], exec
	s_or_saveexec_b64 s[68:69], s[68:69]
	v_mov_b32_e32 v55, s70
	s_xor_b64 exec, exec, s[68:69]
	s_cbranch_execz .LBB47_2809
.LBB47_3597:                            ;   in Loop: Header=BB47_17 Depth=1
	v_cmp_ne_u16_e32 vcc, 0, v0
	s_andn2_b64 s[60:61], s[66:67], exec
	s_and_b64 vcc, vcc, exec
	v_mov_b32_e32 v55, 0
	s_or_b64 s[66:67], s[60:61], vcc
	s_or_b64 exec, exec, s[68:69]
	s_and_saveexec_b64 s[68:69], s[66:67]
	s_cbranch_execnz .LBB47_2810
	s_branch .LBB47_2811
.LBB47_3598:                            ;   in Loop: Header=BB47_17 Depth=1
	s_movk_i32 vcc_lo, 0x80
	v_cmp_eq_u16_e32 vcc, vcc_lo, v0
	s_mov_b64 s[66:67], -1
                                        ; implicit-def: $sgpr70
	s_and_saveexec_b64 s[60:61], vcc
; %bb.3599:                             ;   in Loop: Header=BB47_17 Depth=1
	s_mov_b32 s70, 0x7f800001
	s_xor_b64 s[66:67], exec, -1
; %bb.3600:                             ;   in Loop: Header=BB47_17 Depth=1
	s_or_b64 exec, exec, s[60:61]
	s_and_b64 s[66:67], s[66:67], exec
	s_or_saveexec_b64 s[68:69], s[68:69]
	v_mov_b32_e32 v64, s70
	s_xor_b64 exec, exec, s[68:69]
	s_cbranch_execz .LBB47_2935
.LBB47_3601:                            ;   in Loop: Header=BB47_17 Depth=1
	v_cmp_ne_u16_e32 vcc, 0, v0
	s_andn2_b64 s[60:61], s[66:67], exec
	s_and_b64 vcc, vcc, exec
	v_mov_b32_e32 v64, 0
	s_or_b64 s[66:67], s[60:61], vcc
	s_or_b64 exec, exec, s[68:69]
	s_and_saveexec_b64 s[68:69], s[66:67]
	s_cbranch_execnz .LBB47_2936
	s_branch .LBB47_2937
.LBB47_3602:                            ;   in Loop: Header=BB47_17 Depth=1
	s_movk_i32 vcc_lo, 0x80
	v_cmp_eq_u16_e32 vcc, vcc_lo, v0
	s_mov_b64 s[66:67], -1
                                        ; implicit-def: $sgpr70
	s_and_saveexec_b64 s[60:61], vcc
; %bb.3603:                             ;   in Loop: Header=BB47_17 Depth=1
	s_mov_b32 s70, 0x7f800001
	s_xor_b64 s[66:67], exec, -1
; %bb.3604:                             ;   in Loop: Header=BB47_17 Depth=1
	s_or_b64 exec, exec, s[60:61]
	s_and_b64 s[66:67], s[66:67], exec
	s_or_saveexec_b64 s[68:69], s[68:69]
	v_mov_b32_e32 v55, s70
	s_xor_b64 exec, exec, s[68:69]
	s_cbranch_execz .LBB47_2820
.LBB47_3605:                            ;   in Loop: Header=BB47_17 Depth=1
	v_cmp_ne_u16_e32 vcc, 0, v0
	s_andn2_b64 s[60:61], s[66:67], exec
	s_and_b64 vcc, vcc, exec
	v_mov_b32_e32 v55, 0
	s_or_b64 s[66:67], s[60:61], vcc
	s_or_b64 exec, exec, s[68:69]
	s_and_saveexec_b64 s[68:69], s[66:67]
	s_cbranch_execnz .LBB47_2821
	s_branch .LBB47_2822
.LBB47_3606:                            ;   in Loop: Header=BB47_17 Depth=1
	s_movk_i32 vcc_lo, 0x80
	v_cmp_eq_u16_e32 vcc, vcc_lo, v0
	s_mov_b64 s[66:67], -1
                                        ; implicit-def: $sgpr70
	s_and_saveexec_b64 s[60:61], vcc
; %bb.3607:                             ;   in Loop: Header=BB47_17 Depth=1
	s_mov_b32 s70, 0x7f800001
	s_xor_b64 s[66:67], exec, -1
; %bb.3608:                             ;   in Loop: Header=BB47_17 Depth=1
	s_or_b64 exec, exec, s[60:61]
	s_and_b64 s[66:67], s[66:67], exec
	s_or_saveexec_b64 s[68:69], s[68:69]
	v_mov_b32_e32 v64, s70
	s_xor_b64 exec, exec, s[68:69]
	s_cbranch_execz .LBB47_2946
.LBB47_3609:                            ;   in Loop: Header=BB47_17 Depth=1
	v_cmp_ne_u16_e32 vcc, 0, v0
	s_andn2_b64 s[60:61], s[66:67], exec
	s_and_b64 vcc, vcc, exec
	v_mov_b32_e32 v64, 0
	s_or_b64 s[66:67], s[60:61], vcc
	s_or_b64 exec, exec, s[68:69]
	s_and_saveexec_b64 s[68:69], s[66:67]
	s_cbranch_execnz .LBB47_2947
	s_branch .LBB47_2948
.LBB47_3610:                            ;   in Loop: Header=BB47_17 Depth=1
	s_movk_i32 vcc_lo, 0x80
	v_cmp_eq_u16_e32 vcc, vcc_lo, v0
	s_mov_b64 s[66:67], -1
                                        ; implicit-def: $sgpr70
	s_and_saveexec_b64 s[60:61], vcc
; %bb.3611:                             ;   in Loop: Header=BB47_17 Depth=1
	s_mov_b32 s70, 0x7f800001
	s_xor_b64 s[66:67], exec, -1
; %bb.3612:                             ;   in Loop: Header=BB47_17 Depth=1
	s_or_b64 exec, exec, s[60:61]
	s_and_b64 s[66:67], s[66:67], exec
	s_or_saveexec_b64 s[68:69], s[68:69]
	v_mov_b32_e32 v55, s70
	s_xor_b64 exec, exec, s[68:69]
	s_cbranch_execz .LBB47_3036
.LBB47_3613:                            ;   in Loop: Header=BB47_17 Depth=1
	v_cmp_ne_u16_e32 vcc, 0, v0
	s_andn2_b64 s[60:61], s[66:67], exec
	s_and_b64 vcc, vcc, exec
	v_mov_b32_e32 v55, 0
	s_or_b64 s[66:67], s[60:61], vcc
	s_or_b64 exec, exec, s[68:69]
	s_and_saveexec_b64 s[68:69], s[66:67]
	s_cbranch_execnz .LBB47_3037
	s_branch .LBB47_3038
.LBB47_3614:                            ;   in Loop: Header=BB47_17 Depth=1
	s_movk_i32 vcc_lo, 0x80
	v_cmp_eq_u16_e32 vcc, vcc_lo, v0
	s_mov_b64 s[66:67], -1
                                        ; implicit-def: $sgpr70
	s_and_saveexec_b64 s[60:61], vcc
; %bb.3615:                             ;   in Loop: Header=BB47_17 Depth=1
	s_mov_b32 s70, 0x7f800001
	s_xor_b64 s[66:67], exec, -1
; %bb.3616:                             ;   in Loop: Header=BB47_17 Depth=1
	s_or_b64 exec, exec, s[60:61]
	s_and_b64 s[66:67], s[66:67], exec
	s_or_saveexec_b64 s[68:69], s[68:69]
	v_mov_b32_e32 v64, s70
	s_xor_b64 exec, exec, s[68:69]
	s_cbranch_execz .LBB47_3162
.LBB47_3617:                            ;   in Loop: Header=BB47_17 Depth=1
	v_cmp_ne_u16_e32 vcc, 0, v0
	s_andn2_b64 s[60:61], s[66:67], exec
	s_and_b64 vcc, vcc, exec
	v_mov_b32_e32 v64, 0
	s_or_b64 s[66:67], s[60:61], vcc
	s_or_b64 exec, exec, s[68:69]
	s_and_saveexec_b64 s[68:69], s[66:67]
	s_cbranch_execnz .LBB47_3163
	s_branch .LBB47_3164
.LBB47_3618:                            ;   in Loop: Header=BB47_17 Depth=1
	s_movk_i32 vcc_lo, 0x80
	v_cmp_eq_u16_e32 vcc, vcc_lo, v0
	s_mov_b64 s[66:67], -1
                                        ; implicit-def: $sgpr70
	s_and_saveexec_b64 s[60:61], vcc
; %bb.3619:                             ;   in Loop: Header=BB47_17 Depth=1
	s_mov_b32 s70, 0x7f800001
	s_xor_b64 s[66:67], exec, -1
; %bb.3620:                             ;   in Loop: Header=BB47_17 Depth=1
	s_or_b64 exec, exec, s[60:61]
	s_and_b64 s[66:67], s[66:67], exec
	s_or_saveexec_b64 s[68:69], s[68:69]
	v_mov_b32_e32 v55, s70
	s_xor_b64 exec, exec, s[68:69]
	s_cbranch_execz .LBB47_3047
.LBB47_3621:                            ;   in Loop: Header=BB47_17 Depth=1
	v_cmp_ne_u16_e32 vcc, 0, v0
	s_andn2_b64 s[60:61], s[66:67], exec
	s_and_b64 vcc, vcc, exec
	v_mov_b32_e32 v55, 0
	s_or_b64 s[66:67], s[60:61], vcc
	s_or_b64 exec, exec, s[68:69]
	s_and_saveexec_b64 s[68:69], s[66:67]
	s_cbranch_execnz .LBB47_3048
	s_branch .LBB47_3049
.LBB47_3622:                            ;   in Loop: Header=BB47_17 Depth=1
	s_movk_i32 vcc_lo, 0x80
	v_cmp_eq_u16_e32 vcc, vcc_lo, v0
	s_mov_b64 s[66:67], -1
                                        ; implicit-def: $sgpr70
	s_and_saveexec_b64 s[60:61], vcc
; %bb.3623:                             ;   in Loop: Header=BB47_17 Depth=1
	s_mov_b32 s70, 0x7f800001
	s_xor_b64 s[66:67], exec, -1
; %bb.3624:                             ;   in Loop: Header=BB47_17 Depth=1
	s_or_b64 exec, exec, s[60:61]
	s_and_b64 s[66:67], s[66:67], exec
	s_or_saveexec_b64 s[68:69], s[68:69]
	v_mov_b32_e32 v64, s70
	s_xor_b64 exec, exec, s[68:69]
	s_cbranch_execz .LBB47_3173
.LBB47_3625:                            ;   in Loop: Header=BB47_17 Depth=1
	v_cmp_ne_u16_e32 vcc, 0, v0
	s_andn2_b64 s[60:61], s[66:67], exec
	s_and_b64 vcc, vcc, exec
	v_mov_b32_e32 v64, 0
	s_or_b64 s[66:67], s[60:61], vcc
	s_or_b64 exec, exec, s[68:69]
	s_and_saveexec_b64 s[68:69], s[66:67]
	s_cbranch_execnz .LBB47_3174
	s_branch .LBB47_3175
.LBB47_3626:                            ;   in Loop: Header=BB47_17 Depth=1
	s_movk_i32 vcc_lo, 0x80
	v_cmp_eq_u16_e32 vcc, vcc_lo, v0
	s_mov_b64 s[66:67], -1
                                        ; implicit-def: $sgpr70
	s_and_saveexec_b64 s[60:61], vcc
; %bb.3627:                             ;   in Loop: Header=BB47_17 Depth=1
	s_mov_b32 s70, 0x7f800001
	s_xor_b64 s[66:67], exec, -1
; %bb.3628:                             ;   in Loop: Header=BB47_17 Depth=1
	s_or_b64 exec, exec, s[60:61]
	s_and_b64 s[66:67], s[66:67], exec
	s_or_saveexec_b64 s[68:69], s[68:69]
	v_mov_b32_e32 v55, s70
	s_xor_b64 exec, exec, s[68:69]
	s_cbranch_execz .LBB47_3263
.LBB47_3629:                            ;   in Loop: Header=BB47_17 Depth=1
	v_cmp_ne_u16_e32 vcc, 0, v0
	s_andn2_b64 s[60:61], s[66:67], exec
	s_and_b64 vcc, vcc, exec
	v_mov_b32_e32 v55, 0
	s_or_b64 s[66:67], s[60:61], vcc
	s_or_b64 exec, exec, s[68:69]
	s_and_saveexec_b64 s[68:69], s[66:67]
	s_cbranch_execnz .LBB47_3264
	s_branch .LBB47_3265
.LBB47_3630:                            ;   in Loop: Header=BB47_17 Depth=1
	s_movk_i32 vcc_lo, 0x80
	v_cmp_eq_u16_e32 vcc, vcc_lo, v0
	s_mov_b64 s[66:67], -1
                                        ; implicit-def: $sgpr70
	s_and_saveexec_b64 s[60:61], vcc
; %bb.3631:                             ;   in Loop: Header=BB47_17 Depth=1
	s_mov_b32 s70, 0x7f800001
	s_xor_b64 s[66:67], exec, -1
; %bb.3632:                             ;   in Loop: Header=BB47_17 Depth=1
	s_or_b64 exec, exec, s[60:61]
	s_and_b64 s[66:67], s[66:67], exec
	s_or_saveexec_b64 s[68:69], s[68:69]
	v_mov_b32_e32 v64, s70
	s_xor_b64 exec, exec, s[68:69]
	s_cbranch_execz .LBB47_3389
.LBB47_3633:                            ;   in Loop: Header=BB47_17 Depth=1
	v_cmp_ne_u16_e32 vcc, 0, v0
	s_andn2_b64 s[60:61], s[66:67], exec
	s_and_b64 vcc, vcc, exec
	v_mov_b32_e32 v64, 0
	s_or_b64 s[66:67], s[60:61], vcc
	s_or_b64 exec, exec, s[68:69]
	s_and_saveexec_b64 s[68:69], s[66:67]
	s_cbranch_execnz .LBB47_3390
	s_branch .LBB47_3391
.LBB47_3634:                            ;   in Loop: Header=BB47_17 Depth=1
	s_movk_i32 vcc_lo, 0x80
	v_cmp_eq_u16_e32 vcc, vcc_lo, v0
	s_mov_b64 s[66:67], -1
                                        ; implicit-def: $sgpr70
	s_and_saveexec_b64 s[60:61], vcc
; %bb.3635:                             ;   in Loop: Header=BB47_17 Depth=1
	s_mov_b32 s70, 0x7f800001
	s_xor_b64 s[66:67], exec, -1
; %bb.3636:                             ;   in Loop: Header=BB47_17 Depth=1
	s_or_b64 exec, exec, s[60:61]
	s_and_b64 s[66:67], s[66:67], exec
	s_or_saveexec_b64 s[68:69], s[68:69]
	v_mov_b32_e32 v55, s70
	s_xor_b64 exec, exec, s[68:69]
	s_cbranch_execz .LBB47_3274
.LBB47_3637:                            ;   in Loop: Header=BB47_17 Depth=1
	v_cmp_ne_u16_e32 vcc, 0, v0
	s_andn2_b64 s[60:61], s[66:67], exec
	s_and_b64 vcc, vcc, exec
	v_mov_b32_e32 v55, 0
	s_or_b64 s[66:67], s[60:61], vcc
	s_or_b64 exec, exec, s[68:69]
	s_and_saveexec_b64 s[68:69], s[66:67]
	s_cbranch_execnz .LBB47_3275
	s_branch .LBB47_3276
.LBB47_3638:                            ;   in Loop: Header=BB47_17 Depth=1
	s_movk_i32 vcc_lo, 0x80
	v_cmp_eq_u16_e32 vcc, vcc_lo, v0
	s_mov_b64 s[66:67], -1
                                        ; implicit-def: $sgpr70
	s_and_saveexec_b64 s[60:61], vcc
; %bb.3639:                             ;   in Loop: Header=BB47_17 Depth=1
	s_mov_b32 s70, 0x7f800001
	s_xor_b64 s[66:67], exec, -1
; %bb.3640:                             ;   in Loop: Header=BB47_17 Depth=1
	s_or_b64 exec, exec, s[60:61]
	s_and_b64 s[66:67], s[66:67], exec
	s_or_saveexec_b64 s[68:69], s[68:69]
	v_mov_b32_e32 v64, s70
	s_xor_b64 exec, exec, s[68:69]
	s_cbranch_execz .LBB47_3400
.LBB47_3641:                            ;   in Loop: Header=BB47_17 Depth=1
	v_cmp_ne_u16_e32 vcc, 0, v0
	s_andn2_b64 s[60:61], s[66:67], exec
	s_and_b64 vcc, vcc, exec
	v_mov_b32_e32 v64, 0
	s_or_b64 s[66:67], s[60:61], vcc
	s_or_b64 exec, exec, s[68:69]
	s_and_saveexec_b64 s[68:69], s[66:67]
	s_cbranch_execnz .LBB47_3401
	s_branch .LBB47_3402
.LBB47_3642:                            ;   in Loop: Header=BB47_17 Depth=1
	s_movk_i32 vcc_lo, 0x80
	v_cmp_eq_u16_e32 vcc, vcc_lo, v0
	s_mov_b64 s[66:67], -1
                                        ; implicit-def: $sgpr70
	s_and_saveexec_b64 s[60:61], vcc
; %bb.3643:                             ;   in Loop: Header=BB47_17 Depth=1
	s_mov_b32 s70, 0x7f800001
	s_xor_b64 s[66:67], exec, -1
; %bb.3644:                             ;   in Loop: Header=BB47_17 Depth=1
	s_or_b64 exec, exec, s[60:61]
	s_and_b64 s[66:67], s[66:67], exec
	s_or_saveexec_b64 s[68:69], s[68:69]
	v_mov_b32_e32 v55, s70
	s_xor_b64 exec, exec, s[68:69]
	s_cbranch_execz .LBB47_3513
.LBB47_3645:                            ;   in Loop: Header=BB47_17 Depth=1
	v_cmp_ne_u16_e32 vcc, 0, v0
	s_andn2_b64 s[60:61], s[66:67], exec
	s_and_b64 vcc, vcc, exec
	v_mov_b32_e32 v55, 0
	s_or_b64 s[66:67], s[60:61], vcc
	s_or_b64 exec, exec, s[68:69]
	s_and_saveexec_b64 s[68:69], s[66:67]
	s_cbranch_execnz .LBB47_3514
	s_branch .LBB47_3515
.LBB47_3646:                            ;   in Loop: Header=BB47_17 Depth=1
	s_movk_i32 vcc_lo, 0x80
	v_cmp_eq_u16_e32 vcc, vcc_lo, v0
	s_mov_b64 s[66:67], -1
                                        ; implicit-def: $sgpr70
	s_and_saveexec_b64 s[60:61], vcc
; %bb.3647:                             ;   in Loop: Header=BB47_17 Depth=1
	s_mov_b32 s70, 0x7f800001
	s_xor_b64 s[66:67], exec, -1
; %bb.3648:                             ;   in Loop: Header=BB47_17 Depth=1
	s_or_b64 exec, exec, s[60:61]
	s_and_b64 s[66:67], s[66:67], exec
	s_or_saveexec_b64 s[68:69], s[68:69]
	v_mov_b32_e32 v55, s70
	s_xor_b64 exec, exec, s[68:69]
	s_cbranch_execz .LBB47_3524
.LBB47_3649:                            ;   in Loop: Header=BB47_17 Depth=1
	v_cmp_ne_u16_e32 vcc, 0, v0
	s_andn2_b64 s[60:61], s[66:67], exec
	s_and_b64 vcc, vcc, exec
	v_mov_b32_e32 v55, 0
	s_or_b64 s[66:67], s[60:61], vcc
	s_or_b64 exec, exec, s[68:69]
	s_and_saveexec_b64 s[68:69], s[66:67]
	s_cbranch_execnz .LBB47_3525
	s_branch .LBB47_3526
.LBB47_3650:
	s_or_b64 exec, exec, s[4:5]
	s_xor_b64 s[8:9], s[8:9], -1
	s_xor_b64 s[6:7], s[6:7], -1
	s_mov_b64 s[4:5], 0
	s_and_saveexec_b64 s[10:11], s[6:7]
	s_xor_b64 s[22:23], exec, s[10:11]
	s_cbranch_execnz .LBB47_3655
; %bb.3651:
	s_andn2_saveexec_b64 s[6:7], s[22:23]
	s_cbranch_execnz .LBB47_4829
.LBB47_3652:
	s_or_b64 exec, exec, s[6:7]
	s_and_saveexec_b64 s[6:7], s[4:5]
.LBB47_3653:
	; divergent unreachable
.LBB47_3654:
	s_or_b64 exec, exec, s[6:7]
	v_readlane_b32 s30, v41, 0
	v_readlane_b32 s31, v41, 1
	;; [unrolled: 1-line block ×67, first 2 shown]
	s_or_saveexec_b64 s[6:7], -1
	buffer_load_dword v40, off, s[0:3], s33 offset:256 ; 4-byte Folded Reload
	buffer_load_dword v41, off, s[0:3], s33 offset:260 ; 4-byte Folded Reload
	;; [unrolled: 1-line block ×5, first 2 shown]
	s_mov_b64 exec, s[6:7]
	s_addk_i32 s32, 0xb800
	s_mov_b32 s33, s4
	s_waitcnt vmcnt(0) lgkmcnt(0)
	s_setpc_b64 s[30:31]
.LBB47_3655:
	s_and_saveexec_b64 s[6:7], s[8:9]
	s_xor_b64 s[24:25], exec, s[6:7]
	s_cbranch_execz .LBB47_4827
; %bb.3656:
	v_cmp_lt_i32_e64 s[20:21], v101, v6
                                        ; implicit-def: $vgpr100
	s_and_saveexec_b64 s[26:27], s[20:21]
	s_cbranch_execz .LBB47_3658
; %bb.3657:
	buffer_load_dword v0, off, s[0:3], s33
	buffer_load_dword v1, off, s[0:3], s33 offset:4
	s_getpc_b64 s[4:5]
	s_add_u32 s4, s4, _ZN3c104guts5applyIRN2at6native13BinaryFunctorIfffZZZNS3_12_GLOBAL__N_133hermite_polynomial_he_kernel_cudaERNS2_18TensorIteratorBaseEENKUlvE_clEvENKUlvE0_clEvEUlffE_EERSt5tupleIJffEEEEDaOT_OT0_@rel32@lo+4
	s_addc_u32 s5, s5, _ZN3c104guts5applyIRN2at6native13BinaryFunctorIfffZZZNS3_12_GLOBAL__N_133hermite_polynomial_he_kernel_cudaERNS2_18TensorIteratorBaseEENKUlvE_clEvENKUlvE0_clEvEUlffE_EERSt5tupleIJffEEEEDaOT_OT0_@rel32@hi+12
	s_swappc_b64 s[30:31], s[4:5]
	v_mov_b32_e32 v100, v0
.LBB47_3658:
	s_or_b64 exec, exec, s[26:27]
	v_add_u32_e32 v7, 0x200, v101
	v_cmp_lt_i32_e32 vcc, v7, v6
                                        ; implicit-def: $vgpr98
	s_and_saveexec_b64 s[26:27], vcc
	s_cbranch_execz .LBB47_3660
; %bb.3659:
	buffer_load_dword v0, off, s[0:3], s33 offset:8
	buffer_load_dword v1, off, s[0:3], s33 offset:12
	s_getpc_b64 s[4:5]
	s_add_u32 s4, s4, _ZN3c104guts5applyIRN2at6native13BinaryFunctorIfffZZZNS3_12_GLOBAL__N_133hermite_polynomial_he_kernel_cudaERNS2_18TensorIteratorBaseEENKUlvE_clEvENKUlvE0_clEvEUlffE_EERSt5tupleIJffEEEEDaOT_OT0_@rel32@lo+4
	s_addc_u32 s5, s5, _ZN3c104guts5applyIRN2at6native13BinaryFunctorIfffZZZNS3_12_GLOBAL__N_133hermite_polynomial_he_kernel_cudaERNS2_18TensorIteratorBaseEENKUlvE_clEvENKUlvE0_clEvEUlffE_EERSt5tupleIJffEEEEDaOT_OT0_@rel32@hi+12
	s_swappc_b64 s[30:31], s[4:5]
	v_mov_b32_e32 v98, v0
.LBB47_3660:
	s_or_b64 exec, exec, s[26:27]
	v_or_b32_e32 v0, 0x400, v101
	v_cmp_lt_i32_e32 vcc, v0, v6
                                        ; implicit-def: $vgpr96
	s_and_saveexec_b64 s[26:27], vcc
	s_cbranch_execz .LBB47_3662
; %bb.3661:
	buffer_load_dword v0, off, s[0:3], s33 offset:16
	buffer_load_dword v1, off, s[0:3], s33 offset:20
	s_getpc_b64 s[4:5]
	s_add_u32 s4, s4, _ZN3c104guts5applyIRN2at6native13BinaryFunctorIfffZZZNS3_12_GLOBAL__N_133hermite_polynomial_he_kernel_cudaERNS2_18TensorIteratorBaseEENKUlvE_clEvENKUlvE0_clEvEUlffE_EERSt5tupleIJffEEEEDaOT_OT0_@rel32@lo+4
	s_addc_u32 s5, s5, _ZN3c104guts5applyIRN2at6native13BinaryFunctorIfffZZZNS3_12_GLOBAL__N_133hermite_polynomial_he_kernel_cudaERNS2_18TensorIteratorBaseEENKUlvE_clEvENKUlvE0_clEvEUlffE_EERSt5tupleIJffEEEEDaOT_OT0_@rel32@hi+12
	s_swappc_b64 s[30:31], s[4:5]
	v_mov_b32_e32 v96, v0
.LBB47_3662:
	s_or_b64 exec, exec, s[26:27]
	v_add_u32_e32 v0, 0x600, v101
	v_cmp_lt_i32_e32 vcc, v0, v6
                                        ; implicit-def: $vgpr86
	s_and_saveexec_b64 s[26:27], vcc
	s_cbranch_execz .LBB47_3664
; %bb.3663:
	buffer_load_dword v0, off, s[0:3], s33 offset:24
	buffer_load_dword v1, off, s[0:3], s33 offset:28
	s_getpc_b64 s[4:5]
	s_add_u32 s4, s4, _ZN3c104guts5applyIRN2at6native13BinaryFunctorIfffZZZNS3_12_GLOBAL__N_133hermite_polynomial_he_kernel_cudaERNS2_18TensorIteratorBaseEENKUlvE_clEvENKUlvE0_clEvEUlffE_EERSt5tupleIJffEEEEDaOT_OT0_@rel32@lo+4
	s_addc_u32 s5, s5, _ZN3c104guts5applyIRN2at6native13BinaryFunctorIfffZZZNS3_12_GLOBAL__N_133hermite_polynomial_he_kernel_cudaERNS2_18TensorIteratorBaseEENKUlvE_clEvENKUlvE0_clEvEUlffE_EERSt5tupleIJffEEEEDaOT_OT0_@rel32@hi+12
	s_swappc_b64 s[30:31], s[4:5]
	v_mov_b32_e32 v86, v0
.LBB47_3664:
	s_or_b64 exec, exec, s[26:27]
	v_or_b32_e32 v0, 0x800, v101
	v_cmp_lt_i32_e32 vcc, v0, v6
                                        ; implicit-def: $vgpr84
	s_and_saveexec_b64 s[26:27], vcc
	s_cbranch_execz .LBB47_3666
; %bb.3665:
	buffer_load_dword v0, off, s[0:3], s33 offset:32
	buffer_load_dword v1, off, s[0:3], s33 offset:36
	s_getpc_b64 s[4:5]
	s_add_u32 s4, s4, _ZN3c104guts5applyIRN2at6native13BinaryFunctorIfffZZZNS3_12_GLOBAL__N_133hermite_polynomial_he_kernel_cudaERNS2_18TensorIteratorBaseEENKUlvE_clEvENKUlvE0_clEvEUlffE_EERSt5tupleIJffEEEEDaOT_OT0_@rel32@lo+4
	s_addc_u32 s5, s5, _ZN3c104guts5applyIRN2at6native13BinaryFunctorIfffZZZNS3_12_GLOBAL__N_133hermite_polynomial_he_kernel_cudaERNS2_18TensorIteratorBaseEENKUlvE_clEvENKUlvE0_clEvEUlffE_EERSt5tupleIJffEEEEDaOT_OT0_@rel32@hi+12
	s_swappc_b64 s[30:31], s[4:5]
	v_mov_b32_e32 v84, v0
.LBB47_3666:
	s_or_b64 exec, exec, s[26:27]
	v_add_u32_e32 v0, 0xa00, v101
	v_cmp_lt_i32_e32 vcc, v0, v6
                                        ; implicit-def: $vgpr82
	s_and_saveexec_b64 s[26:27], vcc
	s_cbranch_execz .LBB47_3668
; %bb.3667:
	buffer_load_dword v0, off, s[0:3], s33 offset:40
	buffer_load_dword v1, off, s[0:3], s33 offset:44
	s_getpc_b64 s[4:5]
	s_add_u32 s4, s4, _ZN3c104guts5applyIRN2at6native13BinaryFunctorIfffZZZNS3_12_GLOBAL__N_133hermite_polynomial_he_kernel_cudaERNS2_18TensorIteratorBaseEENKUlvE_clEvENKUlvE0_clEvEUlffE_EERSt5tupleIJffEEEEDaOT_OT0_@rel32@lo+4
	s_addc_u32 s5, s5, _ZN3c104guts5applyIRN2at6native13BinaryFunctorIfffZZZNS3_12_GLOBAL__N_133hermite_polynomial_he_kernel_cudaERNS2_18TensorIteratorBaseEENKUlvE_clEvENKUlvE0_clEvEUlffE_EERSt5tupleIJffEEEEDaOT_OT0_@rel32@hi+12
	s_swappc_b64 s[30:31], s[4:5]
	v_mov_b32_e32 v82, v0
.LBB47_3668:
	s_or_b64 exec, exec, s[26:27]
	v_or_b32_e32 v0, 0xc00, v101
	v_cmp_lt_i32_e32 vcc, v0, v6
                                        ; implicit-def: $vgpr80
	s_and_saveexec_b64 s[26:27], vcc
	s_cbranch_execz .LBB47_3670
; %bb.3669:
	buffer_load_dword v0, off, s[0:3], s33 offset:48
	buffer_load_dword v1, off, s[0:3], s33 offset:52
	s_getpc_b64 s[4:5]
	s_add_u32 s4, s4, _ZN3c104guts5applyIRN2at6native13BinaryFunctorIfffZZZNS3_12_GLOBAL__N_133hermite_polynomial_he_kernel_cudaERNS2_18TensorIteratorBaseEENKUlvE_clEvENKUlvE0_clEvEUlffE_EERSt5tupleIJffEEEEDaOT_OT0_@rel32@lo+4
	s_addc_u32 s5, s5, _ZN3c104guts5applyIRN2at6native13BinaryFunctorIfffZZZNS3_12_GLOBAL__N_133hermite_polynomial_he_kernel_cudaERNS2_18TensorIteratorBaseEENKUlvE_clEvENKUlvE0_clEvEUlffE_EERSt5tupleIJffEEEEDaOT_OT0_@rel32@hi+12
	s_swappc_b64 s[30:31], s[4:5]
	v_mov_b32_e32 v80, v0
.LBB47_3670:
	s_or_b64 exec, exec, s[26:27]
	v_add_u32_e32 v0, 0xe00, v101
	v_cmp_lt_i32_e32 vcc, v0, v6
                                        ; implicit-def: $vgpr70
	s_and_saveexec_b64 s[26:27], vcc
	s_cbranch_execz .LBB47_3672
; %bb.3671:
	buffer_load_dword v0, off, s[0:3], s33 offset:56
	buffer_load_dword v1, off, s[0:3], s33 offset:60
	s_getpc_b64 s[4:5]
	s_add_u32 s4, s4, _ZN3c104guts5applyIRN2at6native13BinaryFunctorIfffZZZNS3_12_GLOBAL__N_133hermite_polynomial_he_kernel_cudaERNS2_18TensorIteratorBaseEENKUlvE_clEvENKUlvE0_clEvEUlffE_EERSt5tupleIJffEEEEDaOT_OT0_@rel32@lo+4
	s_addc_u32 s5, s5, _ZN3c104guts5applyIRN2at6native13BinaryFunctorIfffZZZNS3_12_GLOBAL__N_133hermite_polynomial_he_kernel_cudaERNS2_18TensorIteratorBaseEENKUlvE_clEvENKUlvE0_clEvEUlffE_EERSt5tupleIJffEEEEDaOT_OT0_@rel32@hi+12
	s_swappc_b64 s[30:31], s[4:5]
	v_mov_b32_e32 v70, v0
.LBB47_3672:
	s_or_b64 exec, exec, s[26:27]
	v_or_b32_e32 v0, 0x1000, v101
	v_cmp_lt_i32_e32 vcc, v0, v6
                                        ; implicit-def: $vgpr68
	s_and_saveexec_b64 s[26:27], vcc
	s_cbranch_execz .LBB47_3674
; %bb.3673:
	buffer_load_dword v0, off, s[0:3], s33 offset:64
	buffer_load_dword v1, off, s[0:3], s33 offset:68
	s_getpc_b64 s[4:5]
	s_add_u32 s4, s4, _ZN3c104guts5applyIRN2at6native13BinaryFunctorIfffZZZNS3_12_GLOBAL__N_133hermite_polynomial_he_kernel_cudaERNS2_18TensorIteratorBaseEENKUlvE_clEvENKUlvE0_clEvEUlffE_EERSt5tupleIJffEEEEDaOT_OT0_@rel32@lo+4
	s_addc_u32 s5, s5, _ZN3c104guts5applyIRN2at6native13BinaryFunctorIfffZZZNS3_12_GLOBAL__N_133hermite_polynomial_he_kernel_cudaERNS2_18TensorIteratorBaseEENKUlvE_clEvENKUlvE0_clEvEUlffE_EERSt5tupleIJffEEEEDaOT_OT0_@rel32@hi+12
	s_swappc_b64 s[30:31], s[4:5]
	v_mov_b32_e32 v68, v0
.LBB47_3674:
	s_or_b64 exec, exec, s[26:27]
	v_add_u32_e32 v0, 0x1200, v101
	v_cmp_lt_i32_e32 vcc, v0, v6
                                        ; implicit-def: $vgpr66
	s_and_saveexec_b64 s[26:27], vcc
	s_cbranch_execz .LBB47_3676
; %bb.3675:
	buffer_load_dword v0, off, s[0:3], s33 offset:72
	buffer_load_dword v1, off, s[0:3], s33 offset:76
	s_getpc_b64 s[4:5]
	s_add_u32 s4, s4, _ZN3c104guts5applyIRN2at6native13BinaryFunctorIfffZZZNS3_12_GLOBAL__N_133hermite_polynomial_he_kernel_cudaERNS2_18TensorIteratorBaseEENKUlvE_clEvENKUlvE0_clEvEUlffE_EERSt5tupleIJffEEEEDaOT_OT0_@rel32@lo+4
	s_addc_u32 s5, s5, _ZN3c104guts5applyIRN2at6native13BinaryFunctorIfffZZZNS3_12_GLOBAL__N_133hermite_polynomial_he_kernel_cudaERNS2_18TensorIteratorBaseEENKUlvE_clEvENKUlvE0_clEvEUlffE_EERSt5tupleIJffEEEEDaOT_OT0_@rel32@hi+12
	s_swappc_b64 s[30:31], s[4:5]
	v_mov_b32_e32 v66, v0
.LBB47_3676:
	s_or_b64 exec, exec, s[26:27]
	v_or_b32_e32 v0, 0x1400, v101
	v_cmp_lt_i32_e32 vcc, v0, v6
                                        ; implicit-def: $vgpr64
	s_and_saveexec_b64 s[26:27], vcc
	s_cbranch_execz .LBB47_3678
; %bb.3677:
	buffer_load_dword v0, off, s[0:3], s33 offset:80
	buffer_load_dword v1, off, s[0:3], s33 offset:84
	s_getpc_b64 s[4:5]
	s_add_u32 s4, s4, _ZN3c104guts5applyIRN2at6native13BinaryFunctorIfffZZZNS3_12_GLOBAL__N_133hermite_polynomial_he_kernel_cudaERNS2_18TensorIteratorBaseEENKUlvE_clEvENKUlvE0_clEvEUlffE_EERSt5tupleIJffEEEEDaOT_OT0_@rel32@lo+4
	s_addc_u32 s5, s5, _ZN3c104guts5applyIRN2at6native13BinaryFunctorIfffZZZNS3_12_GLOBAL__N_133hermite_polynomial_he_kernel_cudaERNS2_18TensorIteratorBaseEENKUlvE_clEvENKUlvE0_clEvEUlffE_EERSt5tupleIJffEEEEDaOT_OT0_@rel32@hi+12
	s_swappc_b64 s[30:31], s[4:5]
	v_mov_b32_e32 v64, v0
.LBB47_3678:
	s_or_b64 exec, exec, s[26:27]
	v_add_u32_e32 v0, 0x1600, v101
	v_cmp_lt_i32_e32 vcc, v0, v6
                                        ; implicit-def: $vgpr54
	s_and_saveexec_b64 s[26:27], vcc
	s_cbranch_execz .LBB47_3680
; %bb.3679:
	buffer_load_dword v0, off, s[0:3], s33 offset:88
	buffer_load_dword v1, off, s[0:3], s33 offset:92
	s_getpc_b64 s[4:5]
	s_add_u32 s4, s4, _ZN3c104guts5applyIRN2at6native13BinaryFunctorIfffZZZNS3_12_GLOBAL__N_133hermite_polynomial_he_kernel_cudaERNS2_18TensorIteratorBaseEENKUlvE_clEvENKUlvE0_clEvEUlffE_EERSt5tupleIJffEEEEDaOT_OT0_@rel32@lo+4
	s_addc_u32 s5, s5, _ZN3c104guts5applyIRN2at6native13BinaryFunctorIfffZZZNS3_12_GLOBAL__N_133hermite_polynomial_he_kernel_cudaERNS2_18TensorIteratorBaseEENKUlvE_clEvENKUlvE0_clEvEUlffE_EERSt5tupleIJffEEEEDaOT_OT0_@rel32@hi+12
	s_swappc_b64 s[30:31], s[4:5]
	v_mov_b32_e32 v54, v0
.LBB47_3680:
	s_or_b64 exec, exec, s[26:27]
	v_or_b32_e32 v0, 0x1800, v101
	v_cmp_lt_i32_e32 vcc, v0, v6
                                        ; implicit-def: $vgpr52
	s_and_saveexec_b64 s[26:27], vcc
	s_cbranch_execz .LBB47_3682
; %bb.3681:
	buffer_load_dword v0, off, s[0:3], s33 offset:96
	buffer_load_dword v1, off, s[0:3], s33 offset:100
	s_getpc_b64 s[4:5]
	s_add_u32 s4, s4, _ZN3c104guts5applyIRN2at6native13BinaryFunctorIfffZZZNS3_12_GLOBAL__N_133hermite_polynomial_he_kernel_cudaERNS2_18TensorIteratorBaseEENKUlvE_clEvENKUlvE0_clEvEUlffE_EERSt5tupleIJffEEEEDaOT_OT0_@rel32@lo+4
	s_addc_u32 s5, s5, _ZN3c104guts5applyIRN2at6native13BinaryFunctorIfffZZZNS3_12_GLOBAL__N_133hermite_polynomial_he_kernel_cudaERNS2_18TensorIteratorBaseEENKUlvE_clEvENKUlvE0_clEvEUlffE_EERSt5tupleIJffEEEEDaOT_OT0_@rel32@hi+12
	s_swappc_b64 s[30:31], s[4:5]
	v_mov_b32_e32 v52, v0
.LBB47_3682:
	s_or_b64 exec, exec, s[26:27]
	v_add_u32_e32 v0, 0x1a00, v101
	v_cmp_lt_i32_e32 vcc, v0, v6
                                        ; implicit-def: $vgpr50
	s_and_saveexec_b64 s[26:27], vcc
	s_cbranch_execz .LBB47_3684
; %bb.3683:
	buffer_load_dword v0, off, s[0:3], s33 offset:104
	buffer_load_dword v1, off, s[0:3], s33 offset:108
	s_getpc_b64 s[4:5]
	s_add_u32 s4, s4, _ZN3c104guts5applyIRN2at6native13BinaryFunctorIfffZZZNS3_12_GLOBAL__N_133hermite_polynomial_he_kernel_cudaERNS2_18TensorIteratorBaseEENKUlvE_clEvENKUlvE0_clEvEUlffE_EERSt5tupleIJffEEEEDaOT_OT0_@rel32@lo+4
	s_addc_u32 s5, s5, _ZN3c104guts5applyIRN2at6native13BinaryFunctorIfffZZZNS3_12_GLOBAL__N_133hermite_polynomial_he_kernel_cudaERNS2_18TensorIteratorBaseEENKUlvE_clEvENKUlvE0_clEvEUlffE_EERSt5tupleIJffEEEEDaOT_OT0_@rel32@hi+12
	s_swappc_b64 s[30:31], s[4:5]
	v_mov_b32_e32 v50, v0
.LBB47_3684:
	s_or_b64 exec, exec, s[26:27]
	v_or_b32_e32 v0, 0x1c00, v101
	v_cmp_lt_i32_e32 vcc, v0, v6
                                        ; implicit-def: $vgpr48
	s_and_saveexec_b64 s[26:27], vcc
	s_cbranch_execz .LBB47_3686
; %bb.3685:
	buffer_load_dword v0, off, s[0:3], s33 offset:112
	buffer_load_dword v1, off, s[0:3], s33 offset:116
	s_getpc_b64 s[4:5]
	s_add_u32 s4, s4, _ZN3c104guts5applyIRN2at6native13BinaryFunctorIfffZZZNS3_12_GLOBAL__N_133hermite_polynomial_he_kernel_cudaERNS2_18TensorIteratorBaseEENKUlvE_clEvENKUlvE0_clEvEUlffE_EERSt5tupleIJffEEEEDaOT_OT0_@rel32@lo+4
	s_addc_u32 s5, s5, _ZN3c104guts5applyIRN2at6native13BinaryFunctorIfffZZZNS3_12_GLOBAL__N_133hermite_polynomial_he_kernel_cudaERNS2_18TensorIteratorBaseEENKUlvE_clEvENKUlvE0_clEvEUlffE_EERSt5tupleIJffEEEEDaOT_OT0_@rel32@hi+12
	s_swappc_b64 s[30:31], s[4:5]
	v_mov_b32_e32 v48, v0
.LBB47_3686:
	s_or_b64 exec, exec, s[26:27]
	v_add_u32_e32 v0, 0x1e00, v101
	v_cmp_lt_i32_e32 vcc, v0, v6
                                        ; implicit-def: $vgpr38
	s_and_saveexec_b64 s[26:27], vcc
	s_cbranch_execz .LBB47_3688
; %bb.3687:
	buffer_load_dword v0, off, s[0:3], s33 offset:120
	buffer_load_dword v1, off, s[0:3], s33 offset:124
	s_getpc_b64 s[4:5]
	s_add_u32 s4, s4, _ZN3c104guts5applyIRN2at6native13BinaryFunctorIfffZZZNS3_12_GLOBAL__N_133hermite_polynomial_he_kernel_cudaERNS2_18TensorIteratorBaseEENKUlvE_clEvENKUlvE0_clEvEUlffE_EERSt5tupleIJffEEEEDaOT_OT0_@rel32@lo+4
	s_addc_u32 s5, s5, _ZN3c104guts5applyIRN2at6native13BinaryFunctorIfffZZZNS3_12_GLOBAL__N_133hermite_polynomial_he_kernel_cudaERNS2_18TensorIteratorBaseEENKUlvE_clEvENKUlvE0_clEvEUlffE_EERSt5tupleIJffEEEEDaOT_OT0_@rel32@hi+12
	s_swappc_b64 s[30:31], s[4:5]
	v_mov_b32_e32 v38, v0
.LBB47_3688:
	s_or_b64 exec, exec, s[26:27]
	v_or_b32_e32 v0, 0x2000, v101
	v_cmp_lt_i32_e32 vcc, v0, v6
                                        ; implicit-def: $vgpr36
	s_and_saveexec_b64 s[26:27], vcc
	s_cbranch_execz .LBB47_3690
; %bb.3689:
	buffer_load_dword v0, off, s[0:3], s33 offset:128
	buffer_load_dword v1, off, s[0:3], s33 offset:132
	s_getpc_b64 s[4:5]
	s_add_u32 s4, s4, _ZN3c104guts5applyIRN2at6native13BinaryFunctorIfffZZZNS3_12_GLOBAL__N_133hermite_polynomial_he_kernel_cudaERNS2_18TensorIteratorBaseEENKUlvE_clEvENKUlvE0_clEvEUlffE_EERSt5tupleIJffEEEEDaOT_OT0_@rel32@lo+4
	s_addc_u32 s5, s5, _ZN3c104guts5applyIRN2at6native13BinaryFunctorIfffZZZNS3_12_GLOBAL__N_133hermite_polynomial_he_kernel_cudaERNS2_18TensorIteratorBaseEENKUlvE_clEvENKUlvE0_clEvEUlffE_EERSt5tupleIJffEEEEDaOT_OT0_@rel32@hi+12
	s_swappc_b64 s[30:31], s[4:5]
	v_mov_b32_e32 v36, v0
.LBB47_3690:
	s_or_b64 exec, exec, s[26:27]
	v_add_u32_e32 v0, 0x2200, v101
	v_cmp_lt_i32_e32 vcc, v0, v6
                                        ; implicit-def: $vgpr34
	s_and_saveexec_b64 s[26:27], vcc
	s_cbranch_execz .LBB47_3692
; %bb.3691:
	buffer_load_dword v0, off, s[0:3], s33 offset:136
	buffer_load_dword v1, off, s[0:3], s33 offset:140
	s_getpc_b64 s[4:5]
	s_add_u32 s4, s4, _ZN3c104guts5applyIRN2at6native13BinaryFunctorIfffZZZNS3_12_GLOBAL__N_133hermite_polynomial_he_kernel_cudaERNS2_18TensorIteratorBaseEENKUlvE_clEvENKUlvE0_clEvEUlffE_EERSt5tupleIJffEEEEDaOT_OT0_@rel32@lo+4
	s_addc_u32 s5, s5, _ZN3c104guts5applyIRN2at6native13BinaryFunctorIfffZZZNS3_12_GLOBAL__N_133hermite_polynomial_he_kernel_cudaERNS2_18TensorIteratorBaseEENKUlvE_clEvENKUlvE0_clEvEUlffE_EERSt5tupleIJffEEEEDaOT_OT0_@rel32@hi+12
	s_swappc_b64 s[30:31], s[4:5]
	v_mov_b32_e32 v34, v0
.LBB47_3692:
	s_or_b64 exec, exec, s[26:27]
	v_or_b32_e32 v0, 0x2400, v101
	v_cmp_lt_i32_e32 vcc, v0, v6
                                        ; implicit-def: $vgpr32
	s_and_saveexec_b64 s[26:27], vcc
	s_cbranch_execz .LBB47_3694
; %bb.3693:
	buffer_load_dword v0, off, s[0:3], s33 offset:144
	buffer_load_dword v1, off, s[0:3], s33 offset:148
	s_getpc_b64 s[4:5]
	s_add_u32 s4, s4, _ZN3c104guts5applyIRN2at6native13BinaryFunctorIfffZZZNS3_12_GLOBAL__N_133hermite_polynomial_he_kernel_cudaERNS2_18TensorIteratorBaseEENKUlvE_clEvENKUlvE0_clEvEUlffE_EERSt5tupleIJffEEEEDaOT_OT0_@rel32@lo+4
	s_addc_u32 s5, s5, _ZN3c104guts5applyIRN2at6native13BinaryFunctorIfffZZZNS3_12_GLOBAL__N_133hermite_polynomial_he_kernel_cudaERNS2_18TensorIteratorBaseEENKUlvE_clEvENKUlvE0_clEvEUlffE_EERSt5tupleIJffEEEEDaOT_OT0_@rel32@hi+12
	s_swappc_b64 s[30:31], s[4:5]
	v_mov_b32_e32 v32, v0
.LBB47_3694:
	s_or_b64 exec, exec, s[26:27]
	v_add_u32_e32 v0, 0x2600, v101
	v_cmp_lt_i32_e32 vcc, v0, v6
                                        ; implicit-def: $vgpr30
	s_and_saveexec_b64 s[26:27], vcc
	s_cbranch_execz .LBB47_3696
; %bb.3695:
	buffer_load_dword v0, off, s[0:3], s33 offset:152
	buffer_load_dword v1, off, s[0:3], s33 offset:156
	s_getpc_b64 s[4:5]
	s_add_u32 s4, s4, _ZN3c104guts5applyIRN2at6native13BinaryFunctorIfffZZZNS3_12_GLOBAL__N_133hermite_polynomial_he_kernel_cudaERNS2_18TensorIteratorBaseEENKUlvE_clEvENKUlvE0_clEvEUlffE_EERSt5tupleIJffEEEEDaOT_OT0_@rel32@lo+4
	s_addc_u32 s5, s5, _ZN3c104guts5applyIRN2at6native13BinaryFunctorIfffZZZNS3_12_GLOBAL__N_133hermite_polynomial_he_kernel_cudaERNS2_18TensorIteratorBaseEENKUlvE_clEvENKUlvE0_clEvEUlffE_EERSt5tupleIJffEEEEDaOT_OT0_@rel32@hi+12
	s_swappc_b64 s[30:31], s[4:5]
	v_mov_b32_e32 v30, v0
.LBB47_3696:
	s_or_b64 exec, exec, s[26:27]
	v_or_b32_e32 v0, 0x2800, v101
	v_cmp_lt_i32_e32 vcc, v0, v6
                                        ; implicit-def: $vgpr28
	s_and_saveexec_b64 s[26:27], vcc
	s_cbranch_execz .LBB47_3698
; %bb.3697:
	buffer_load_dword v0, off, s[0:3], s33 offset:160
	buffer_load_dword v1, off, s[0:3], s33 offset:164
	s_getpc_b64 s[4:5]
	s_add_u32 s4, s4, _ZN3c104guts5applyIRN2at6native13BinaryFunctorIfffZZZNS3_12_GLOBAL__N_133hermite_polynomial_he_kernel_cudaERNS2_18TensorIteratorBaseEENKUlvE_clEvENKUlvE0_clEvEUlffE_EERSt5tupleIJffEEEEDaOT_OT0_@rel32@lo+4
	s_addc_u32 s5, s5, _ZN3c104guts5applyIRN2at6native13BinaryFunctorIfffZZZNS3_12_GLOBAL__N_133hermite_polynomial_he_kernel_cudaERNS2_18TensorIteratorBaseEENKUlvE_clEvENKUlvE0_clEvEUlffE_EERSt5tupleIJffEEEEDaOT_OT0_@rel32@hi+12
	s_swappc_b64 s[30:31], s[4:5]
	v_mov_b32_e32 v28, v0
.LBB47_3698:
	s_or_b64 exec, exec, s[26:27]
	v_add_u32_e32 v0, 0x2a00, v101
	v_cmp_lt_i32_e32 vcc, v0, v6
                                        ; implicit-def: $vgpr26
	s_and_saveexec_b64 s[26:27], vcc
	s_cbranch_execz .LBB47_3700
; %bb.3699:
	buffer_load_dword v0, off, s[0:3], s33 offset:168
	buffer_load_dword v1, off, s[0:3], s33 offset:172
	s_getpc_b64 s[4:5]
	s_add_u32 s4, s4, _ZN3c104guts5applyIRN2at6native13BinaryFunctorIfffZZZNS3_12_GLOBAL__N_133hermite_polynomial_he_kernel_cudaERNS2_18TensorIteratorBaseEENKUlvE_clEvENKUlvE0_clEvEUlffE_EERSt5tupleIJffEEEEDaOT_OT0_@rel32@lo+4
	s_addc_u32 s5, s5, _ZN3c104guts5applyIRN2at6native13BinaryFunctorIfffZZZNS3_12_GLOBAL__N_133hermite_polynomial_he_kernel_cudaERNS2_18TensorIteratorBaseEENKUlvE_clEvENKUlvE0_clEvEUlffE_EERSt5tupleIJffEEEEDaOT_OT0_@rel32@hi+12
	s_swappc_b64 s[30:31], s[4:5]
	v_mov_b32_e32 v26, v0
.LBB47_3700:
	s_or_b64 exec, exec, s[26:27]
	v_or_b32_e32 v0, 0x2c00, v101
	v_cmp_lt_i32_e32 vcc, v0, v6
                                        ; implicit-def: $vgpr24
	s_and_saveexec_b64 s[26:27], vcc
	s_cbranch_execz .LBB47_3702
; %bb.3701:
	buffer_load_dword v0, off, s[0:3], s33 offset:176
	buffer_load_dword v1, off, s[0:3], s33 offset:180
	s_getpc_b64 s[4:5]
	s_add_u32 s4, s4, _ZN3c104guts5applyIRN2at6native13BinaryFunctorIfffZZZNS3_12_GLOBAL__N_133hermite_polynomial_he_kernel_cudaERNS2_18TensorIteratorBaseEENKUlvE_clEvENKUlvE0_clEvEUlffE_EERSt5tupleIJffEEEEDaOT_OT0_@rel32@lo+4
	s_addc_u32 s5, s5, _ZN3c104guts5applyIRN2at6native13BinaryFunctorIfffZZZNS3_12_GLOBAL__N_133hermite_polynomial_he_kernel_cudaERNS2_18TensorIteratorBaseEENKUlvE_clEvENKUlvE0_clEvEUlffE_EERSt5tupleIJffEEEEDaOT_OT0_@rel32@hi+12
	s_swappc_b64 s[30:31], s[4:5]
	v_mov_b32_e32 v24, v0
.LBB47_3702:
	s_or_b64 exec, exec, s[26:27]
	v_add_u32_e32 v0, 0x2e00, v101
	v_cmp_lt_i32_e32 vcc, v0, v6
                                        ; implicit-def: $vgpr22
	s_and_saveexec_b64 s[26:27], vcc
	s_cbranch_execz .LBB47_3704
; %bb.3703:
	buffer_load_dword v0, off, s[0:3], s33 offset:184
	buffer_load_dword v1, off, s[0:3], s33 offset:188
	s_getpc_b64 s[4:5]
	s_add_u32 s4, s4, _ZN3c104guts5applyIRN2at6native13BinaryFunctorIfffZZZNS3_12_GLOBAL__N_133hermite_polynomial_he_kernel_cudaERNS2_18TensorIteratorBaseEENKUlvE_clEvENKUlvE0_clEvEUlffE_EERSt5tupleIJffEEEEDaOT_OT0_@rel32@lo+4
	s_addc_u32 s5, s5, _ZN3c104guts5applyIRN2at6native13BinaryFunctorIfffZZZNS3_12_GLOBAL__N_133hermite_polynomial_he_kernel_cudaERNS2_18TensorIteratorBaseEENKUlvE_clEvENKUlvE0_clEvEUlffE_EERSt5tupleIJffEEEEDaOT_OT0_@rel32@hi+12
	s_swappc_b64 s[30:31], s[4:5]
	v_mov_b32_e32 v22, v0
.LBB47_3704:
	s_or_b64 exec, exec, s[26:27]
	v_or_b32_e32 v0, 0x3000, v101
	v_cmp_lt_i32_e32 vcc, v0, v6
                                        ; implicit-def: $vgpr20
	s_and_saveexec_b64 s[26:27], vcc
	s_cbranch_execz .LBB47_3706
; %bb.3705:
	buffer_load_dword v0, off, s[0:3], s33 offset:192
	buffer_load_dword v1, off, s[0:3], s33 offset:196
	s_getpc_b64 s[4:5]
	s_add_u32 s4, s4, _ZN3c104guts5applyIRN2at6native13BinaryFunctorIfffZZZNS3_12_GLOBAL__N_133hermite_polynomial_he_kernel_cudaERNS2_18TensorIteratorBaseEENKUlvE_clEvENKUlvE0_clEvEUlffE_EERSt5tupleIJffEEEEDaOT_OT0_@rel32@lo+4
	s_addc_u32 s5, s5, _ZN3c104guts5applyIRN2at6native13BinaryFunctorIfffZZZNS3_12_GLOBAL__N_133hermite_polynomial_he_kernel_cudaERNS2_18TensorIteratorBaseEENKUlvE_clEvENKUlvE0_clEvEUlffE_EERSt5tupleIJffEEEEDaOT_OT0_@rel32@hi+12
	s_swappc_b64 s[30:31], s[4:5]
	v_mov_b32_e32 v20, v0
.LBB47_3706:
	s_or_b64 exec, exec, s[26:27]
	v_add_u32_e32 v0, 0x3200, v101
	v_cmp_lt_i32_e32 vcc, v0, v6
                                        ; implicit-def: $vgpr18
	s_and_saveexec_b64 s[26:27], vcc
	s_cbranch_execz .LBB47_3708
; %bb.3707:
	buffer_load_dword v0, off, s[0:3], s33 offset:200
	buffer_load_dword v1, off, s[0:3], s33 offset:204
	s_getpc_b64 s[4:5]
	s_add_u32 s4, s4, _ZN3c104guts5applyIRN2at6native13BinaryFunctorIfffZZZNS3_12_GLOBAL__N_133hermite_polynomial_he_kernel_cudaERNS2_18TensorIteratorBaseEENKUlvE_clEvENKUlvE0_clEvEUlffE_EERSt5tupleIJffEEEEDaOT_OT0_@rel32@lo+4
	s_addc_u32 s5, s5, _ZN3c104guts5applyIRN2at6native13BinaryFunctorIfffZZZNS3_12_GLOBAL__N_133hermite_polynomial_he_kernel_cudaERNS2_18TensorIteratorBaseEENKUlvE_clEvENKUlvE0_clEvEUlffE_EERSt5tupleIJffEEEEDaOT_OT0_@rel32@hi+12
	s_swappc_b64 s[30:31], s[4:5]
	v_mov_b32_e32 v18, v0
.LBB47_3708:
	s_or_b64 exec, exec, s[26:27]
	v_or_b32_e32 v0, 0x3400, v101
	v_cmp_lt_i32_e32 vcc, v0, v6
                                        ; implicit-def: $vgpr16
	s_and_saveexec_b64 s[26:27], vcc
	s_cbranch_execz .LBB47_3710
; %bb.3709:
	buffer_load_dword v0, off, s[0:3], s33 offset:208
	buffer_load_dword v1, off, s[0:3], s33 offset:212
	s_getpc_b64 s[4:5]
	s_add_u32 s4, s4, _ZN3c104guts5applyIRN2at6native13BinaryFunctorIfffZZZNS3_12_GLOBAL__N_133hermite_polynomial_he_kernel_cudaERNS2_18TensorIteratorBaseEENKUlvE_clEvENKUlvE0_clEvEUlffE_EERSt5tupleIJffEEEEDaOT_OT0_@rel32@lo+4
	s_addc_u32 s5, s5, _ZN3c104guts5applyIRN2at6native13BinaryFunctorIfffZZZNS3_12_GLOBAL__N_133hermite_polynomial_he_kernel_cudaERNS2_18TensorIteratorBaseEENKUlvE_clEvENKUlvE0_clEvEUlffE_EERSt5tupleIJffEEEEDaOT_OT0_@rel32@hi+12
	s_swappc_b64 s[30:31], s[4:5]
	v_mov_b32_e32 v16, v0
.LBB47_3710:
	s_or_b64 exec, exec, s[26:27]
	v_add_u32_e32 v0, 0x3600, v101
	v_cmp_lt_i32_e32 vcc, v0, v6
                                        ; implicit-def: $vgpr14
	s_and_saveexec_b64 s[26:27], vcc
	s_cbranch_execz .LBB47_3712
; %bb.3711:
	buffer_load_dword v0, off, s[0:3], s33 offset:216
	buffer_load_dword v1, off, s[0:3], s33 offset:220
	s_getpc_b64 s[4:5]
	s_add_u32 s4, s4, _ZN3c104guts5applyIRN2at6native13BinaryFunctorIfffZZZNS3_12_GLOBAL__N_133hermite_polynomial_he_kernel_cudaERNS2_18TensorIteratorBaseEENKUlvE_clEvENKUlvE0_clEvEUlffE_EERSt5tupleIJffEEEEDaOT_OT0_@rel32@lo+4
	s_addc_u32 s5, s5, _ZN3c104guts5applyIRN2at6native13BinaryFunctorIfffZZZNS3_12_GLOBAL__N_133hermite_polynomial_he_kernel_cudaERNS2_18TensorIteratorBaseEENKUlvE_clEvENKUlvE0_clEvEUlffE_EERSt5tupleIJffEEEEDaOT_OT0_@rel32@hi+12
	s_swappc_b64 s[30:31], s[4:5]
	v_mov_b32_e32 v14, v0
.LBB47_3712:
	s_or_b64 exec, exec, s[26:27]
	v_or_b32_e32 v0, 0x3800, v101
	v_cmp_lt_i32_e32 vcc, v0, v6
                                        ; implicit-def: $vgpr112
	s_and_saveexec_b64 s[26:27], vcc
	s_cbranch_execz .LBB47_3714
; %bb.3713:
	buffer_load_dword v0, off, s[0:3], s33 offset:224
	buffer_load_dword v1, off, s[0:3], s33 offset:228
	s_getpc_b64 s[4:5]
	s_add_u32 s4, s4, _ZN3c104guts5applyIRN2at6native13BinaryFunctorIfffZZZNS3_12_GLOBAL__N_133hermite_polynomial_he_kernel_cudaERNS2_18TensorIteratorBaseEENKUlvE_clEvENKUlvE0_clEvEUlffE_EERSt5tupleIJffEEEEDaOT_OT0_@rel32@lo+4
	s_addc_u32 s5, s5, _ZN3c104guts5applyIRN2at6native13BinaryFunctorIfffZZZNS3_12_GLOBAL__N_133hermite_polynomial_he_kernel_cudaERNS2_18TensorIteratorBaseEENKUlvE_clEvENKUlvE0_clEvEUlffE_EERSt5tupleIJffEEEEDaOT_OT0_@rel32@hi+12
	s_swappc_b64 s[30:31], s[4:5]
	v_mov_b32_e32 v112, v0
.LBB47_3714:
	s_or_b64 exec, exec, s[26:27]
	v_add_u32_e32 v0, 0x3a00, v101
	v_cmp_lt_i32_e32 vcc, v0, v6
                                        ; implicit-def: $vgpr102
	s_and_saveexec_b64 s[26:27], vcc
	s_cbranch_execz .LBB47_3716
; %bb.3715:
	buffer_load_dword v0, off, s[0:3], s33 offset:232
	buffer_load_dword v1, off, s[0:3], s33 offset:236
	s_getpc_b64 s[4:5]
	s_add_u32 s4, s4, _ZN3c104guts5applyIRN2at6native13BinaryFunctorIfffZZZNS3_12_GLOBAL__N_133hermite_polynomial_he_kernel_cudaERNS2_18TensorIteratorBaseEENKUlvE_clEvENKUlvE0_clEvEUlffE_EERSt5tupleIJffEEEEDaOT_OT0_@rel32@lo+4
	s_addc_u32 s5, s5, _ZN3c104guts5applyIRN2at6native13BinaryFunctorIfffZZZNS3_12_GLOBAL__N_133hermite_polynomial_he_kernel_cudaERNS2_18TensorIteratorBaseEENKUlvE_clEvENKUlvE0_clEvEUlffE_EERSt5tupleIJffEEEEDaOT_OT0_@rel32@hi+12
	s_swappc_b64 s[30:31], s[4:5]
	v_mov_b32_e32 v102, v0
.LBB47_3716:
	s_or_b64 exec, exec, s[26:27]
	v_or_b32_e32 v0, 0x3c00, v101
	v_cmp_lt_i32_e32 vcc, v0, v6
                                        ; implicit-def: $vgpr8
	s_and_saveexec_b64 s[26:27], vcc
	s_cbranch_execz .LBB47_3718
; %bb.3717:
	buffer_load_dword v0, off, s[0:3], s33 offset:240
	buffer_load_dword v1, off, s[0:3], s33 offset:244
	s_getpc_b64 s[4:5]
	s_add_u32 s4, s4, _ZN3c104guts5applyIRN2at6native13BinaryFunctorIfffZZZNS3_12_GLOBAL__N_133hermite_polynomial_he_kernel_cudaERNS2_18TensorIteratorBaseEENKUlvE_clEvENKUlvE0_clEvEUlffE_EERSt5tupleIJffEEEEDaOT_OT0_@rel32@lo+4
	s_addc_u32 s5, s5, _ZN3c104guts5applyIRN2at6native13BinaryFunctorIfffZZZNS3_12_GLOBAL__N_133hermite_polynomial_he_kernel_cudaERNS2_18TensorIteratorBaseEENKUlvE_clEvENKUlvE0_clEvEUlffE_EERSt5tupleIJffEEEEDaOT_OT0_@rel32@hi+12
	s_swappc_b64 s[30:31], s[4:5]
	v_mov_b32_e32 v8, v0
.LBB47_3718:
	s_or_b64 exec, exec, s[26:27]
	v_add_u32_e32 v0, 0x3e00, v101
	v_cmp_lt_i32_e32 vcc, v0, v6
                                        ; implicit-def: $vgpr0
	s_and_saveexec_b64 s[26:27], vcc
	s_cbranch_execz .LBB47_3720
; %bb.3719:
	buffer_load_dword v0, off, s[0:3], s33 offset:248
	buffer_load_dword v1, off, s[0:3], s33 offset:252
	s_getpc_b64 s[4:5]
	s_add_u32 s4, s4, _ZN3c104guts5applyIRN2at6native13BinaryFunctorIfffZZZNS3_12_GLOBAL__N_133hermite_polynomial_he_kernel_cudaERNS2_18TensorIteratorBaseEENKUlvE_clEvENKUlvE0_clEvEUlffE_EERSt5tupleIJffEEEEDaOT_OT0_@rel32@lo+4
	s_addc_u32 s5, s5, _ZN3c104guts5applyIRN2at6native13BinaryFunctorIfffZZZNS3_12_GLOBAL__N_133hermite_polynomial_he_kernel_cudaERNS2_18TensorIteratorBaseEENKUlvE_clEvENKUlvE0_clEvEUlffE_EERSt5tupleIJffEEEEDaOT_OT0_@rel32@hi+12
	s_swappc_b64 s[30:31], s[4:5]
.LBB47_3720:
	s_or_b64 exec, exec, s[26:27]
	s_mov_b64 s[10:11], -1
	s_mov_b64 s[12:13], 0
	s_mov_b64 s[6:7], 0
	s_and_saveexec_b64 s[4:5], s[20:21]
	s_xor_b64 s[8:9], exec, s[4:5]
	s_cbranch_execz .LBB47_3846
; %bb.3721:
	v_readlane_b32 s4, v44, 1
	v_or_b32_e32 v1, s4, v101
	v_mul_lo_u32 v1, v1, v12
	v_add_co_u32_e32 v2, vcc, v114, v1
	v_mov_b32_e32 v1, 10
	v_addc_co_u32_e32 v3, vcc, 0, v13, vcc
	v_cmp_gt_i16_sdwa s[6:7], v11, v1 src0_sel:BYTE_0 src1_sel:DWORD
	s_mov_b64 s[4:5], 0
	s_mov_b64 s[10:11], 0
	s_and_saveexec_b64 s[14:15], s[6:7]
	s_xor_b64 s[6:7], exec, s[14:15]
	s_cbranch_execz .LBB47_3803
; %bb.3722:
	v_mov_b32_e32 v1, 25
	v_cmp_gt_i16_sdwa s[14:15], v11, v1 src0_sel:BYTE_0 src1_sel:DWORD
	s_and_saveexec_b64 s[16:17], s[14:15]
	s_xor_b64 s[14:15], exec, s[16:17]
	s_cbranch_execz .LBB47_3758
; %bb.3723:
	v_mov_b32_e32 v1, 28
	v_cmp_gt_i16_sdwa s[10:11], v11, v1 src0_sel:BYTE_0 src1_sel:DWORD
	s_mov_b64 s[16:17], 0
	s_and_saveexec_b64 s[18:19], s[10:11]
	s_xor_b64 s[10:11], exec, s[18:19]
	s_cbranch_execz .LBB47_3741
; %bb.3724:
	v_mov_b32_e32 v1, 43
	v_cmp_gt_i16_sdwa s[16:17], v11, v1 src0_sel:BYTE_0 src1_sel:DWORD
	s_mov_b64 s[20:21], 0
	;; [unrolled: 7-line block ×3, first 2 shown]
	s_and_saveexec_b64 s[26:27], s[4:5]
	s_xor_b64 s[4:5], exec, s[26:27]
	s_cbranch_execz .LBB47_3729
; %bb.3726:
	v_mov_b32_e32 v1, 46
	v_cmp_eq_u16_sdwa s[28:29], v11, v1 src0_sel:BYTE_0 src1_sel:DWORD
	s_mov_b64 s[26:27], -1
	s_and_saveexec_b64 s[20:21], s[28:29]
	s_cbranch_execz .LBB47_3728
; %bb.3727:
	v_bfe_u32 v1, v100, 16, 1
	s_movk_i32 s26, 0x7fff
	v_add3_u32 v1, v100, v1, s26
	v_lshrrev_b32_e32 v1, 16, v1
	v_mov_b32_e32 v4, 0x7fc0
	v_cmp_o_f32_e32 vcc, v100, v100
	v_cndmask_b32_e32 v1, v4, v1, vcc
	s_mov_b64 s[18:19], exec
	flat_store_dword v[2:3], v1
	s_xor_b64 s[26:27], exec, -1
.LBB47_3728:
	s_or_b64 exec, exec, s[20:21]
	s_and_b64 s[20:21], s[26:27], exec
	s_and_b64 s[18:19], s[18:19], exec
                                        ; implicit-def: $vgpr2_vgpr3
                                        ; implicit-def: $vgpr100
.LBB47_3729:
	s_andn2_saveexec_b64 s[26:27], s[4:5]
	s_cbranch_execz .LBB47_3735
; %bb.3730:
	v_mov_b32_e32 v1, 44
	v_cmp_eq_u16_sdwa s[30:31], v11, v1 src0_sel:BYTE_0 src1_sel:DWORD
	s_mov_b64 vcc, -1
	s_mov_b64 s[4:5], s[18:19]
	s_and_saveexec_b64 s[28:29], s[30:31]
	s_cbranch_execz .LBB47_3734
; %bb.3731:
	v_bfe_u32 v1, v100, 23, 8
	s_movk_i32 s4, 0xff
	v_cmp_ne_u32_e32 vcc, s4, v1
	v_mov_b32_e32 v4, 0xff
	s_and_saveexec_b64 s[30:31], vcc
; %bb.3732:
	s_mov_b32 s4, 0x3fffff
	v_and_b32_e32 v5, 0x400000, v100
	v_and_or_b32 v1, v100, s4, v1
	v_cmp_ne_u32_e32 vcc, 0, v5
	v_cmp_ne_u32_e64 s[4:5], 0, v1
	s_and_b64 s[4:5], vcc, s[4:5]
	v_lshrrev_b32_e32 v4, 23, v100
	v_cndmask_b32_e64 v1, 0, 1, s[4:5]
	v_add_u32_e32 v4, v4, v1
; %bb.3733:
	s_or_b64 exec, exec, s[30:31]
	s_xor_b64 vcc, exec, -1
	s_or_b64 s[4:5], s[18:19], exec
	flat_store_byte v[2:3], v4
.LBB47_3734:
	s_or_b64 exec, exec, s[28:29]
	s_andn2_b64 s[20:21], s[20:21], exec
	s_and_b64 s[28:29], vcc, exec
	s_andn2_b64 s[18:19], s[18:19], exec
	s_and_b64 s[4:5], s[4:5], exec
	s_or_b64 s[20:21], s[20:21], s[28:29]
	s_or_b64 s[18:19], s[18:19], s[4:5]
.LBB47_3735:
	s_or_b64 exec, exec, s[26:27]
	s_and_b64 s[20:21], s[20:21], exec
	s_and_b64 s[4:5], s[18:19], exec
                                        ; implicit-def: $vgpr100
                                        ; implicit-def: $vgpr2_vgpr3
.LBB47_3736:
	s_andn2_saveexec_b64 s[16:17], s[16:17]
	s_cbranch_execz .LBB47_3740
; %bb.3737:
	v_mov_b32_e32 v1, 29
	v_cmp_eq_u16_sdwa vcc, v11, v1 src0_sel:BYTE_0 src1_sel:DWORD
	s_mov_b64 s[28:29], -1
	s_mov_b64 s[26:27], s[4:5]
	s_and_saveexec_b64 s[18:19], vcc
	s_cbranch_execz .LBB47_3739
; %bb.3738:
	v_trunc_f32_e32 v1, v100
	v_mul_f32_e32 v4, 0x2f800000, v1
	v_floor_f32_e32 v4, v4
	v_fmac_f32_e32 v1, 0xcf800000, v4
	v_cvt_u32_f32_e32 v5, v4
	v_cvt_u32_f32_e32 v4, v1
	s_xor_b64 s[28:29], exec, -1
	s_or_b64 s[26:27], s[4:5], exec
	flat_store_dwordx2 v[2:3], v[4:5]
.LBB47_3739:
	s_or_b64 exec, exec, s[18:19]
	s_andn2_b64 s[18:19], s[20:21], exec
	s_and_b64 s[20:21], s[28:29], exec
	s_or_b64 s[20:21], s[18:19], s[20:21]
	s_andn2_b64 s[4:5], s[4:5], exec
	s_and_b64 s[18:19], s[26:27], exec
	s_or_b64 s[4:5], s[4:5], s[18:19]
.LBB47_3740:
	s_or_b64 exec, exec, s[16:17]
	s_and_b64 s[16:17], s[20:21], exec
	s_and_b64 s[4:5], s[4:5], exec
                                        ; implicit-def: $vgpr2_vgpr3
                                        ; implicit-def: $vgpr100
.LBB47_3741:
	s_andn2_saveexec_b64 s[10:11], s[10:11]
	s_cbranch_execz .LBB47_3757
; %bb.3742:
	v_mov_b32_e32 v1, 26
	v_cmp_gt_i16_sdwa s[18:19], v11, v1 src0_sel:BYTE_0 src1_sel:DWORD
	s_and_saveexec_b64 s[20:21], s[18:19]
	s_xor_b64 s[18:19], exec, s[20:21]
	s_cbranch_execz .LBB47_3748
; %bb.3743:
	v_cvt_u32_f32_e32 v1, v100
	v_mov_b32_e32 v4, 27
	v_cmp_gt_i16_sdwa s[20:21], v11, v4 src0_sel:BYTE_0 src1_sel:DWORD
	s_and_saveexec_b64 s[26:27], s[20:21]
	s_xor_b64 s[20:21], exec, s[26:27]
	s_cbranch_execz .LBB47_3745
; %bb.3744:
	flat_store_dword v[2:3], v1
                                        ; implicit-def: $vgpr2_vgpr3
                                        ; implicit-def: $vgpr1
.LBB47_3745:
	s_andn2_saveexec_b64 s[20:21], s[20:21]
	s_cbranch_execz .LBB47_3747
; %bb.3746:
	flat_store_short v[2:3], v1
.LBB47_3747:
	s_or_b64 exec, exec, s[20:21]
                                        ; implicit-def: $vgpr2_vgpr3
                                        ; implicit-def: $vgpr100
.LBB47_3748:
	s_andn2_saveexec_b64 s[18:19], s[18:19]
	s_cbranch_execz .LBB47_3756
; %bb.3749:
	v_and_b32_e32 v1, 0x7fffffff, v100
	s_mov_b32 s20, 0x43800000
	v_cmp_gt_u32_e32 vcc, s20, v1
	v_mov_b32_e32 v4, 0x80
	s_and_saveexec_b64 s[20:21], vcc
	s_cbranch_execz .LBB47_3755
; %bb.3750:
	s_mov_b32 s26, 0x3bffffff
	v_cmp_lt_u32_e32 vcc, s26, v1
	s_mov_b64 s[26:27], 0
                                        ; implicit-def: $vgpr1
	s_and_saveexec_b64 s[28:29], vcc
	s_xor_b64 s[28:29], exec, s[28:29]
	s_cbranch_execnz .LBB47_5319
; %bb.3751:
	s_or_saveexec_b64 s[28:29], s[28:29]
                                        ; implicit-def: $sgpr30
	s_xor_b64 exec, exec, s[28:29]
	s_cbranch_execnz .LBB47_5320
.LBB47_3752:
	s_or_b64 exec, exec, s[28:29]
	v_mov_b32_e32 v4, s30
	s_and_saveexec_b64 s[28:29], s[26:27]
.LBB47_3753:
	v_lshrrev_b32_e32 v4, 24, v100
	s_movk_i32 s26, 0x80
	v_and_or_b32 v4, v4, s26, v1
.LBB47_3754:
	s_or_b64 exec, exec, s[28:29]
.LBB47_3755:
	s_or_b64 exec, exec, s[20:21]
	flat_store_byte v[2:3], v4
.LBB47_3756:
	s_or_b64 exec, exec, s[18:19]
	s_or_b64 s[4:5], s[4:5], exec
.LBB47_3757:
	s_or_b64 exec, exec, s[10:11]
	s_and_b64 s[10:11], s[16:17], exec
	s_and_b64 s[4:5], s[4:5], exec
                                        ; implicit-def: $vgpr100
                                        ; implicit-def: $vgpr2_vgpr3
.LBB47_3758:
	s_andn2_saveexec_b64 s[14:15], s[14:15]
	s_cbranch_execz .LBB47_3802
; %bb.3759:
	v_mov_b32_e32 v1, 22
	v_cmp_gt_i16_sdwa s[16:17], v11, v1 src0_sel:BYTE_0 src1_sel:DWORD
	s_mov_b64 s[18:19], s[4:5]
	s_and_saveexec_b64 s[20:21], s[16:17]
	s_xor_b64 s[16:17], exec, s[20:21]
	s_cbranch_execz .LBB47_3791
; %bb.3760:
	v_mov_b32_e32 v1, 23
	v_cmp_gt_i16_sdwa s[18:19], v11, v1 src0_sel:BYTE_0 src1_sel:DWORD
	s_and_saveexec_b64 s[20:21], s[18:19]
	s_xor_b64 s[18:19], exec, s[20:21]
	s_cbranch_execz .LBB47_3780
; %bb.3761:
	v_mov_b32_e32 v1, 24
	v_cmp_gt_i16_sdwa s[20:21], v11, v1 src0_sel:BYTE_0 src1_sel:DWORD
	s_and_saveexec_b64 s[26:27], s[20:21]
	s_xor_b64 s[20:21], exec, s[26:27]
	s_cbranch_execz .LBB47_3769
; %bb.3762:
	v_and_b32_e32 v1, 0x7fffffff, v100
	s_mov_b32 s26, 0x47800000
	v_cmp_gt_u32_e32 vcc, s26, v1
	v_mov_b32_e32 v4, 0x80
	s_and_saveexec_b64 s[26:27], vcc
	s_cbranch_execz .LBB47_3768
; %bb.3763:
	s_mov_b32 s28, 0x37ffffff
	v_cmp_lt_u32_e32 vcc, s28, v1
	s_mov_b64 s[28:29], 0
                                        ; implicit-def: $vgpr1
	s_and_saveexec_b64 s[30:31], vcc
	s_xor_b64 vcc, exec, s[30:31]
	s_cbranch_execnz .LBB47_5443
; %bb.3764:
	s_or_saveexec_b64 s[30:31], vcc
                                        ; implicit-def: $sgpr34
	s_xor_b64 exec, exec, s[30:31]
	s_cbranch_execnz .LBB47_5444
.LBB47_3765:
	s_or_b64 exec, exec, s[30:31]
	v_mov_b32_e32 v4, s34
	s_and_saveexec_b64 vcc, s[28:29]
.LBB47_3766:
	v_lshrrev_b32_e32 v4, 24, v100
	s_movk_i32 s28, 0x80
	v_and_or_b32 v4, v4, s28, v1
.LBB47_3767:
	s_or_b64 exec, exec, vcc
.LBB47_3768:
	s_or_b64 exec, exec, s[26:27]
	flat_store_byte v[2:3], v4
                                        ; implicit-def: $vgpr100
                                        ; implicit-def: $vgpr2_vgpr3
.LBB47_3769:
	s_andn2_saveexec_b64 s[20:21], s[20:21]
	s_cbranch_execz .LBB47_3779
; %bb.3770:
	v_and_b32_e32 v4, 0x7fffffff, v100
	s_mov_b32 s26, 0x43f00000
	v_cmp_gt_u32_e32 vcc, s26, v4
                                        ; implicit-def: $vgpr1
	s_and_saveexec_b64 s[26:27], vcc
	s_xor_b64 s[26:27], exec, s[26:27]
	s_cbranch_execz .LBB47_3776
; %bb.3771:
	s_mov_b32 s28, 0x3c7fffff
	v_cmp_lt_u32_e32 vcc, s28, v4
                                        ; implicit-def: $vgpr1
	s_and_saveexec_b64 s[28:29], vcc
	s_xor_b64 s[28:29], exec, s[28:29]
; %bb.3772:
	v_bfe_u32 v1, v100, 20, 1
	s_mov_b32 vcc_lo, 0x407ffff
	v_add3_u32 v1, v100, v1, vcc_lo
	v_lshrrev_b32_e32 v4, 20, v1
	v_and_b32_e32 v1, 0xff00000, v1
	s_mov_b32 vcc_lo, 0x7f00000
	v_mov_b32_e32 v5, 0x7e
	v_cmp_ne_u32_e32 vcc, vcc_lo, v1
	v_cndmask_b32_e32 v1, v5, v4, vcc
; %bb.3773:
	s_andn2_saveexec_b64 s[28:29], s[28:29]
; %bb.3774:
	s_mov_b32 s30, 0x46800000
	v_add_f32_e64 v1, |v100|, s30
; %bb.3775:
	s_or_b64 exec, exec, s[28:29]
                                        ; implicit-def: $vgpr4
.LBB47_3776:
	s_andn2_saveexec_b64 s[26:27], s[26:27]
; %bb.3777:
	s_mov_b32 s28, 0x7f800000
	v_mov_b32_e32 v1, 0x7e
	v_mov_b32_e32 v5, 0x7f
	v_cmp_lt_u32_e32 vcc, s28, v4
	v_cndmask_b32_e32 v1, v1, v5, vcc
; %bb.3778:
	s_or_b64 exec, exec, s[26:27]
	v_lshrrev_b32_e32 v4, 24, v100
	s_movk_i32 s26, 0x80
	v_and_or_b32 v1, v4, s26, v1
	flat_store_byte v[2:3], v1
.LBB47_3779:
	s_or_b64 exec, exec, s[20:21]
                                        ; implicit-def: $vgpr100
                                        ; implicit-def: $vgpr2_vgpr3
.LBB47_3780:
	s_andn2_saveexec_b64 s[18:19], s[18:19]
	s_cbranch_execz .LBB47_3790
; %bb.3781:
	v_and_b32_e32 v4, 0x7fffffff, v100
	s_mov_b32 s20, 0x47800000
	v_cmp_gt_u32_e32 vcc, s20, v4
                                        ; implicit-def: $vgpr1
	s_and_saveexec_b64 s[20:21], vcc
	s_xor_b64 s[20:21], exec, s[20:21]
	s_cbranch_execz .LBB47_3787
; %bb.3782:
	s_mov_b32 s26, 0x387fffff
	v_cmp_lt_u32_e32 vcc, s26, v4
                                        ; implicit-def: $vgpr1
	s_and_saveexec_b64 s[26:27], vcc
	s_xor_b64 s[26:27], exec, s[26:27]
; %bb.3783:
	v_bfe_u32 v1, v100, 21, 1
	s_mov_b32 s28, 0x80fffff
	v_add3_u32 v1, v100, v1, s28
	v_lshrrev_b32_e32 v1, 21, v1
; %bb.3784:
	s_andn2_saveexec_b64 s[26:27], s[26:27]
; %bb.3785:
	s_mov_b32 s28, 0x43000000
	v_add_f32_e64 v1, |v100|, s28
; %bb.3786:
	s_or_b64 exec, exec, s[26:27]
                                        ; implicit-def: $vgpr4
.LBB47_3787:
	s_andn2_saveexec_b64 s[20:21], s[20:21]
; %bb.3788:
	s_mov_b32 s26, 0x7f800000
	v_mov_b32_e32 v1, 0x7c
	v_mov_b32_e32 v5, 0x7f
	v_cmp_lt_u32_e32 vcc, s26, v4
	v_cndmask_b32_e32 v1, v1, v5, vcc
; %bb.3789:
	s_or_b64 exec, exec, s[20:21]
	v_lshrrev_b32_e32 v4, 24, v100
	s_movk_i32 s20, 0x80
	v_and_or_b32 v1, v4, s20, v1
	flat_store_byte v[2:3], v1
.LBB47_3790:
	s_or_b64 exec, exec, s[18:19]
	s_or_b64 s[18:19], s[4:5], exec
                                        ; implicit-def: $vgpr100
                                        ; implicit-def: $vgpr2_vgpr3
.LBB47_3791:
	s_or_saveexec_b64 s[16:17], s[16:17]
	s_mov_b64 s[26:27], s[10:11]
	s_xor_b64 exec, exec, s[16:17]
	s_cbranch_execz .LBB47_3801
; %bb.3792:
	v_mov_b32_e32 v1, 14
	v_cmp_gt_i16_sdwa s[28:29], v11, v1 src0_sel:BYTE_0 src1_sel:DWORD
	s_mov_b64 s[20:21], s[18:19]
	s_mov_b64 s[26:27], s[10:11]
	s_and_saveexec_b64 vcc, s[28:29]
	s_xor_b64 s[28:29], exec, vcc
	s_cbranch_execz .LBB47_3796
; %bb.3793:
	v_mov_b32_e32 v1, 15
	v_cmp_eq_u16_sdwa s[30:31], v11, v1 src0_sel:BYTE_0 src1_sel:DWORD
	s_mov_b64 s[26:27], -1
	s_mov_b64 vcc, s[18:19]
	s_and_saveexec_b64 s[20:21], s[30:31]
	s_cbranch_execz .LBB47_3795
; %bb.3794:
	v_bfe_u32 v1, v100, 16, 1
	s_movk_i32 s26, 0x7fff
	v_add3_u32 v1, v100, v1, s26
	v_lshrrev_b32_e32 v1, 16, v1
	v_mov_b32_e32 v4, 0x7fc0
	v_cmp_o_f32_e32 vcc, v100, v100
	v_cndmask_b32_e32 v1, v4, v1, vcc
	flat_store_short v[2:3], v1
	s_xor_b64 s[26:27], exec, -1
	s_or_b64 vcc, s[18:19], exec
.LBB47_3795:
	s_or_b64 exec, exec, s[20:21]
	s_andn2_b64 s[20:21], s[10:11], exec
	s_and_b64 s[26:27], s[26:27], exec
	s_or_b64 s[26:27], s[20:21], s[26:27]
	s_andn2_b64 s[20:21], s[18:19], exec
	s_and_b64 vcc, vcc, exec
	s_or_b64 s[20:21], s[20:21], vcc
                                        ; implicit-def: $vgpr100
                                        ; implicit-def: $vgpr2_vgpr3
.LBB47_3796:
	s_andn2_saveexec_b64 s[28:29], s[28:29]
	s_cbranch_execz .LBB47_3800
; %bb.3797:
	v_mov_b32_e32 v1, 11
	v_cmp_eq_u16_sdwa s[36:37], v11, v1 src0_sel:BYTE_0 src1_sel:DWORD
	s_mov_b64 s[30:31], -1
	s_mov_b64 vcc, s[20:21]
	s_and_saveexec_b64 s[34:35], s[36:37]
	s_cbranch_execz .LBB47_3799
; %bb.3798:
	v_cmp_neq_f32_e32 vcc, 0, v100
	v_cndmask_b32_e64 v1, 0, 1, vcc
	flat_store_byte v[2:3], v1
	s_xor_b64 s[30:31], exec, -1
	s_or_b64 vcc, s[20:21], exec
.LBB47_3799:
	s_or_b64 exec, exec, s[34:35]
	s_andn2_b64 s[26:27], s[26:27], exec
	s_and_b64 s[30:31], s[30:31], exec
	s_andn2_b64 s[20:21], s[20:21], exec
	s_and_b64 vcc, vcc, exec
	s_or_b64 s[26:27], s[26:27], s[30:31]
	s_or_b64 s[20:21], s[20:21], vcc
.LBB47_3800:
	s_or_b64 exec, exec, s[28:29]
	s_andn2_b64 s[28:29], s[10:11], exec
	s_and_b64 s[26:27], s[26:27], exec
	s_andn2_b64 s[18:19], s[18:19], exec
	s_and_b64 s[20:21], s[20:21], exec
	s_or_b64 s[26:27], s[28:29], s[26:27]
	s_or_b64 s[18:19], s[18:19], s[20:21]
.LBB47_3801:
	s_or_b64 exec, exec, s[16:17]
	s_andn2_b64 s[10:11], s[10:11], exec
	s_and_b64 s[16:17], s[26:27], exec
	s_or_b64 s[10:11], s[10:11], s[16:17]
	s_andn2_b64 s[4:5], s[4:5], exec
	s_and_b64 s[16:17], s[18:19], exec
	s_or_b64 s[4:5], s[4:5], s[16:17]
.LBB47_3802:
	s_or_b64 exec, exec, s[14:15]
	s_and_b64 s[10:11], s[10:11], exec
	s_and_b64 s[4:5], s[4:5], exec
                                        ; implicit-def: $vgpr100
                                        ; implicit-def: $vgpr2_vgpr3
.LBB47_3803:
	s_andn2_saveexec_b64 s[6:7], s[6:7]
	s_cbranch_execz .LBB47_3845
; %bb.3804:
	v_mov_b32_e32 v1, 4
	v_cmp_gt_i16_sdwa s[14:15], v11, v1 src0_sel:BYTE_0 src1_sel:DWORD
	s_and_saveexec_b64 s[16:17], s[14:15]
	s_xor_b64 s[14:15], exec, s[16:17]
	s_cbranch_execz .LBB47_3826
; %bb.3805:
	v_mov_b32_e32 v1, 7
	v_cmp_gt_i16_sdwa s[16:17], v11, v1 src0_sel:BYTE_0 src1_sel:DWORD
	s_and_saveexec_b64 s[18:19], s[16:17]
	s_xor_b64 s[16:17], exec, s[18:19]
	;; [unrolled: 6-line block ×4, first 2 shown]
	s_cbranch_execz .LBB47_3809
; %bb.3808:
	v_mov_b32_e32 v118, 0
	v_cvt_f64_f32_e32 v[116:117], v100
	v_mov_b32_e32 v119, v118
	flat_store_dwordx4 v[2:3], v[116:119]
                                        ; implicit-def: $vgpr100
                                        ; implicit-def: $vgpr2_vgpr3
.LBB47_3809:
	s_andn2_saveexec_b64 s[20:21], s[20:21]
	s_cbranch_execz .LBB47_3811
; %bb.3810:
	v_mov_b32_e32 v101, 0
	flat_store_dwordx2 v[2:3], v[100:101]
.LBB47_3811:
	s_or_b64 exec, exec, s[20:21]
                                        ; implicit-def: $vgpr100
                                        ; implicit-def: $vgpr2_vgpr3
.LBB47_3812:
	s_andn2_saveexec_b64 s[18:19], s[18:19]
	s_cbranch_execz .LBB47_3814
; %bb.3813:
	v_cvt_f16_f32_e32 v1, v100
	flat_store_dword v[2:3], v1
.LBB47_3814:
	s_or_b64 exec, exec, s[18:19]
                                        ; implicit-def: $vgpr100
                                        ; implicit-def: $vgpr2_vgpr3
.LBB47_3815:
	s_andn2_saveexec_b64 s[16:17], s[16:17]
	s_cbranch_execz .LBB47_3825
; %bb.3816:
	v_mov_b32_e32 v1, 5
	v_cmp_gt_i16_sdwa s[18:19], v11, v1 src0_sel:BYTE_0 src1_sel:DWORD
	s_and_saveexec_b64 s[20:21], s[18:19]
	s_xor_b64 s[18:19], exec, s[20:21]
	s_cbranch_execz .LBB47_3822
; %bb.3817:
	v_mov_b32_e32 v1, 6
	v_cmp_gt_i16_sdwa s[20:21], v11, v1 src0_sel:BYTE_0 src1_sel:DWORD
	s_and_saveexec_b64 s[26:27], s[20:21]
	s_xor_b64 s[20:21], exec, s[26:27]
	s_cbranch_execz .LBB47_3819
; %bb.3818:
	v_cvt_f64_f32_e32 v[4:5], v100
	flat_store_dwordx2 v[2:3], v[4:5]
                                        ; implicit-def: $vgpr2_vgpr3
                                        ; implicit-def: $vgpr100
.LBB47_3819:
	s_andn2_saveexec_b64 s[20:21], s[20:21]
	s_cbranch_execz .LBB47_3821
; %bb.3820:
	flat_store_dword v[2:3], v100
.LBB47_3821:
	s_or_b64 exec, exec, s[20:21]
                                        ; implicit-def: $vgpr100
                                        ; implicit-def: $vgpr2_vgpr3
.LBB47_3822:
	s_andn2_saveexec_b64 s[18:19], s[18:19]
	s_cbranch_execz .LBB47_3824
; %bb.3823:
	v_cvt_f16_f32_e32 v1, v100
	flat_store_short v[2:3], v1
.LBB47_3824:
	s_or_b64 exec, exec, s[18:19]
.LBB47_3825:
	s_or_b64 exec, exec, s[16:17]
                                        ; implicit-def: $vgpr100
                                        ; implicit-def: $vgpr2_vgpr3
.LBB47_3826:
	s_andn2_saveexec_b64 s[14:15], s[14:15]
	s_cbranch_execz .LBB47_3844
; %bb.3827:
	v_mov_b32_e32 v1, 1
	v_cmp_gt_i16_sdwa s[16:17], v11, v1 src0_sel:BYTE_0 src1_sel:DWORD
	s_and_saveexec_b64 s[18:19], s[16:17]
	s_xor_b64 s[16:17], exec, s[18:19]
	s_cbranch_execz .LBB47_3837
; %bb.3828:
	v_mov_b32_e32 v1, 2
	v_cmp_gt_i16_sdwa s[18:19], v11, v1 src0_sel:BYTE_0 src1_sel:DWORD
	s_and_saveexec_b64 s[20:21], s[18:19]
	s_xor_b64 s[18:19], exec, s[20:21]
	s_cbranch_execz .LBB47_3834
; %bb.3829:
	v_mov_b32_e32 v1, 3
	v_cmp_gt_i16_sdwa s[20:21], v11, v1 src0_sel:BYTE_0 src1_sel:DWORD
	s_and_saveexec_b64 s[26:27], s[20:21]
	s_xor_b64 s[20:21], exec, s[26:27]
	s_cbranch_execz .LBB47_3831
; %bb.3830:
	v_trunc_f32_e32 v1, v100
	s_mov_b32 s26, 0x2f800000
	v_mul_f32_e64 v4, |v1|, s26
	v_floor_f32_e32 v4, v4
	s_mov_b32 s26, 0xcf800000
	v_cvt_u32_f32_e32 v5, v4
	v_fma_f32 v4, v4, s26, |v1|
	v_cvt_u32_f32_e32 v4, v4
	v_ashrrev_i32_e32 v1, 31, v1
	v_xor_b32_e32 v5, v5, v1
                                        ; implicit-def: $vgpr100
	v_xor_b32_e32 v4, v4, v1
	v_sub_co_u32_e32 v4, vcc, v4, v1
	v_subb_co_u32_e32 v5, vcc, v5, v1, vcc
	flat_store_dwordx2 v[2:3], v[4:5]
                                        ; implicit-def: $vgpr2_vgpr3
.LBB47_3831:
	s_andn2_saveexec_b64 s[20:21], s[20:21]
	s_cbranch_execz .LBB47_3833
; %bb.3832:
	v_cvt_i32_f32_e32 v1, v100
	flat_store_dword v[2:3], v1
.LBB47_3833:
	s_or_b64 exec, exec, s[20:21]
                                        ; implicit-def: $vgpr100
                                        ; implicit-def: $vgpr2_vgpr3
.LBB47_3834:
	s_andn2_saveexec_b64 s[18:19], s[18:19]
	s_cbranch_execz .LBB47_3836
; %bb.3835:
	v_cvt_i32_f32_e32 v1, v100
	flat_store_short v[2:3], v1
.LBB47_3836:
	s_or_b64 exec, exec, s[18:19]
                                        ; implicit-def: $vgpr100
                                        ; implicit-def: $vgpr2_vgpr3
.LBB47_3837:
	s_andn2_saveexec_b64 s[16:17], s[16:17]
	s_cbranch_execz .LBB47_3843
; %bb.3838:
	v_mov_b32_e32 v1, 0
	v_cmp_gt_i16_sdwa s[18:19], v11, v1 src0_sel:BYTE_0 src1_sel:DWORD
	s_and_saveexec_b64 s[20:21], s[18:19]
	s_xor_b64 s[18:19], exec, s[20:21]
	s_cbranch_execz .LBB47_3840
; %bb.3839:
	v_cvt_i32_f32_e32 v1, v100
                                        ; implicit-def: $vgpr100
	flat_store_byte v[2:3], v1
                                        ; implicit-def: $vgpr2_vgpr3
.LBB47_3840:
	s_andn2_saveexec_b64 s[18:19], s[18:19]
	s_cbranch_execz .LBB47_3842
; %bb.3841:
	v_trunc_f32_e32 v1, v100
	s_mov_b32 s20, 0x2f800000
	v_mul_f32_e64 v4, |v1|, s20
	v_floor_f32_e32 v4, v4
	s_mov_b32 s20, 0xcf800000
	v_fma_f32 v4, v4, s20, |v1|
	v_cvt_u32_f32_e32 v4, v4
	v_ashrrev_i32_e32 v1, 31, v1
	v_xor_b32_e32 v4, v4, v1
	v_sub_u32_e32 v1, v4, v1
	flat_store_byte v[2:3], v1
.LBB47_3842:
	s_or_b64 exec, exec, s[18:19]
.LBB47_3843:
	s_or_b64 exec, exec, s[16:17]
.LBB47_3844:
	s_or_b64 exec, exec, s[14:15]
	s_or_b64 s[4:5], s[4:5], exec
.LBB47_3845:
	s_or_b64 exec, exec, s[6:7]
	s_and_b64 s[6:7], s[10:11], exec
	s_orn2_b64 s[10:11], s[4:5], exec
	v_mov_b32_e32 v101, v7
.LBB47_3846:
	s_or_b64 exec, exec, s[8:9]
	s_mov_b64 s[14:15], 0
	s_mov_b64 s[4:5], 0
                                        ; implicit-def: $vgpr4
                                        ; implicit-def: $vgpr2_vgpr3
	s_and_saveexec_b64 s[8:9], s[10:11]
	s_cbranch_execnz .LBB47_3850
; %bb.3847:
	s_or_b64 exec, exec, s[8:9]
	s_mov_b64 s[8:9], 0
	s_and_saveexec_b64 s[10:11], s[6:7]
	s_cbranch_execnz .LBB47_4783
.LBB47_3848:
	s_or_b64 exec, exec, s[10:11]
	s_and_saveexec_b64 s[6:7], s[12:13]
	s_xor_b64 s[6:7], exec, s[6:7]
	s_cbranch_execnz .LBB47_4784
.LBB47_3849:
	s_or_b64 exec, exec, s[6:7]
	s_and_saveexec_b64 s[6:7], s[14:15]
	s_cbranch_execnz .LBB47_4785
	s_branch .LBB47_4826
.LBB47_3850:
	v_cmp_lt_i32_e32 vcc, v101, v6
	s_mov_b64 s[4:5], -1
	s_mov_b64 s[10:11], s[6:7]
	s_and_saveexec_b64 s[12:13], vcc
	s_cbranch_execz .LBB47_3856
; %bb.3851:
	v_readlane_b32 s4, v44, 1
	v_add_u32_e32 v1, s4, v101
	v_mul_lo_u32 v1, v1, v12
	v_add_co_u32_e32 v2, vcc, v114, v1
	v_mov_b32_e32 v1, 10
	v_addc_co_u32_e32 v3, vcc, 0, v13, vcc
	v_cmp_gt_i16_sdwa s[10:11], v11, v1 src0_sel:BYTE_0 src1_sel:DWORD
	s_mov_b64 s[4:5], 0
	s_mov_b64 s[14:15], s[6:7]
	s_and_saveexec_b64 s[16:17], s[10:11]
	s_xor_b64 s[10:11], exec, s[16:17]
	s_cbranch_execnz .LBB47_4830
; %bb.3852:
	s_andn2_saveexec_b64 s[10:11], s[10:11]
	s_cbranch_execnz .LBB47_4911
.LBB47_3853:
	s_or_b64 exec, exec, s[10:11]
	s_mov_b64 s[16:17], 0
	s_and_saveexec_b64 s[10:11], s[4:5]
.LBB47_3854:
	s_mov_b64 s[16:17], exec
	v_add_u32_e32 v101, 0x200, v101
.LBB47_3855:
	s_or_b64 exec, exec, s[10:11]
	s_andn2_b64 s[4:5], s[6:7], exec
	s_and_b64 s[10:11], s[14:15], exec
	s_or_b64 s[10:11], s[4:5], s[10:11]
	s_orn2_b64 s[4:5], s[16:17], exec
.LBB47_3856:
	s_or_b64 exec, exec, s[12:13]
	s_mov_b64 s[16:17], 0
	s_mov_b64 s[18:19], 0
	;; [unrolled: 1-line block ×3, first 2 shown]
                                        ; implicit-def: $vgpr4
                                        ; implicit-def: $vgpr2_vgpr3
	s_and_saveexec_b64 s[12:13], s[4:5]
	s_cbranch_execz .LBB47_4782
; %bb.3857:
	v_cmp_lt_i32_e32 vcc, v101, v6
	s_mov_b64 s[18:19], -1
	s_mov_b64 s[14:15], s[10:11]
	s_and_saveexec_b64 s[16:17], vcc
	s_cbranch_execz .LBB47_3863
; %bb.3858:
	v_readlane_b32 s4, v44, 1
	v_add_u32_e32 v1, s4, v101
	v_mul_lo_u32 v1, v1, v12
	v_add_co_u32_e32 v2, vcc, v114, v1
	v_mov_b32_e32 v1, 10
	v_addc_co_u32_e32 v3, vcc, 0, v13, vcc
	v_cmp_gt_i16_sdwa s[14:15], v11, v1 src0_sel:BYTE_0 src1_sel:DWORD
	s_mov_b64 s[4:5], 0
	s_mov_b64 s[18:19], s[10:11]
	s_and_saveexec_b64 s[20:21], s[14:15]
	s_xor_b64 s[14:15], exec, s[20:21]
	s_cbranch_execnz .LBB47_4953
; %bb.3859:
	s_andn2_saveexec_b64 s[14:15], s[14:15]
	s_cbranch_execnz .LBB47_5034
.LBB47_3860:
	s_or_b64 exec, exec, s[14:15]
	s_mov_b64 s[20:21], 0
	s_and_saveexec_b64 s[14:15], s[4:5]
.LBB47_3861:
	s_mov_b64 s[20:21], exec
	v_add_u32_e32 v101, 0x200, v101
.LBB47_3862:
	s_or_b64 exec, exec, s[14:15]
	s_andn2_b64 s[4:5], s[10:11], exec
	s_and_b64 s[14:15], s[18:19], exec
	s_or_b64 s[14:15], s[4:5], s[14:15]
	s_orn2_b64 s[18:19], s[20:21], exec
.LBB47_3863:
	s_or_b64 exec, exec, s[16:17]
	s_mov_b64 s[4:5], 0
	s_mov_b64 s[20:21], 0
	;; [unrolled: 1-line block ×3, first 2 shown]
                                        ; implicit-def: $vgpr4
                                        ; implicit-def: $vgpr2_vgpr3
	s_and_saveexec_b64 s[16:17], s[18:19]
	s_cbranch_execz .LBB47_4781
; %bb.3864:
	v_cmp_lt_i32_e32 vcc, v101, v6
	s_mov_b64 s[26:27], -1
	s_mov_b64 s[18:19], s[14:15]
	s_and_saveexec_b64 s[20:21], vcc
	s_cbranch_execz .LBB47_3870
; %bb.3865:
	v_readlane_b32 s4, v44, 1
	v_add_u32_e32 v1, s4, v101
	v_mul_lo_u32 v1, v1, v12
	v_add_co_u32_e32 v2, vcc, v114, v1
	v_mov_b32_e32 v1, 10
	v_addc_co_u32_e32 v3, vcc, 0, v13, vcc
	v_cmp_gt_i16_sdwa s[18:19], v11, v1 src0_sel:BYTE_0 src1_sel:DWORD
	s_mov_b64 s[4:5], 0
	s_mov_b64 s[26:27], s[14:15]
	s_and_saveexec_b64 s[28:29], s[18:19]
	s_xor_b64 s[18:19], exec, s[28:29]
	s_cbranch_execnz .LBB47_5075
; %bb.3866:
	s_andn2_saveexec_b64 s[18:19], s[18:19]
	s_cbranch_execnz .LBB47_5156
.LBB47_3867:
	s_or_b64 exec, exec, s[18:19]
	s_mov_b64 s[28:29], 0
	s_and_saveexec_b64 s[18:19], s[4:5]
.LBB47_3868:
	s_mov_b64 s[28:29], exec
	v_add_u32_e32 v101, 0x200, v101
.LBB47_3869:
	s_or_b64 exec, exec, s[18:19]
	s_andn2_b64 s[4:5], s[14:15], exec
	s_and_b64 s[18:19], s[26:27], exec
	s_or_b64 s[18:19], s[4:5], s[18:19]
	s_orn2_b64 s[26:27], s[28:29], exec
.LBB47_3870:
	s_or_b64 exec, exec, s[20:21]
	s_mov_b64 s[4:5], 0
	s_mov_b64 s[28:29], 0
	;; [unrolled: 1-line block ×3, first 2 shown]
                                        ; implicit-def: $vgpr4
                                        ; implicit-def: $vgpr2_vgpr3
	s_and_saveexec_b64 s[20:21], s[26:27]
	s_cbranch_execz .LBB47_4780
; %bb.3871:
	v_cmp_lt_i32_e32 vcc, v101, v6
	s_mov_b64 s[4:5], -1
	s_mov_b64 s[26:27], s[18:19]
	s_and_saveexec_b64 s[28:29], vcc
	s_cbranch_execz .LBB47_3877
; %bb.3872:
	v_readlane_b32 s4, v44, 1
	v_add_u32_e32 v1, s4, v101
	v_mul_lo_u32 v1, v1, v12
	v_add_co_u32_e32 v2, vcc, v114, v1
	v_mov_b32_e32 v1, 10
	v_addc_co_u32_e32 v3, vcc, 0, v13, vcc
	v_cmp_gt_i16_sdwa s[26:27], v11, v1 src0_sel:BYTE_0 src1_sel:DWORD
	s_mov_b64 s[4:5], 0
	s_mov_b64 s[30:31], s[18:19]
	s_and_saveexec_b64 vcc, s[26:27]
	s_xor_b64 s[26:27], exec, vcc
	s_cbranch_execnz .LBB47_5197
; %bb.3873:
	s_andn2_saveexec_b64 s[26:27], s[26:27]
	s_cbranch_execnz .LBB47_5278
.LBB47_3874:
	s_or_b64 exec, exec, s[26:27]
	s_mov_b64 vcc, 0
	s_and_saveexec_b64 s[26:27], s[4:5]
.LBB47_3875:
	s_mov_b64 vcc, exec
	v_add_u32_e32 v101, 0x200, v101
.LBB47_3876:
	s_or_b64 exec, exec, s[26:27]
	s_andn2_b64 s[4:5], s[18:19], exec
	s_and_b64 s[26:27], s[30:31], exec
	s_or_b64 s[26:27], s[4:5], s[26:27]
	s_orn2_b64 s[4:5], vcc, exec
.LBB47_3877:
	s_or_b64 exec, exec, s[28:29]
	s_mov_b64 vcc, 0
	s_mov_b64 s[30:31], 0
	s_mov_b64 s[34:35], 0
                                        ; implicit-def: $vgpr4
                                        ; implicit-def: $vgpr2_vgpr3
	s_and_saveexec_b64 s[28:29], s[4:5]
	s_cbranch_execz .LBB47_4779
; %bb.3878:
	v_cmp_lt_i32_e32 vcc, v101, v6
	s_mov_b64 s[34:35], -1
	s_mov_b64 s[4:5], s[26:27]
	s_and_saveexec_b64 s[30:31], vcc
	s_cbranch_execz .LBB47_3884
; %bb.3879:
	v_readlane_b32 s4, v44, 1
	v_add_u32_e32 v1, s4, v101
	v_mul_lo_u32 v1, v1, v12
	v_add_co_u32_e32 v2, vcc, v114, v1
	v_addc_co_u32_e32 v3, vcc, 0, v13, vcc
	v_mov_b32_e32 v1, 10
	v_cmp_gt_i16_sdwa vcc, v11, v1 src0_sel:BYTE_0 src1_sel:DWORD
	s_mov_b64 s[4:5], 0
	s_mov_b64 s[36:37], s[26:27]
	s_and_saveexec_b64 s[34:35], vcc
	s_xor_b64 s[34:35], exec, s[34:35]
	s_cbranch_execnz .LBB47_5321
; %bb.3880:
	s_andn2_saveexec_b64 s[34:35], s[34:35]
	s_cbranch_execnz .LBB47_5402
.LBB47_3881:
	s_or_b64 exec, exec, s[34:35]
	s_mov_b64 vcc, 0
	s_and_saveexec_b64 s[34:35], s[4:5]
.LBB47_3882:
	s_mov_b64 vcc, exec
	v_add_u32_e32 v101, 0x200, v101
.LBB47_3883:
	s_or_b64 exec, exec, s[34:35]
	s_andn2_b64 s[4:5], s[26:27], exec
	s_and_b64 s[34:35], s[36:37], exec
	s_or_b64 s[4:5], s[4:5], s[34:35]
	s_orn2_b64 s[34:35], vcc, exec
.LBB47_3884:
	s_or_b64 exec, exec, s[30:31]
	s_mov_b64 vcc, 0
	s_mov_b64 s[36:37], 0
	s_mov_b64 s[38:39], 0
                                        ; implicit-def: $vgpr4
                                        ; implicit-def: $vgpr2_vgpr3
	s_and_saveexec_b64 s[30:31], s[34:35]
	s_cbranch_execz .LBB47_4778
; %bb.3885:
	v_cmp_lt_i32_e32 vcc, v101, v6
	s_mov_b64 s[38:39], -1
	s_mov_b64 s[34:35], s[4:5]
	s_and_saveexec_b64 s[36:37], vcc
	s_cbranch_execz .LBB47_3891
; %bb.3886:
	v_readlane_b32 vcc_lo, v44, 1
	v_add_u32_e32 v1, vcc_lo, v101
	v_mul_lo_u32 v1, v1, v12
	v_add_co_u32_e32 v2, vcc, v114, v1
	v_addc_co_u32_e32 v3, vcc, 0, v13, vcc
	v_mov_b32_e32 v1, 10
	v_cmp_gt_i16_sdwa vcc, v11, v1 src0_sel:BYTE_0 src1_sel:DWORD
	s_mov_b64 s[38:39], 0
	s_mov_b64 s[40:41], s[4:5]
	s_and_saveexec_b64 s[34:35], vcc
	s_xor_b64 s[34:35], exec, s[34:35]
	s_cbranch_execnz .LBB47_5445
; %bb.3887:
	s_andn2_saveexec_b64 s[34:35], s[34:35]
	s_cbranch_execnz .LBB47_5526
.LBB47_3888:
	s_or_b64 exec, exec, s[34:35]
	s_mov_b64 vcc, 0
	s_and_saveexec_b64 s[34:35], s[38:39]
.LBB47_3889:
	s_mov_b64 vcc, exec
	v_add_u32_e32 v101, 0x200, v101
.LBB47_3890:
	s_or_b64 exec, exec, s[34:35]
	s_andn2_b64 s[34:35], s[4:5], exec
	s_and_b64 s[38:39], s[40:41], exec
	s_or_b64 s[34:35], s[34:35], s[38:39]
	s_orn2_b64 s[38:39], vcc, exec
.LBB47_3891:
	s_or_b64 exec, exec, s[36:37]
	s_mov_b64 vcc, 0
	s_mov_b64 s[42:43], 0
	s_mov_b64 s[46:47], 0
                                        ; implicit-def: $vgpr4
                                        ; implicit-def: $vgpr2_vgpr3
	s_and_saveexec_b64 s[36:37], s[38:39]
	s_cbranch_execz .LBB47_4777
; %bb.3892:
	v_cmp_lt_i32_e32 vcc, v101, v6
	s_mov_b64 s[42:43], -1
	s_mov_b64 s[38:39], s[34:35]
	s_and_saveexec_b64 s[40:41], vcc
	s_cbranch_execz .LBB47_3898
; %bb.3893:
	v_readlane_b32 vcc_lo, v44, 1
	v_add_u32_e32 v1, vcc_lo, v101
	v_mul_lo_u32 v1, v1, v12
	v_add_co_u32_e32 v2, vcc, v114, v1
	v_addc_co_u32_e32 v3, vcc, 0, v13, vcc
	v_mov_b32_e32 v1, 10
	v_cmp_gt_i16_sdwa vcc, v11, v1 src0_sel:BYTE_0 src1_sel:DWORD
	s_mov_b64 s[42:43], 0
	s_mov_b64 s[44:45], s[34:35]
	s_and_saveexec_b64 s[38:39], vcc
	s_xor_b64 s[38:39], exec, s[38:39]
	s_cbranch_execnz .LBB47_5569
; %bb.3894:
	s_andn2_saveexec_b64 s[38:39], s[38:39]
	s_cbranch_execnz .LBB47_5650
.LBB47_3895:
	s_or_b64 exec, exec, s[38:39]
	s_mov_b64 vcc, 0
	s_and_saveexec_b64 s[38:39], s[42:43]
.LBB47_3896:
	s_mov_b64 vcc, exec
	v_add_u32_e32 v101, 0x200, v101
.LBB47_3897:
	s_or_b64 exec, exec, s[38:39]
	s_andn2_b64 s[38:39], s[34:35], exec
	s_and_b64 s[42:43], s[44:45], exec
	s_or_b64 s[38:39], s[38:39], s[42:43]
	s_orn2_b64 s[42:43], vcc, exec
.LBB47_3898:
	s_or_b64 exec, exec, s[40:41]
	s_mov_b64 s[40:41], 0
	s_mov_b64 s[44:45], 0
	;; [unrolled: 1-line block ×3, first 2 shown]
                                        ; implicit-def: $vgpr4
                                        ; implicit-def: $vgpr2_vgpr3
	s_and_saveexec_b64 vcc, s[42:43]
	s_cbranch_execz .LBB47_4776
; %bb.3899:
	v_writelane_b32 v44, vcc_lo, 56
	v_writelane_b32 v44, vcc_hi, 57
	v_cmp_lt_i32_e32 vcc, v101, v6
	s_mov_b64 s[46:47], -1
	v_writelane_b32 v44, s38, 58
	v_writelane_b32 v44, s39, 59
	s_and_saveexec_b64 s[40:41], vcc
	s_cbranch_execz .LBB47_3905
; %bb.3900:
	v_readlane_b32 vcc_lo, v44, 1
	v_add_u32_e32 v1, vcc_lo, v101
	v_mul_lo_u32 v1, v1, v12
	v_add_co_u32_e32 v2, vcc, v114, v1
	v_addc_co_u32_e32 v3, vcc, 0, v13, vcc
	v_mov_b32_e32 v1, 10
	v_cmp_gt_i16_sdwa vcc, v11, v1 src0_sel:BYTE_0 src1_sel:DWORD
	s_mov_b64 s[46:47], s[38:39]
	s_and_saveexec_b64 s[42:43], vcc
	s_xor_b64 s[42:43], exec, s[42:43]
	s_cbranch_execnz .LBB47_5695
; %bb.3901:
	s_andn2_saveexec_b64 s[42:43], s[42:43]
	s_cbranch_execnz .LBB47_5776
.LBB47_3902:
	s_or_b64 exec, exec, s[42:43]
	s_mov_b64 vcc, 0
	s_and_saveexec_b64 s[42:43], s[44:45]
.LBB47_3903:
	s_mov_b64 vcc, exec
	v_add_u32_e32 v101, 0x200, v101
.LBB47_3904:
	s_or_b64 exec, exec, s[42:43]
	s_andn2_b64 s[42:43], s[38:39], exec
	s_and_b64 s[44:45], s[46:47], exec
	s_or_b64 s[42:43], s[42:43], s[44:45]
	v_writelane_b32 v44, s42, 58
	v_writelane_b32 v44, s43, 59
	s_orn2_b64 s[46:47], vcc, exec
.LBB47_3905:
	s_or_b64 exec, exec, s[40:41]
	s_mov_b64 s[42:43], 0
	s_mov_b64 s[44:45], 0
	;; [unrolled: 1-line block ×3, first 2 shown]
                                        ; implicit-def: $vgpr4
                                        ; implicit-def: $vgpr2_vgpr3
	s_and_saveexec_b64 s[40:41], s[46:47]
	v_readlane_b32 vcc_lo, v44, 56
	v_readlane_b32 vcc_hi, v44, 57
	s_cbranch_execz .LBB47_4775
; %bb.3906:
	v_writelane_b32 v44, s40, 60
	v_writelane_b32 v44, s41, 61
	v_readlane_b32 s40, v44, 58
	v_readlane_b32 s41, v44, 59
	v_cmp_lt_i32_e32 vcc, v101, v6
	s_mov_b64 s[50:51], -1
	v_writelane_b32 v44, s40, 62
	v_writelane_b32 v44, s41, 63
	s_and_saveexec_b64 s[40:41], vcc
	s_cbranch_execz .LBB47_3912
; %bb.3907:
	v_readlane_b32 vcc_lo, v44, 1
	v_add_u32_e32 v1, vcc_lo, v101
	v_mul_lo_u32 v1, v1, v12
	v_add_co_u32_e32 v2, vcc, v114, v1
	v_addc_co_u32_e32 v3, vcc, 0, v13, vcc
	v_readlane_b32 vcc_lo, v44, 58
	v_mov_b32_e32 v1, 10
	v_readlane_b32 vcc_hi, v44, 59
	v_cmp_gt_i16_sdwa s[42:43], v11, v1 src0_sel:BYTE_0 src1_sel:DWORD
	s_mov_b64 s[46:47], vcc
	s_and_saveexec_b64 s[48:49], s[42:43]
	s_xor_b64 s[42:43], exec, s[48:49]
	s_cbranch_execnz .LBB47_5821
; %bb.3908:
	s_andn2_saveexec_b64 s[42:43], s[42:43]
	s_cbranch_execnz .LBB47_5902
.LBB47_3909:
	s_or_b64 exec, exec, s[42:43]
	s_mov_b64 s[42:43], 0
	s_and_saveexec_b64 s[48:49], s[44:45]
.LBB47_3910:
	s_mov_b64 s[42:43], exec
	v_add_u32_e32 v101, 0x200, v101
.LBB47_3911:
	s_or_b64 exec, exec, s[48:49]
	s_andn2_b64 vcc, vcc, exec
	s_and_b64 s[44:45], s[46:47], exec
	s_or_b64 vcc, vcc, s[44:45]
	v_writelane_b32 v44, vcc_lo, 62
	v_writelane_b32 v44, vcc_hi, 63
	s_orn2_b64 s[50:51], s[42:43], exec
.LBB47_3912:
	s_or_b64 exec, exec, s[40:41]
	s_mov_b64 s[42:43], 0
	s_mov_b64 s[46:47], 0
	;; [unrolled: 1-line block ×3, first 2 shown]
                                        ; implicit-def: $vgpr4
                                        ; implicit-def: $vgpr2_vgpr3
	s_and_saveexec_b64 s[44:45], s[50:51]
	v_readlane_b32 vcc_lo, v44, 56
	v_readlane_b32 s40, v44, 60
	v_readlane_b32 vcc_hi, v44, 57
	v_readlane_b32 s41, v44, 61
	s_cbranch_execz .LBB47_4774
; %bb.3913:
                                        ; implicit-def: $vgpr43 : SGPR spill to VGPR lane
	v_readlane_b32 s40, v44, 62
	v_writelane_b32 v43, s44, 0
	v_writelane_b32 v43, s45, 1
	v_readlane_b32 s41, v44, 63
	v_cmp_lt_i32_e32 vcc, v101, v6
	s_mov_b64 s[44:45], -1
	v_writelane_b32 v43, s40, 2
	v_writelane_b32 v43, s41, 3
	s_and_saveexec_b64 s[40:41], vcc
	s_cbranch_execz .LBB47_3919
; %bb.3914:
	v_readlane_b32 vcc_lo, v44, 1
	v_add_u32_e32 v1, vcc_lo, v101
	v_mul_lo_u32 v1, v1, v12
	v_add_co_u32_e32 v2, vcc, v114, v1
	v_addc_co_u32_e32 v3, vcc, 0, v13, vcc
	v_readlane_b32 vcc_lo, v44, 62
	v_mov_b32_e32 v1, 10
	v_readlane_b32 vcc_hi, v44, 63
	v_cmp_gt_i16_sdwa s[42:43], v11, v1 src0_sel:BYTE_0 src1_sel:DWORD
	s_mov_b64 s[46:47], vcc
	s_and_saveexec_b64 s[44:45], s[42:43]
	s_xor_b64 s[42:43], exec, s[44:45]
	s_cbranch_execnz .LBB47_5947
; %bb.3915:
	s_andn2_saveexec_b64 s[42:43], s[42:43]
	s_cbranch_execnz .LBB47_6028
.LBB47_3916:
	s_or_b64 exec, exec, s[42:43]
	s_mov_b64 s[42:43], 0
	s_and_saveexec_b64 s[44:45], s[48:49]
.LBB47_3917:
	s_mov_b64 s[42:43], exec
	v_add_u32_e32 v101, 0x200, v101
.LBB47_3918:
	s_or_b64 exec, exec, s[44:45]
	s_andn2_b64 vcc, vcc, exec
	s_and_b64 s[44:45], s[46:47], exec
	s_or_b64 vcc, vcc, s[44:45]
	v_writelane_b32 v43, vcc_lo, 2
	v_writelane_b32 v43, vcc_hi, 3
	s_orn2_b64 s[44:45], s[42:43], exec
.LBB47_3919:
	s_or_b64 exec, exec, s[40:41]
	s_mov_b64 s[42:43], 0
	s_mov_b64 s[46:47], 0
	;; [unrolled: 1-line block ×3, first 2 shown]
                                        ; implicit-def: $vgpr4
                                        ; implicit-def: $vgpr2_vgpr3
	s_and_saveexec_b64 s[50:51], s[44:45]
	v_readlane_b32 vcc_lo, v44, 56
	v_readlane_b32 s40, v44, 60
	v_readlane_b32 s44, v43, 0
	v_readlane_b32 vcc_hi, v44, 57
	v_readlane_b32 s41, v44, 61
	v_readlane_b32 s45, v43, 1
	s_cbranch_execz .LBB47_4773
; %bb.3920:
	v_writelane_b32 v43, s50, 4
	v_writelane_b32 v43, s51, 5
	v_readlane_b32 s40, v43, 2
	v_cmp_lt_i32_e32 vcc, v101, v6
	s_mov_b64 s[48:49], -1
	v_readlane_b32 s41, v43, 3
	s_and_saveexec_b64 s[42:43], vcc
	s_cbranch_execz .LBB47_3926
; %bb.3921:
	s_mov_b64 s[44:45], s[4:5]
	v_readlane_b32 s4, v44, 1
	v_add_u32_e32 v1, s4, v101
	v_mul_lo_u32 v1, v1, v12
	v_add_co_u32_e32 v2, vcc, v114, v1
	v_addc_co_u32_e32 v3, vcc, 0, v13, vcc
	v_readlane_b32 vcc_lo, v43, 2
	v_mov_b32_e32 v1, 10
	v_readlane_b32 vcc_hi, v43, 3
	v_cmp_gt_i16_sdwa s[40:41], v11, v1 src0_sel:BYTE_0 src1_sel:DWORD
	s_mov_b64 s[4:5], 0
	s_mov_b64 s[46:47], vcc
	s_and_saveexec_b64 s[48:49], s[40:41]
	s_xor_b64 s[40:41], exec, s[48:49]
	s_cbranch_execnz .LBB47_6073
; %bb.3922:
	s_andn2_saveexec_b64 s[40:41], s[40:41]
	s_cbranch_execnz .LBB47_6154
.LBB47_3923:
	s_or_b64 exec, exec, s[40:41]
	s_mov_b64 vcc, 0
	s_and_saveexec_b64 s[40:41], s[4:5]
.LBB47_3924:
	s_mov_b64 vcc, exec
	v_add_u32_e32 v101, 0x200, v101
.LBB47_3925:
	s_or_b64 exec, exec, s[40:41]
	v_readlane_b32 s4, v43, 2
	v_readlane_b32 s5, v43, 3
	s_andn2_b64 s[4:5], s[4:5], exec
	s_and_b64 s[40:41], s[46:47], exec
	s_or_b64 s[40:41], s[4:5], s[40:41]
	s_orn2_b64 s[48:49], vcc, exec
	s_mov_b64 s[4:5], s[44:45]
.LBB47_3926:
	s_or_b64 exec, exec, s[42:43]
	s_mov_b64 vcc, 0
	s_mov_b64 s[44:45], 0
	s_mov_b64 s[46:47], 0
                                        ; implicit-def: $vgpr4
                                        ; implicit-def: $vgpr2_vgpr3
	s_and_saveexec_b64 s[42:43], s[48:49]
	s_cbranch_execz .LBB47_4772
; %bb.3927:
	v_writelane_b32 v43, s42, 6
	v_writelane_b32 v43, s43, 7
	;; [unrolled: 1-line block ×3, first 2 shown]
	v_cmp_lt_i32_e32 vcc, v101, v6
	s_mov_b64 s[46:47], -1
	s_mov_b64 s[42:43], s[40:41]
	v_writelane_b32 v43, s5, 9
	s_and_saveexec_b64 s[44:45], vcc
	s_cbranch_execz .LBB47_3933
; %bb.3928:
	v_readlane_b32 s4, v44, 1
	v_add_u32_e32 v1, s4, v101
	v_mul_lo_u32 v1, v1, v12
	v_add_co_u32_e32 v2, vcc, v114, v1
	v_addc_co_u32_e32 v3, vcc, 0, v13, vcc
	v_mov_b32_e32 v1, 10
	v_cmp_gt_i16_sdwa vcc, v11, v1 src0_sel:BYTE_0 src1_sel:DWORD
	s_mov_b64 s[4:5], 0
	s_mov_b64 s[46:47], s[40:41]
	s_and_saveexec_b64 s[42:43], vcc
	s_xor_b64 s[42:43], exec, s[42:43]
	s_cbranch_execnz .LBB47_6199
; %bb.3929:
	s_andn2_saveexec_b64 s[42:43], s[42:43]
	s_cbranch_execnz .LBB47_6280
.LBB47_3930:
	s_or_b64 exec, exec, s[42:43]
	s_mov_b64 vcc, 0
	s_and_saveexec_b64 s[42:43], s[4:5]
.LBB47_3931:
	s_mov_b64 vcc, exec
	v_add_u32_e32 v101, 0x200, v101
.LBB47_3932:
	s_or_b64 exec, exec, s[42:43]
	s_andn2_b64 s[4:5], s[40:41], exec
	s_and_b64 s[42:43], s[46:47], exec
	s_or_b64 s[42:43], s[4:5], s[42:43]
	s_orn2_b64 s[46:47], vcc, exec
.LBB47_3933:
	s_or_b64 exec, exec, s[44:45]
	s_mov_b64 s[4:5], 0
	s_mov_b64 vcc, 0
	s_mov_b64 s[48:49], 0
                                        ; implicit-def: $vgpr4
                                        ; implicit-def: $vgpr2_vgpr3
	s_and_saveexec_b64 s[44:45], s[46:47]
	s_cbranch_execz .LBB47_4771
; %bb.3934:
	v_cmp_lt_i32_e32 vcc, v101, v6
	s_mov_b64 s[50:51], -1
	s_mov_b64 s[46:47], s[42:43]
	s_and_saveexec_b64 s[48:49], vcc
	s_cbranch_execz .LBB47_3940
; %bb.3935:
	v_readlane_b32 s4, v44, 1
	v_add_u32_e32 v1, s4, v101
	v_mul_lo_u32 v1, v1, v12
	v_add_co_u32_e32 v2, vcc, v114, v1
	v_addc_co_u32_e32 v3, vcc, 0, v13, vcc
	v_mov_b32_e32 v1, 10
	v_cmp_gt_i16_sdwa vcc, v11, v1 src0_sel:BYTE_0 src1_sel:DWORD
	s_mov_b64 s[4:5], 0
	s_mov_b64 s[50:51], s[42:43]
	s_and_saveexec_b64 s[46:47], vcc
	s_xor_b64 s[46:47], exec, s[46:47]
	s_cbranch_execnz .LBB47_6325
; %bb.3936:
	s_andn2_saveexec_b64 s[46:47], s[46:47]
	s_cbranch_execnz .LBB47_6406
.LBB47_3937:
	s_or_b64 exec, exec, s[46:47]
	s_mov_b64 vcc, 0
	s_and_saveexec_b64 s[46:47], s[4:5]
.LBB47_3938:
	s_mov_b64 vcc, exec
	v_add_u32_e32 v101, 0x200, v101
.LBB47_3939:
	s_or_b64 exec, exec, s[46:47]
	s_andn2_b64 s[4:5], s[42:43], exec
	s_and_b64 s[46:47], s[50:51], exec
	s_or_b64 s[46:47], s[4:5], s[46:47]
	s_orn2_b64 s[50:51], vcc, exec
.LBB47_3940:
	s_or_b64 exec, exec, s[48:49]
	s_mov_b64 s[4:5], 0
	s_mov_b64 vcc, 0
	s_mov_b64 s[52:53], 0
                                        ; implicit-def: $vgpr4
                                        ; implicit-def: $vgpr2_vgpr3
	s_and_saveexec_b64 s[48:49], s[50:51]
	s_cbranch_execz .LBB47_4770
; %bb.3941:
	v_cmp_lt_i32_e32 vcc, v101, v6
	s_mov_b64 s[54:55], -1
	s_mov_b64 s[50:51], s[46:47]
	s_and_saveexec_b64 s[52:53], vcc
	s_cbranch_execz .LBB47_3947
; %bb.3942:
	v_readlane_b32 s4, v44, 1
	v_add_u32_e32 v1, s4, v101
	v_mul_lo_u32 v1, v1, v12
	v_add_co_u32_e32 v2, vcc, v114, v1
	v_addc_co_u32_e32 v3, vcc, 0, v13, vcc
	v_mov_b32_e32 v1, 10
	v_cmp_gt_i16_sdwa vcc, v11, v1 src0_sel:BYTE_0 src1_sel:DWORD
	s_mov_b64 s[4:5], 0
	s_mov_b64 s[54:55], s[46:47]
	s_and_saveexec_b64 s[50:51], vcc
	s_xor_b64 s[50:51], exec, s[50:51]
	s_cbranch_execnz .LBB47_6451
; %bb.3943:
	s_andn2_saveexec_b64 s[50:51], s[50:51]
	s_cbranch_execnz .LBB47_6532
.LBB47_3944:
	s_or_b64 exec, exec, s[50:51]
	s_mov_b64 vcc, 0
	s_and_saveexec_b64 s[50:51], s[4:5]
.LBB47_3945:
	s_mov_b64 vcc, exec
	v_add_u32_e32 v101, 0x200, v101
.LBB47_3946:
	s_or_b64 exec, exec, s[50:51]
	s_andn2_b64 s[4:5], s[46:47], exec
	s_and_b64 s[50:51], s[54:55], exec
	s_or_b64 s[50:51], s[4:5], s[50:51]
	s_orn2_b64 s[54:55], vcc, exec
.LBB47_3947:
	s_or_b64 exec, exec, s[52:53]
	s_mov_b64 s[4:5], 0
	s_mov_b64 vcc, 0
	s_mov_b64 s[56:57], 0
                                        ; implicit-def: $vgpr4
                                        ; implicit-def: $vgpr2_vgpr3
	s_and_saveexec_b64 s[52:53], s[54:55]
	s_cbranch_execz .LBB47_4769
; %bb.3948:
	v_cmp_lt_i32_e32 vcc, v101, v6
	s_mov_b64 s[58:59], -1
	s_mov_b64 s[54:55], s[50:51]
	s_and_saveexec_b64 s[56:57], vcc
	s_cbranch_execz .LBB47_3954
; %bb.3949:
	v_readlane_b32 s4, v44, 1
	v_add_u32_e32 v1, s4, v101
	v_mul_lo_u32 v1, v1, v12
	v_add_co_u32_e32 v2, vcc, v114, v1
	v_addc_co_u32_e32 v3, vcc, 0, v13, vcc
	v_mov_b32_e32 v1, 10
	v_cmp_gt_i16_sdwa vcc, v11, v1 src0_sel:BYTE_0 src1_sel:DWORD
	s_mov_b64 s[4:5], 0
	s_mov_b64 s[58:59], s[50:51]
	s_and_saveexec_b64 s[54:55], vcc
	s_xor_b64 s[54:55], exec, s[54:55]
	s_cbranch_execnz .LBB47_6577
; %bb.3950:
	s_andn2_saveexec_b64 s[54:55], s[54:55]
	s_cbranch_execnz .LBB47_6658
.LBB47_3951:
	s_or_b64 exec, exec, s[54:55]
	s_mov_b64 vcc, 0
	s_and_saveexec_b64 s[54:55], s[4:5]
.LBB47_3952:
	s_mov_b64 vcc, exec
	v_add_u32_e32 v101, 0x200, v101
.LBB47_3953:
	s_or_b64 exec, exec, s[54:55]
	s_andn2_b64 s[4:5], s[50:51], exec
	s_and_b64 s[54:55], s[58:59], exec
	s_or_b64 s[54:55], s[4:5], s[54:55]
	s_orn2_b64 s[58:59], vcc, exec
.LBB47_3954:
	s_or_b64 exec, exec, s[56:57]
	s_mov_b64 s[4:5], 0
	s_mov_b64 vcc, 0
	s_mov_b64 s[60:61], 0
                                        ; implicit-def: $vgpr4
                                        ; implicit-def: $vgpr2_vgpr3
	s_and_saveexec_b64 s[56:57], s[58:59]
	s_cbranch_execz .LBB47_4768
; %bb.3955:
	v_cmp_lt_i32_e32 vcc, v101, v6
	s_mov_b64 s[62:63], -1
	s_mov_b64 s[58:59], s[54:55]
	s_and_saveexec_b64 s[60:61], vcc
	s_cbranch_execz .LBB47_3961
; %bb.3956:
	v_readlane_b32 s4, v44, 1
	v_add_u32_e32 v1, s4, v101
	v_mul_lo_u32 v1, v1, v12
	v_add_co_u32_e32 v2, vcc, v114, v1
	v_addc_co_u32_e32 v3, vcc, 0, v13, vcc
	v_mov_b32_e32 v1, 10
	v_cmp_gt_i16_sdwa vcc, v11, v1 src0_sel:BYTE_0 src1_sel:DWORD
	s_mov_b64 s[4:5], 0
	s_mov_b64 s[62:63], s[54:55]
	s_and_saveexec_b64 s[58:59], vcc
	s_xor_b64 s[58:59], exec, s[58:59]
	s_cbranch_execnz .LBB47_6703
; %bb.3957:
	s_andn2_saveexec_b64 s[58:59], s[58:59]
	s_cbranch_execnz .LBB47_6784
.LBB47_3958:
	s_or_b64 exec, exec, s[58:59]
	s_mov_b64 vcc, 0
	s_and_saveexec_b64 s[58:59], s[4:5]
.LBB47_3959:
	s_mov_b64 vcc, exec
	v_add_u32_e32 v101, 0x200, v101
.LBB47_3960:
	s_or_b64 exec, exec, s[58:59]
	s_andn2_b64 s[4:5], s[54:55], exec
	s_and_b64 s[58:59], s[62:63], exec
	s_or_b64 s[58:59], s[4:5], s[58:59]
	s_orn2_b64 s[62:63], vcc, exec
.LBB47_3961:
	s_or_b64 exec, exec, s[60:61]
	s_mov_b64 s[4:5], 0
	s_mov_b64 vcc, 0
	s_mov_b64 s[64:65], 0
                                        ; implicit-def: $vgpr4
                                        ; implicit-def: $vgpr2_vgpr3
	s_and_saveexec_b64 s[60:61], s[62:63]
	s_cbranch_execz .LBB47_4767
; %bb.3962:
	v_cmp_lt_i32_e32 vcc, v101, v6
	s_mov_b64 s[66:67], -1
	s_mov_b64 s[62:63], s[58:59]
	s_and_saveexec_b64 s[64:65], vcc
	s_cbranch_execz .LBB47_3968
; %bb.3963:
	v_readlane_b32 s4, v44, 1
	v_add_u32_e32 v1, s4, v101
	v_mul_lo_u32 v1, v1, v12
	v_add_co_u32_e32 v2, vcc, v114, v1
	v_addc_co_u32_e32 v3, vcc, 0, v13, vcc
	v_mov_b32_e32 v1, 10
	v_cmp_gt_i16_sdwa vcc, v11, v1 src0_sel:BYTE_0 src1_sel:DWORD
	s_mov_b64 s[4:5], 0
	s_mov_b64 s[66:67], s[58:59]
	s_and_saveexec_b64 s[62:63], vcc
	s_xor_b64 s[62:63], exec, s[62:63]
	s_cbranch_execnz .LBB47_6829
; %bb.3964:
	s_andn2_saveexec_b64 s[62:63], s[62:63]
	s_cbranch_execnz .LBB47_6910
.LBB47_3965:
	s_or_b64 exec, exec, s[62:63]
	s_mov_b64 vcc, 0
	s_and_saveexec_b64 s[62:63], s[4:5]
.LBB47_3966:
	s_mov_b64 vcc, exec
	v_add_u32_e32 v101, 0x200, v101
.LBB47_3967:
	s_or_b64 exec, exec, s[62:63]
	s_andn2_b64 s[4:5], s[58:59], exec
	s_and_b64 s[62:63], s[66:67], exec
	s_or_b64 s[62:63], s[4:5], s[62:63]
	s_orn2_b64 s[66:67], vcc, exec
.LBB47_3968:
	s_or_b64 exec, exec, s[64:65]
	s_mov_b64 s[4:5], 0
	s_mov_b64 vcc, 0
	s_mov_b64 s[68:69], 0
                                        ; implicit-def: $vgpr4
                                        ; implicit-def: $vgpr2_vgpr3
	s_and_saveexec_b64 s[64:65], s[66:67]
	s_cbranch_execz .LBB47_4766
; %bb.3969:
	v_cmp_lt_i32_e32 vcc, v101, v6
	s_mov_b64 s[70:71], -1
	s_mov_b64 s[66:67], s[62:63]
	s_and_saveexec_b64 s[68:69], vcc
	s_cbranch_execz .LBB47_3975
; %bb.3970:
	v_readlane_b32 s4, v44, 1
	v_add_u32_e32 v1, s4, v101
	v_mul_lo_u32 v1, v1, v12
	v_add_co_u32_e32 v2, vcc, v114, v1
	v_addc_co_u32_e32 v3, vcc, 0, v13, vcc
	v_mov_b32_e32 v1, 10
	v_cmp_gt_i16_sdwa vcc, v11, v1 src0_sel:BYTE_0 src1_sel:DWORD
	s_mov_b64 s[4:5], 0
	s_mov_b64 s[70:71], s[62:63]
	s_and_saveexec_b64 s[66:67], vcc
	s_xor_b64 s[66:67], exec, s[66:67]
	s_cbranch_execnz .LBB47_6955
; %bb.3971:
	s_andn2_saveexec_b64 s[66:67], s[66:67]
	s_cbranch_execnz .LBB47_7036
.LBB47_3972:
	s_or_b64 exec, exec, s[66:67]
	s_mov_b64 vcc, 0
	s_and_saveexec_b64 s[66:67], s[4:5]
.LBB47_3973:
	s_mov_b64 vcc, exec
	v_add_u32_e32 v101, 0x200, v101
.LBB47_3974:
	s_or_b64 exec, exec, s[66:67]
	s_andn2_b64 s[4:5], s[62:63], exec
	s_and_b64 s[66:67], s[70:71], exec
	s_or_b64 s[66:67], s[4:5], s[66:67]
	s_orn2_b64 s[70:71], vcc, exec
.LBB47_3975:
	s_or_b64 exec, exec, s[68:69]
	s_mov_b64 s[4:5], 0
	s_mov_b64 vcc, 0
	s_mov_b64 s[72:73], 0
                                        ; implicit-def: $vgpr4
                                        ; implicit-def: $vgpr2_vgpr3
	s_and_saveexec_b64 s[68:69], s[70:71]
	s_cbranch_execz .LBB47_4765
; %bb.3976:
	v_cmp_lt_i32_e32 vcc, v101, v6
	s_mov_b64 s[74:75], -1
	s_mov_b64 s[70:71], s[66:67]
	s_and_saveexec_b64 s[72:73], vcc
	s_cbranch_execz .LBB47_3982
; %bb.3977:
	v_readlane_b32 s4, v44, 1
	v_add_u32_e32 v1, s4, v101
	v_mul_lo_u32 v1, v1, v12
	v_add_co_u32_e32 v2, vcc, v114, v1
	v_addc_co_u32_e32 v3, vcc, 0, v13, vcc
	v_mov_b32_e32 v1, 10
	v_cmp_gt_i16_sdwa vcc, v11, v1 src0_sel:BYTE_0 src1_sel:DWORD
	s_mov_b64 s[4:5], 0
	s_mov_b64 s[74:75], s[66:67]
	s_and_saveexec_b64 s[70:71], vcc
	s_xor_b64 s[70:71], exec, s[70:71]
	s_cbranch_execnz .LBB47_7081
; %bb.3978:
	s_andn2_saveexec_b64 s[70:71], s[70:71]
	s_cbranch_execnz .LBB47_7162
.LBB47_3979:
	s_or_b64 exec, exec, s[70:71]
	s_mov_b64 vcc, 0
	s_and_saveexec_b64 s[70:71], s[4:5]
.LBB47_3980:
	s_mov_b64 vcc, exec
	v_add_u32_e32 v101, 0x200, v101
.LBB47_3981:
	s_or_b64 exec, exec, s[70:71]
	s_andn2_b64 s[4:5], s[66:67], exec
	s_and_b64 s[70:71], s[74:75], exec
	s_or_b64 s[70:71], s[4:5], s[70:71]
	s_orn2_b64 s[74:75], vcc, exec
.LBB47_3982:
	s_or_b64 exec, exec, s[72:73]
	s_mov_b64 s[4:5], 0
	s_mov_b64 vcc, 0
	s_mov_b64 s[76:77], 0
                                        ; implicit-def: $vgpr4
                                        ; implicit-def: $vgpr2_vgpr3
	s_and_saveexec_b64 s[72:73], s[74:75]
	s_cbranch_execz .LBB47_4764
; %bb.3983:
	v_cmp_lt_i32_e32 vcc, v101, v6
	s_mov_b64 s[78:79], -1
	v_writelane_b32 v43, s70, 10
	v_writelane_b32 v43, s71, 11
	s_and_saveexec_b64 s[76:77], vcc
	s_cbranch_execz .LBB47_3989
; %bb.3984:
	v_readlane_b32 s4, v44, 1
	v_add_u32_e32 v1, s4, v101
	v_mul_lo_u32 v1, v1, v12
	v_add_co_u32_e32 v2, vcc, v114, v1
	v_addc_co_u32_e32 v3, vcc, 0, v13, vcc
	v_mov_b32_e32 v1, 10
	v_cmp_gt_i16_sdwa vcc, v11, v1 src0_sel:BYTE_0 src1_sel:DWORD
	s_mov_b64 s[4:5], 0
	s_mov_b64 s[78:79], s[70:71]
	s_and_saveexec_b64 s[74:75], vcc
	s_xor_b64 s[74:75], exec, s[74:75]
	s_cbranch_execnz .LBB47_7207
; %bb.3985:
	s_andn2_saveexec_b64 s[74:75], s[74:75]
	s_cbranch_execnz .LBB47_7288
.LBB47_3986:
	s_or_b64 exec, exec, s[74:75]
	s_mov_b64 vcc, 0
	s_and_saveexec_b64 s[74:75], s[4:5]
.LBB47_3987:
	s_mov_b64 vcc, exec
	v_add_u32_e32 v101, 0x200, v101
.LBB47_3988:
	s_or_b64 exec, exec, s[74:75]
	s_andn2_b64 s[4:5], s[70:71], exec
	s_and_b64 s[74:75], s[78:79], exec
	s_or_b64 s[4:5], s[4:5], s[74:75]
	v_writelane_b32 v43, s4, 10
	v_writelane_b32 v43, s5, 11
	s_orn2_b64 s[78:79], vcc, exec
.LBB47_3989:
	s_or_b64 exec, exec, s[76:77]
	s_mov_b64 s[4:5], 0
	s_mov_b64 vcc, 0
	s_mov_b64 s[80:81], 0
                                        ; implicit-def: $vgpr4
                                        ; implicit-def: $vgpr2_vgpr3
	s_mov_b64 s[74:75], exec
	v_writelane_b32 v43, s74, 12
	s_and_b64 s[76:77], s[74:75], s[78:79]
	v_writelane_b32 v43, s75, 13
	s_mov_b64 exec, s[76:77]
	s_cbranch_execz .LBB47_4763
; %bb.3990:
	v_readlane_b32 s4, v43, 10
	v_readlane_b32 s5, v43, 11
	v_cmp_lt_i32_e32 vcc, v101, v6
	s_mov_b64 s[82:83], -1
	v_writelane_b32 v43, s4, 14
	v_writelane_b32 v43, s5, 15
	s_and_saveexec_b64 s[80:81], vcc
	s_cbranch_execz .LBB47_3996
; %bb.3991:
	v_readlane_b32 s4, v44, 1
	v_add_u32_e32 v1, s4, v101
	v_mul_lo_u32 v1, v1, v12
	v_add_co_u32_e32 v2, vcc, v114, v1
	v_addc_co_u32_e32 v3, vcc, 0, v13, vcc
	v_mov_b32_e32 v1, 10
	v_readlane_b32 s82, v43, 10
	v_cmp_gt_i16_sdwa vcc, v11, v1 src0_sel:BYTE_0 src1_sel:DWORD
	s_mov_b64 s[4:5], 0
	v_readlane_b32 s83, v43, 11
	s_and_saveexec_b64 s[76:77], vcc
	s_xor_b64 s[78:79], exec, s[76:77]
	s_cbranch_execnz .LBB47_7333
; %bb.3992:
	s_andn2_saveexec_b64 s[78:79], s[78:79]
	s_cbranch_execnz .LBB47_7414
.LBB47_3993:
	s_or_b64 exec, exec, s[78:79]
	s_mov_b64 vcc, 0
	s_and_saveexec_b64 s[76:77], s[4:5]
.LBB47_3994:
	s_mov_b64 vcc, exec
	v_add_u32_e32 v101, 0x200, v101
.LBB47_3995:
	s_or_b64 exec, exec, s[76:77]
	v_readlane_b32 s4, v43, 10
	v_readlane_b32 s5, v43, 11
	s_andn2_b64 s[4:5], s[4:5], exec
	s_and_b64 s[74:75], s[82:83], exec
	s_or_b64 s[4:5], s[4:5], s[74:75]
	v_writelane_b32 v43, s4, 14
	v_writelane_b32 v43, s5, 15
	s_orn2_b64 s[82:83], vcc, exec
.LBB47_3996:
	s_or_b64 exec, exec, s[80:81]
	s_mov_b64 s[4:5], 0
	s_mov_b64 vcc, 0
	s_mov_b64 s[80:81], 0
                                        ; implicit-def: $vgpr4
                                        ; implicit-def: $vgpr2_vgpr3
	s_mov_b64 s[74:75], exec
	v_writelane_b32 v43, s74, 16
	s_and_b64 s[76:77], s[74:75], s[82:83]
	v_writelane_b32 v43, s75, 17
	s_mov_b64 exec, s[76:77]
	s_cbranch_execz .LBB47_4762
; %bb.3997:
	v_readlane_b32 s4, v43, 14
	v_readlane_b32 s5, v43, 15
	v_cmp_lt_i32_e32 vcc, v101, v6
	s_mov_b64 s[82:83], -1
	v_writelane_b32 v43, s4, 18
	v_writelane_b32 v43, s5, 19
	s_and_saveexec_b64 s[84:85], vcc
	s_cbranch_execz .LBB47_4003
; %bb.3998:
	v_readlane_b32 s4, v44, 1
	v_add_u32_e32 v1, s4, v101
	v_mul_lo_u32 v1, v1, v12
	v_add_co_u32_e32 v2, vcc, v114, v1
	v_addc_co_u32_e32 v3, vcc, 0, v13, vcc
	v_mov_b32_e32 v1, 10
	v_readlane_b32 s86, v43, 14
	v_cmp_gt_i16_sdwa vcc, v11, v1 src0_sel:BYTE_0 src1_sel:DWORD
	s_mov_b64 s[4:5], 0
	v_readlane_b32 s87, v43, 15
	s_and_saveexec_b64 s[74:75], vcc
	s_xor_b64 s[82:83], exec, s[74:75]
	s_cbranch_execnz .LBB47_7459
; %bb.3999:
	s_andn2_saveexec_b64 s[82:83], s[82:83]
	s_cbranch_execnz .LBB47_7540
.LBB47_4000:
	s_or_b64 exec, exec, s[82:83]
	s_mov_b64 vcc, 0
	s_and_saveexec_b64 s[76:77], s[4:5]
.LBB47_4001:
	s_mov_b64 vcc, exec
	v_add_u32_e32 v101, 0x200, v101
.LBB47_4002:
	s_or_b64 exec, exec, s[76:77]
	v_readlane_b32 s4, v43, 14
	v_readlane_b32 s5, v43, 15
	s_andn2_b64 s[4:5], s[4:5], exec
	s_and_b64 s[74:75], s[86:87], exec
	s_or_b64 s[4:5], s[4:5], s[74:75]
	v_writelane_b32 v43, s4, 18
	v_writelane_b32 v43, s5, 19
	s_orn2_b64 s[82:83], vcc, exec
.LBB47_4003:
	s_or_b64 exec, exec, s[84:85]
	s_mov_b64 s[4:5], 0
	s_mov_b64 vcc, 0
	s_mov_b64 s[80:81], 0
                                        ; implicit-def: $vgpr4
                                        ; implicit-def: $vgpr2_vgpr3
	s_mov_b64 s[74:75], exec
	v_writelane_b32 v43, s74, 20
	v_writelane_b32 v43, s75, 21
	s_and_b64 s[74:75], s[74:75], s[82:83]
	s_mov_b64 exec, s[74:75]
	s_cbranch_execz .LBB47_4761
; %bb.4004:
	v_readlane_b32 s4, v43, 18
	v_readlane_b32 s5, v43, 19
	v_cmp_lt_i32_e32 vcc, v101, v6
	s_mov_b64 s[82:83], -1
	v_writelane_b32 v43, s4, 22
	v_writelane_b32 v43, s5, 23
	s_and_saveexec_b64 s[88:89], vcc
	s_cbranch_execz .LBB47_4010
; %bb.4005:
	v_readlane_b32 s4, v44, 1
	v_add_u32_e32 v1, s4, v101
	v_mul_lo_u32 v1, v1, v12
	v_add_co_u32_e32 v2, vcc, v114, v1
	v_addc_co_u32_e32 v3, vcc, 0, v13, vcc
	v_mov_b32_e32 v1, 10
	v_readlane_b32 s90, v43, 18
	v_cmp_gt_i16_sdwa vcc, v11, v1 src0_sel:BYTE_0 src1_sel:DWORD
	s_mov_b64 s[4:5], 0
	v_readlane_b32 s91, v43, 19
	s_and_saveexec_b64 s[74:75], vcc
	s_xor_b64 s[86:87], exec, s[74:75]
	s_cbranch_execnz .LBB47_7585
; %bb.4006:
	s_andn2_saveexec_b64 s[86:87], s[86:87]
	s_cbranch_execnz .LBB47_7666
.LBB47_4007:
	s_or_b64 exec, exec, s[86:87]
	s_mov_b64 vcc, 0
	s_and_saveexec_b64 s[76:77], s[4:5]
.LBB47_4008:
	s_mov_b64 vcc, exec
	v_add_u32_e32 v101, 0x200, v101
.LBB47_4009:
	s_or_b64 exec, exec, s[76:77]
	v_readlane_b32 s4, v43, 18
	v_readlane_b32 s5, v43, 19
	s_andn2_b64 s[4:5], s[4:5], exec
	s_and_b64 s[74:75], s[90:91], exec
	s_or_b64 s[4:5], s[4:5], s[74:75]
	v_writelane_b32 v43, s4, 22
	v_writelane_b32 v43, s5, 23
	s_orn2_b64 s[82:83], vcc, exec
.LBB47_4010:
	s_or_b64 exec, exec, s[88:89]
	s_mov_b64 s[4:5], 0
	s_mov_b64 vcc, 0
	s_mov_b64 s[80:81], 0
                                        ; implicit-def: $vgpr4
                                        ; implicit-def: $vgpr2_vgpr3
	s_mov_b64 s[74:75], exec
	v_writelane_b32 v43, s74, 24
	v_writelane_b32 v43, s75, 25
	s_and_b64 s[74:75], s[74:75], s[82:83]
	s_mov_b64 exec, s[74:75]
	s_cbranch_execz .LBB47_4760
; %bb.4011:
	v_readlane_b32 s94, v43, 22
	v_cmp_lt_i32_e32 vcc, v101, v6
	s_mov_b64 s[82:83], -1
	v_readlane_b32 s95, v43, 23
	s_and_saveexec_b64 s[92:93], vcc
	s_cbranch_execz .LBB47_4017
; %bb.4012:
	v_readlane_b32 s4, v44, 1
	v_add_u32_e32 v1, s4, v101
	v_mul_lo_u32 v1, v1, v12
	v_add_co_u32_e32 v2, vcc, v114, v1
	v_addc_co_u32_e32 v3, vcc, 0, v13, vcc
	v_mov_b32_e32 v1, 10
	v_readlane_b32 s94, v43, 22
	v_cmp_gt_i16_sdwa vcc, v11, v1 src0_sel:BYTE_0 src1_sel:DWORD
	s_mov_b64 s[4:5], 0
	v_readlane_b32 s95, v43, 23
	s_and_saveexec_b64 s[74:75], vcc
	s_xor_b64 s[90:91], exec, s[74:75]
	s_cbranch_execnz .LBB47_7711
; %bb.4013:
	s_andn2_saveexec_b64 s[90:91], s[90:91]
	s_cbranch_execnz .LBB47_7792
.LBB47_4014:
	s_or_b64 exec, exec, s[90:91]
	s_mov_b64 vcc, 0
	s_and_saveexec_b64 s[76:77], s[4:5]
.LBB47_4015:
	s_mov_b64 vcc, exec
	v_add_u32_e32 v101, 0x200, v101
.LBB47_4016:
	s_or_b64 exec, exec, s[76:77]
	v_readlane_b32 s4, v43, 22
	v_readlane_b32 s5, v43, 23
	s_andn2_b64 s[4:5], s[4:5], exec
	s_and_b64 s[74:75], s[94:95], exec
	s_or_b64 s[94:95], s[4:5], s[74:75]
	s_orn2_b64 s[82:83], vcc, exec
.LBB47_4017:
	s_or_b64 exec, exec, s[92:93]
	s_mov_b64 s[4:5], 0
	s_mov_b64 vcc, 0
	s_mov_b64 s[80:81], 0
                                        ; implicit-def: $vgpr4
                                        ; implicit-def: $vgpr2_vgpr3
	s_mov_b64 s[74:75], exec
	v_writelane_b32 v43, s74, 26
	v_writelane_b32 v43, s75, 27
	s_and_b64 s[74:75], s[74:75], s[82:83]
	s_mov_b64 exec, s[74:75]
	s_cbranch_execz .LBB47_4759
; %bb.4018:
	v_cmp_lt_i32_e32 vcc, v101, v6
	s_mov_b64 s[82:83], -1
	v_writelane_b32 v43, s94, 30
	v_writelane_b32 v43, s95, 31
	s_and_saveexec_b64 s[96:97], vcc
	s_cbranch_execz .LBB47_4146
; %bb.4019:
	v_readlane_b32 s4, v44, 1
	v_add_u32_e32 v1, s4, v101
	v_mul_lo_u32 v1, v1, v12
	v_add_co_u32_e32 v2, vcc, v114, v1
	v_addc_co_u32_e32 v3, vcc, 0, v13, vcc
	v_mov_b32_e32 v1, 10
	v_cmp_gt_i16_sdwa vcc, v11, v1 src0_sel:BYTE_0 src1_sel:DWORD
	s_mov_b64 s[4:5], 0
	s_mov_b64 s[90:91], s[94:95]
	s_and_saveexec_b64 s[74:75], vcc
	s_xor_b64 s[74:75], exec, s[74:75]
	v_writelane_b32 v43, s74, 34
	v_writelane_b32 v43, s75, 35
	s_cbranch_execz .LBB47_4101
; %bb.4020:
	v_mov_b32_e32 v1, 25
	v_cmp_gt_i16_sdwa s[4:5], v11, v1 src0_sel:BYTE_0 src1_sel:DWORD
	s_mov_b64 s[88:89], 0
	s_mov_b64 s[90:91], s[94:95]
	s_and_saveexec_b64 vcc, s[4:5]
	s_xor_b64 s[92:93], exec, vcc
	s_cbranch_execz .LBB47_4056
; %bb.4021:
	v_mov_b32_e32 v1, 28
	v_cmp_gt_i16_sdwa vcc, v11, v1 src0_sel:BYTE_0 src1_sel:DWORD
	s_mov_b64 s[4:5], 0
	s_mov_b64 s[90:91], s[94:95]
	s_and_saveexec_b64 s[74:75], vcc
	s_xor_b64 s[88:89], exec, s[74:75]
	s_cbranch_execz .LBB47_4039
; %bb.4022:
	v_mov_b32_e32 v1, 43
	v_cmp_gt_i16_sdwa s[74:75], v11, v1 src0_sel:BYTE_0 src1_sel:DWORD
	s_mov_b64 vcc, s[94:95]
	s_and_saveexec_b64 s[76:77], s[74:75]
	s_xor_b64 s[76:77], exec, s[76:77]
	s_cbranch_execz .LBB47_4034
; %bb.4023:
	v_mov_b32_e32 v1, 45
	v_cmp_gt_i16_sdwa s[4:5], v11, v1 src0_sel:BYTE_0 src1_sel:DWORD
	s_mov_b64 s[86:87], 0
	s_mov_b64 s[84:85], s[94:95]
	s_and_saveexec_b64 vcc, s[4:5]
	s_xor_b64 s[4:5], exec, vcc
	s_cbranch_execz .LBB47_4027
; %bb.4024:
	v_mov_b32_e32 v1, 46
	v_cmp_eq_u16_sdwa s[74:75], v11, v1 src0_sel:BYTE_0 src1_sel:DWORD
	s_mov_b64 vcc, -1
	s_and_saveexec_b64 s[82:83], s[74:75]
	s_cbranch_execz .LBB47_4026
; %bb.4025:
	v_bfe_u32 v1, v18, 16, 1
	s_movk_i32 vcc_lo, 0x7fff
	v_add3_u32 v1, v18, v1, vcc_lo
	v_lshrrev_b32_e32 v1, 16, v1
	v_mov_b32_e32 v4, 0x7fc0
	v_cmp_o_f32_e32 vcc, v18, v18
	v_cndmask_b32_e32 v1, v4, v1, vcc
	s_mov_b64 s[80:81], exec
	flat_store_dword v[2:3], v1
	s_xor_b64 vcc, exec, -1
.LBB47_4026:
	s_or_b64 exec, exec, s[82:83]
	s_andn2_b64 s[74:75], s[94:95], exec
	s_and_b64 vcc, vcc, exec
	s_or_b64 s[84:85], s[74:75], vcc
	s_and_b64 s[86:87], s[80:81], exec
                                        ; implicit-def: $vgpr2_vgpr3
                                        ; implicit-def: $vgpr18
.LBB47_4027:
	s_andn2_saveexec_b64 s[90:91], s[4:5]
	s_cbranch_execz .LBB47_4033
; %bb.4028:
	v_mov_b32_e32 v1, 44
	v_cmp_eq_u16_sdwa s[74:75], v11, v1 src0_sel:BYTE_0 src1_sel:DWORD
	s_mov_b64 vcc, -1
	s_mov_b64 s[4:5], s[86:87]
	s_and_saveexec_b64 s[80:81], s[74:75]
	s_cbranch_execz .LBB47_4032
; %bb.4029:
	v_bfe_u32 v1, v18, 23, 8
	s_movk_i32 s4, 0xff
	v_cmp_ne_u32_e32 vcc, s4, v1
	v_mov_b32_e32 v4, 0xff
	s_and_saveexec_b64 s[82:83], vcc
; %bb.4030:
	s_mov_b32 s4, 0x3fffff
	v_and_b32_e32 v5, 0x400000, v18
	v_and_or_b32 v1, v18, s4, v1
	v_cmp_ne_u32_e32 vcc, 0, v5
	v_cmp_ne_u32_e64 s[4:5], 0, v1
	s_and_b64 s[4:5], vcc, s[4:5]
	v_lshrrev_b32_e32 v4, 23, v18
	v_cndmask_b32_e64 v1, 0, 1, s[4:5]
	v_add_u32_e32 v4, v4, v1
; %bb.4031:
	s_or_b64 exec, exec, s[82:83]
	s_xor_b64 vcc, exec, -1
	s_or_b64 s[4:5], s[86:87], exec
	flat_store_byte v[2:3], v4
.LBB47_4032:
	s_or_b64 exec, exec, s[80:81]
	s_andn2_b64 s[74:75], s[84:85], exec
	s_and_b64 vcc, vcc, exec
	s_or_b64 s[84:85], s[74:75], vcc
	s_andn2_b64 vcc, s[86:87], exec
	s_and_b64 s[4:5], s[4:5], exec
	s_or_b64 s[86:87], vcc, s[4:5]
.LBB47_4033:
	s_or_b64 exec, exec, s[90:91]
	s_andn2_b64 s[4:5], s[94:95], exec
	s_and_b64 vcc, s[84:85], exec
	s_or_b64 vcc, s[4:5], vcc
	s_and_b64 s[4:5], s[86:87], exec
                                        ; implicit-def: $vgpr18
                                        ; implicit-def: $vgpr2_vgpr3
.LBB47_4034:
	s_andn2_saveexec_b64 s[82:83], s[76:77]
	s_cbranch_execz .LBB47_4038
; %bb.4035:
	v_mov_b32_e32 v1, 29
	v_cmp_eq_u16_sdwa s[74:75], v11, v1 src0_sel:BYTE_0 src1_sel:DWORD
	s_mov_b64 s[86:87], -1
	s_mov_b64 s[84:85], s[4:5]
	s_and_saveexec_b64 s[80:81], s[74:75]
	s_cbranch_execz .LBB47_4037
; %bb.4036:
	v_trunc_f32_e32 v1, v18
	v_mul_f32_e32 v4, 0x2f800000, v1
	v_floor_f32_e32 v4, v4
	v_fmac_f32_e32 v1, 0xcf800000, v4
	v_cvt_u32_f32_e32 v5, v4
	v_cvt_u32_f32_e32 v4, v1
	s_xor_b64 s[86:87], exec, -1
	s_or_b64 s[84:85], s[4:5], exec
	flat_store_dwordx2 v[2:3], v[4:5]
.LBB47_4037:
	s_or_b64 exec, exec, s[80:81]
	s_andn2_b64 vcc, vcc, exec
	s_and_b64 s[74:75], s[86:87], exec
	s_or_b64 vcc, vcc, s[74:75]
	s_andn2_b64 s[4:5], s[4:5], exec
	s_and_b64 s[74:75], s[84:85], exec
	s_or_b64 s[4:5], s[4:5], s[74:75]
.LBB47_4038:
	s_or_b64 exec, exec, s[82:83]
	s_andn2_b64 s[74:75], s[94:95], exec
	s_and_b64 vcc, vcc, exec
	s_or_b64 s[90:91], s[74:75], vcc
	s_and_b64 s[4:5], s[4:5], exec
                                        ; implicit-def: $vgpr2_vgpr3
                                        ; implicit-def: $vgpr18
.LBB47_4039:
	s_andn2_saveexec_b64 s[88:89], s[88:89]
	s_cbranch_execz .LBB47_4055
; %bb.4040:
	v_mov_b32_e32 v1, 26
	v_cmp_gt_i16_sdwa vcc, v11, v1 src0_sel:BYTE_0 src1_sel:DWORD
	s_and_saveexec_b64 s[74:75], vcc
	s_xor_b64 vcc, exec, s[74:75]
	s_cbranch_execz .LBB47_4046
; %bb.4041:
	v_cvt_u32_f32_e32 v1, v18
	v_mov_b32_e32 v4, 27
	v_cmp_gt_i16_sdwa s[74:75], v11, v4 src0_sel:BYTE_0 src1_sel:DWORD
	s_and_saveexec_b64 s[76:77], s[74:75]
	s_xor_b64 s[76:77], exec, s[76:77]
	s_cbranch_execz .LBB47_4043
; %bb.4042:
	flat_store_dword v[2:3], v1
                                        ; implicit-def: $vgpr2_vgpr3
                                        ; implicit-def: $vgpr1
.LBB47_4043:
	s_andn2_saveexec_b64 s[76:77], s[76:77]
	s_cbranch_execz .LBB47_4045
; %bb.4044:
	flat_store_short v[2:3], v1
.LBB47_4045:
	s_or_b64 exec, exec, s[76:77]
                                        ; implicit-def: $vgpr2_vgpr3
                                        ; implicit-def: $vgpr18
.LBB47_4046:
	s_andn2_saveexec_b64 s[86:87], vcc
	s_cbranch_execz .LBB47_4054
; %bb.4047:
	v_and_b32_e32 v1, 0x7fffffff, v18
	s_mov_b32 vcc_lo, 0x43800000
	v_cmp_gt_u32_e32 vcc, vcc_lo, v1
	v_mov_b32_e32 v4, 0x80
	s_and_saveexec_b64 s[84:85], vcc
	s_cbranch_execz .LBB47_4053
; %bb.4048:
	s_mov_b32 vcc_lo, 0x3bffffff
	v_cmp_lt_u32_e32 vcc, vcc_lo, v1
	s_mov_b64 s[82:83], 0
                                        ; implicit-def: $vgpr1
	s_and_saveexec_b64 s[74:75], vcc
	s_xor_b64 vcc, exec, s[74:75]
	s_cbranch_execnz .LBB47_7857
; %bb.4049:
	s_or_saveexec_b64 s[80:81], vcc
                                        ; implicit-def: $sgpr76
	s_xor_b64 exec, exec, s[80:81]
	s_cbranch_execnz .LBB47_7858
.LBB47_4050:
	s_or_b64 exec, exec, s[80:81]
	v_mov_b32_e32 v4, s76
	s_and_saveexec_b64 vcc, s[82:83]
.LBB47_4051:
	v_lshrrev_b32_e32 v4, 24, v18
	s_movk_i32 s74, 0x80
	v_and_or_b32 v4, v4, s74, v1
.LBB47_4052:
	s_or_b64 exec, exec, vcc
.LBB47_4053:
	s_or_b64 exec, exec, s[84:85]
	flat_store_byte v[2:3], v4
.LBB47_4054:
	s_or_b64 exec, exec, s[86:87]
	s_or_b64 s[4:5], s[4:5], exec
.LBB47_4055:
	s_or_b64 exec, exec, s[88:89]
	s_andn2_b64 vcc, s[94:95], exec
	s_and_b64 s[74:75], s[90:91], exec
	s_or_b64 s[90:91], vcc, s[74:75]
	s_and_b64 s[88:89], s[4:5], exec
                                        ; implicit-def: $vgpr18
                                        ; implicit-def: $vgpr2_vgpr3
.LBB47_4056:
	s_andn2_saveexec_b64 s[92:93], s[92:93]
	s_cbranch_execz .LBB47_4100
; %bb.4057:
	v_mov_b32_e32 v1, 22
	v_cmp_gt_i16_sdwa vcc, v11, v1 src0_sel:BYTE_0 src1_sel:DWORD
	s_mov_b64 s[4:5], s[88:89]
	s_and_saveexec_b64 s[74:75], vcc
	s_xor_b64 s[86:87], exec, s[74:75]
	s_cbranch_execz .LBB47_4089
; %bb.4058:
	v_mov_b32_e32 v1, 23
	v_cmp_gt_i16_sdwa s[4:5], v11, v1 src0_sel:BYTE_0 src1_sel:DWORD
	s_and_saveexec_b64 vcc, s[4:5]
	s_xor_b64 vcc, exec, vcc
	v_writelane_b32 v43, vcc_lo, 36
	v_writelane_b32 v43, vcc_hi, 37
	s_cbranch_execz .LBB47_4078
; %bb.4059:
	v_mov_b32_e32 v1, 24
	v_cmp_gt_i16_sdwa s[4:5], v11, v1 src0_sel:BYTE_0 src1_sel:DWORD
	s_and_saveexec_b64 vcc, s[4:5]
	s_xor_b64 s[4:5], exec, vcc
	s_cbranch_execz .LBB47_4067
; %bb.4060:
	v_and_b32_e32 v1, 0x7fffffff, v18
	s_mov_b32 vcc_lo, 0x47800000
	v_cmp_gt_u32_e32 vcc, vcc_lo, v1
	v_mov_b32_e32 v4, 0x80
	s_and_saveexec_b64 s[84:85], vcc
	s_cbranch_execz .LBB47_4066
; %bb.4061:
	s_mov_b32 vcc_lo, 0x37ffffff
	v_cmp_lt_u32_e32 vcc, vcc_lo, v1
	s_mov_b64 s[82:83], 0
                                        ; implicit-def: $vgpr1
	s_and_saveexec_b64 s[74:75], vcc
	s_xor_b64 vcc, exec, s[74:75]
	s_cbranch_execnz .LBB47_7983
; %bb.4062:
	s_or_saveexec_b64 s[80:81], vcc
                                        ; implicit-def: $sgpr76
	s_xor_b64 exec, exec, s[80:81]
	s_cbranch_execnz .LBB47_7984
.LBB47_4063:
	s_or_b64 exec, exec, s[80:81]
	v_mov_b32_e32 v4, s76
	s_and_saveexec_b64 vcc, s[82:83]
.LBB47_4064:
	v_lshrrev_b32_e32 v4, 24, v18
	s_movk_i32 s74, 0x80
	v_and_or_b32 v4, v4, s74, v1
.LBB47_4065:
	s_or_b64 exec, exec, vcc
.LBB47_4066:
	s_or_b64 exec, exec, s[84:85]
	flat_store_byte v[2:3], v4
                                        ; implicit-def: $vgpr18
                                        ; implicit-def: $vgpr2_vgpr3
.LBB47_4067:
	s_andn2_saveexec_b64 s[4:5], s[4:5]
	s_cbranch_execz .LBB47_4077
; %bb.4068:
	v_and_b32_e32 v4, 0x7fffffff, v18
	s_mov_b32 vcc_lo, 0x43f00000
	v_cmp_gt_u32_e32 vcc, vcc_lo, v4
                                        ; implicit-def: $vgpr1
	s_and_saveexec_b64 s[74:75], vcc
	s_xor_b64 s[80:81], exec, s[74:75]
	s_cbranch_execz .LBB47_4074
; %bb.4069:
	s_mov_b32 vcc_lo, 0x3c7fffff
	v_cmp_lt_u32_e32 vcc, vcc_lo, v4
                                        ; implicit-def: $vgpr1
	s_and_saveexec_b64 s[74:75], vcc
	s_xor_b64 s[78:79], exec, s[74:75]
; %bb.4070:
	v_bfe_u32 v1, v18, 20, 1
	s_mov_b32 vcc_lo, 0x407ffff
	v_add3_u32 v1, v18, v1, vcc_lo
	v_lshrrev_b32_e32 v4, 20, v1
	v_and_b32_e32 v1, 0xff00000, v1
	s_mov_b32 vcc_lo, 0x7f00000
	v_mov_b32_e32 v5, 0x7e
	v_cmp_ne_u32_e32 vcc, vcc_lo, v1
	v_cndmask_b32_e32 v1, v5, v4, vcc
; %bb.4071:
	s_andn2_saveexec_b64 vcc, s[78:79]
; %bb.4072:
	s_mov_b32 s74, 0x46800000
	v_add_f32_e64 v1, |v18|, s74
; %bb.4073:
	s_or_b64 exec, exec, vcc
                                        ; implicit-def: $vgpr4
.LBB47_4074:
	s_andn2_saveexec_b64 s[80:81], s[80:81]
; %bb.4075:
	s_mov_b32 vcc_lo, 0x7f800000
	v_mov_b32_e32 v1, 0x7e
	v_mov_b32_e32 v5, 0x7f
	v_cmp_lt_u32_e32 vcc, vcc_lo, v4
	v_cndmask_b32_e32 v1, v1, v5, vcc
; %bb.4076:
	s_or_b64 exec, exec, s[80:81]
	v_lshrrev_b32_e32 v4, 24, v18
	s_movk_i32 vcc_lo, 0x80
	v_and_or_b32 v1, v4, vcc_lo, v1
	flat_store_byte v[2:3], v1
.LBB47_4077:
	s_or_b64 exec, exec, s[4:5]
                                        ; implicit-def: $vgpr18
                                        ; implicit-def: $vgpr2_vgpr3
.LBB47_4078:
	v_readlane_b32 s4, v43, 36
	v_readlane_b32 s5, v43, 37
	s_andn2_saveexec_b64 s[4:5], s[4:5]
	s_cbranch_execz .LBB47_4088
; %bb.4079:
	v_and_b32_e32 v4, 0x7fffffff, v18
	s_mov_b32 vcc_lo, 0x47800000
	v_cmp_gt_u32_e32 vcc, vcc_lo, v4
                                        ; implicit-def: $vgpr1
	s_and_saveexec_b64 s[74:75], vcc
	s_xor_b64 s[80:81], exec, s[74:75]
	s_cbranch_execz .LBB47_4085
; %bb.4080:
	s_mov_b32 vcc_lo, 0x387fffff
	v_cmp_lt_u32_e32 vcc, vcc_lo, v4
                                        ; implicit-def: $vgpr1
	s_and_saveexec_b64 s[74:75], vcc
	s_xor_b64 vcc, exec, s[74:75]
; %bb.4081:
	v_bfe_u32 v1, v18, 21, 1
	s_mov_b32 s74, 0x80fffff
	v_add3_u32 v1, v18, v1, s74
	v_lshrrev_b32_e32 v1, 21, v1
; %bb.4082:
	s_andn2_saveexec_b64 vcc, vcc
; %bb.4083:
	s_mov_b32 s74, 0x43000000
	v_add_f32_e64 v1, |v18|, s74
; %bb.4084:
	s_or_b64 exec, exec, vcc
                                        ; implicit-def: $vgpr4
.LBB47_4085:
	s_andn2_saveexec_b64 s[80:81], s[80:81]
; %bb.4086:
	s_mov_b32 vcc_lo, 0x7f800000
	v_mov_b32_e32 v1, 0x7c
	v_mov_b32_e32 v5, 0x7f
	v_cmp_lt_u32_e32 vcc, vcc_lo, v4
	v_cndmask_b32_e32 v1, v1, v5, vcc
; %bb.4087:
	s_or_b64 exec, exec, s[80:81]
	v_lshrrev_b32_e32 v4, 24, v18
	s_movk_i32 vcc_lo, 0x80
	v_and_or_b32 v1, v4, vcc_lo, v1
	flat_store_byte v[2:3], v1
.LBB47_4088:
	s_or_b64 exec, exec, s[4:5]
	s_or_b64 s[4:5], s[88:89], exec
                                        ; implicit-def: $vgpr18
                                        ; implicit-def: $vgpr2_vgpr3
.LBB47_4089:
	s_or_saveexec_b64 s[86:87], s[86:87]
	s_mov_b64 vcc, s[90:91]
	s_xor_b64 exec, exec, s[86:87]
	s_cbranch_execz .LBB47_4099
; %bb.4090:
	v_mov_b32_e32 v1, 14
	v_cmp_gt_i16_sdwa vcc, v11, v1 src0_sel:BYTE_0 src1_sel:DWORD
	s_mov_b64 s[84:85], s[4:5]
	s_mov_b64 s[82:83], s[90:91]
	s_and_saveexec_b64 s[74:75], vcc
	s_xor_b64 s[80:81], exec, s[74:75]
	s_cbranch_execz .LBB47_4094
; %bb.4091:
	v_mov_b32_e32 v1, 15
	v_cmp_eq_u16_sdwa s[74:75], v11, v1 src0_sel:BYTE_0 src1_sel:DWORD
	s_mov_b64 s[78:79], -1
	s_mov_b64 vcc, s[4:5]
	s_and_saveexec_b64 s[82:83], s[74:75]
	s_cbranch_execz .LBB47_4093
; %bb.4092:
	v_bfe_u32 v1, v18, 16, 1
	s_movk_i32 vcc_lo, 0x7fff
	v_add3_u32 v1, v18, v1, vcc_lo
	v_lshrrev_b32_e32 v1, 16, v1
	v_mov_b32_e32 v4, 0x7fc0
	v_cmp_o_f32_e32 vcc, v18, v18
	v_cndmask_b32_e32 v1, v4, v1, vcc
	flat_store_short v[2:3], v1
	s_xor_b64 s[78:79], exec, -1
	s_or_b64 vcc, s[4:5], exec
.LBB47_4093:
	s_or_b64 exec, exec, s[82:83]
	s_andn2_b64 s[74:75], s[90:91], exec
	s_and_b64 s[76:77], s[78:79], exec
	s_or_b64 s[82:83], s[74:75], s[76:77]
	s_andn2_b64 s[74:75], s[4:5], exec
	s_and_b64 vcc, vcc, exec
	s_or_b64 s[84:85], s[74:75], vcc
                                        ; implicit-def: $vgpr18
                                        ; implicit-def: $vgpr2_vgpr3
.LBB47_4094:
	s_andn2_saveexec_b64 s[80:81], s[80:81]
	s_cbranch_execz .LBB47_4098
; %bb.4095:
	v_mov_b32_e32 v1, 11
	v_cmp_eq_u16_sdwa s[74:75], v11, v1 src0_sel:BYTE_0 src1_sel:DWORD
	s_mov_b64 s[78:79], -1
	s_mov_b64 vcc, s[84:85]
	s_and_saveexec_b64 s[76:77], s[74:75]
	s_cbranch_execz .LBB47_4097
; %bb.4096:
	v_cmp_neq_f32_e32 vcc, 0, v18
	v_cndmask_b32_e64 v1, 0, 1, vcc
	flat_store_byte v[2:3], v1
	s_xor_b64 s[78:79], exec, -1
	s_or_b64 vcc, s[84:85], exec
.LBB47_4097:
	s_or_b64 exec, exec, s[76:77]
	s_andn2_b64 s[74:75], s[82:83], exec
	s_and_b64 s[76:77], s[78:79], exec
	s_or_b64 s[82:83], s[74:75], s[76:77]
	s_andn2_b64 s[74:75], s[84:85], exec
	s_and_b64 vcc, vcc, exec
	s_or_b64 s[84:85], s[74:75], vcc
.LBB47_4098:
	s_or_b64 exec, exec, s[80:81]
	s_andn2_b64 vcc, s[90:91], exec
	s_and_b64 s[74:75], s[82:83], exec
	s_or_b64 vcc, vcc, s[74:75]
	s_andn2_b64 s[4:5], s[4:5], exec
	s_and_b64 s[74:75], s[84:85], exec
	s_or_b64 s[4:5], s[4:5], s[74:75]
.LBB47_4099:
	s_or_b64 exec, exec, s[86:87]
	s_andn2_b64 s[74:75], s[90:91], exec
	s_and_b64 vcc, vcc, exec
	s_or_b64 s[90:91], s[74:75], vcc
	s_andn2_b64 vcc, s[88:89], exec
	s_and_b64 s[4:5], s[4:5], exec
	s_or_b64 s[88:89], vcc, s[4:5]
.LBB47_4100:
	s_or_b64 exec, exec, s[92:93]
	s_andn2_b64 s[4:5], s[94:95], exec
	s_and_b64 vcc, s[90:91], exec
	s_or_b64 s[90:91], s[4:5], vcc
	s_and_b64 s[4:5], s[88:89], exec
                                        ; implicit-def: $vgpr18
                                        ; implicit-def: $vgpr2_vgpr3
.LBB47_4101:
	v_readlane_b32 vcc_lo, v43, 34
	v_readlane_b32 vcc_hi, v43, 35
	s_andn2_saveexec_b64 s[92:93], vcc
	s_cbranch_execz .LBB47_4143
; %bb.4102:
	v_mov_b32_e32 v1, 4
	v_cmp_gt_i16_sdwa vcc, v11, v1 src0_sel:BYTE_0 src1_sel:DWORD
	s_and_saveexec_b64 s[74:75], vcc
	s_xor_b64 vcc, exec, s[74:75]
	s_cbranch_execz .LBB47_4124
; %bb.4103:
	v_mov_b32_e32 v1, 7
	v_cmp_gt_i16_sdwa s[74:75], v11, v1 src0_sel:BYTE_0 src1_sel:DWORD
	s_and_saveexec_b64 s[76:77], s[74:75]
	s_xor_b64 s[84:85], exec, s[76:77]
	s_cbranch_execz .LBB47_4113
; %bb.4104:
	v_mov_b32_e32 v1, 8
	v_cmp_gt_i16_sdwa s[74:75], v11, v1 src0_sel:BYTE_0 src1_sel:DWORD
	s_and_saveexec_b64 s[76:77], s[74:75]
	s_xor_b64 s[82:83], exec, s[76:77]
	;; [unrolled: 6-line block ×3, first 2 shown]
	s_cbranch_execz .LBB47_4107
; %bb.4106:
	v_mov_b32_e32 v20, 0
	v_cvt_f64_f32_e32 v[18:19], v18
	v_mov_b32_e32 v21, v20
	flat_store_dwordx4 v[2:3], v[18:21]
                                        ; implicit-def: $vgpr18
                                        ; implicit-def: $vgpr2_vgpr3
.LBB47_4107:
	s_andn2_saveexec_b64 s[76:77], s[78:79]
	s_cbranch_execz .LBB47_4109
; %bb.4108:
	v_mov_b32_e32 v19, 0
	flat_store_dwordx2 v[2:3], v[18:19]
.LBB47_4109:
	s_or_b64 exec, exec, s[76:77]
                                        ; implicit-def: $vgpr18
                                        ; implicit-def: $vgpr2_vgpr3
.LBB47_4110:
	s_andn2_saveexec_b64 s[76:77], s[82:83]
	s_cbranch_execz .LBB47_4112
; %bb.4111:
	v_cvt_f16_f32_e32 v1, v18
	flat_store_dword v[2:3], v1
.LBB47_4112:
	s_or_b64 exec, exec, s[76:77]
                                        ; implicit-def: $vgpr18
                                        ; implicit-def: $vgpr2_vgpr3
.LBB47_4113:
	s_andn2_saveexec_b64 s[82:83], s[84:85]
	s_cbranch_execz .LBB47_4123
; %bb.4114:
	v_mov_b32_e32 v1, 5
	v_cmp_gt_i16_sdwa s[74:75], v11, v1 src0_sel:BYTE_0 src1_sel:DWORD
	s_and_saveexec_b64 s[76:77], s[74:75]
	s_xor_b64 s[80:81], exec, s[76:77]
	s_cbranch_execz .LBB47_4120
; %bb.4115:
	v_mov_b32_e32 v1, 6
	v_cmp_gt_i16_sdwa s[74:75], v11, v1 src0_sel:BYTE_0 src1_sel:DWORD
	s_and_saveexec_b64 s[76:77], s[74:75]
	s_xor_b64 s[76:77], exec, s[76:77]
	s_cbranch_execz .LBB47_4117
; %bb.4116:
	v_cvt_f64_f32_e32 v[4:5], v18
	flat_store_dwordx2 v[2:3], v[4:5]
                                        ; implicit-def: $vgpr2_vgpr3
                                        ; implicit-def: $vgpr18
.LBB47_4117:
	s_andn2_saveexec_b64 s[76:77], s[76:77]
	s_cbranch_execz .LBB47_4119
; %bb.4118:
	flat_store_dword v[2:3], v18
.LBB47_4119:
	s_or_b64 exec, exec, s[76:77]
                                        ; implicit-def: $vgpr18
                                        ; implicit-def: $vgpr2_vgpr3
.LBB47_4120:
	s_andn2_saveexec_b64 s[76:77], s[80:81]
	s_cbranch_execz .LBB47_4122
; %bb.4121:
	v_cvt_f16_f32_e32 v1, v18
	flat_store_short v[2:3], v1
.LBB47_4122:
	s_or_b64 exec, exec, s[76:77]
.LBB47_4123:
	s_or_b64 exec, exec, s[82:83]
                                        ; implicit-def: $vgpr18
                                        ; implicit-def: $vgpr2_vgpr3
.LBB47_4124:
	s_andn2_saveexec_b64 s[88:89], vcc
	s_cbranch_execz .LBB47_4142
; %bb.4125:
	v_mov_b32_e32 v1, 1
	v_cmp_gt_i16_sdwa vcc, v11, v1 src0_sel:BYTE_0 src1_sel:DWORD
	s_and_saveexec_b64 s[74:75], vcc
	s_xor_b64 s[84:85], exec, s[74:75]
	s_cbranch_execz .LBB47_4135
; %bb.4126:
	v_mov_b32_e32 v1, 2
	v_cmp_gt_i16_sdwa vcc, v11, v1 src0_sel:BYTE_0 src1_sel:DWORD
	s_and_saveexec_b64 s[74:75], vcc
	s_xor_b64 s[82:83], exec, s[74:75]
	;; [unrolled: 6-line block ×3, first 2 shown]
	s_cbranch_execz .LBB47_4129
; %bb.4128:
	v_trunc_f32_e32 v1, v18
	s_mov_b32 s74, 0x2f800000
	v_mul_f32_e64 v4, |v1|, s74
	v_floor_f32_e32 v4, v4
	s_mov_b32 s74, 0xcf800000
	v_cvt_u32_f32_e32 v5, v4
	v_fma_f32 v4, v4, s74, |v1|
	v_cvt_u32_f32_e32 v4, v4
	v_ashrrev_i32_e32 v1, 31, v1
	v_xor_b32_e32 v5, v5, v1
                                        ; implicit-def: $vgpr18
	v_xor_b32_e32 v4, v4, v1
	v_sub_co_u32_e32 v4, vcc, v4, v1
	v_subb_co_u32_e32 v5, vcc, v5, v1, vcc
	flat_store_dwordx2 v[2:3], v[4:5]
                                        ; implicit-def: $vgpr2_vgpr3
.LBB47_4129:
	s_andn2_saveexec_b64 vcc, s[80:81]
	s_cbranch_execz .LBB47_4131
; %bb.4130:
	v_cvt_i32_f32_e32 v1, v18
	flat_store_dword v[2:3], v1
.LBB47_4131:
	s_or_b64 exec, exec, vcc
                                        ; implicit-def: $vgpr18
                                        ; implicit-def: $vgpr2_vgpr3
.LBB47_4132:
	s_andn2_saveexec_b64 vcc, s[82:83]
	s_cbranch_execz .LBB47_4134
; %bb.4133:
	v_cvt_i32_f32_e32 v1, v18
	flat_store_short v[2:3], v1
.LBB47_4134:
	s_or_b64 exec, exec, vcc
                                        ; implicit-def: $vgpr18
                                        ; implicit-def: $vgpr2_vgpr3
.LBB47_4135:
	s_andn2_saveexec_b64 vcc, s[84:85]
	s_cbranch_execz .LBB47_4141
; %bb.4136:
	v_mov_b32_e32 v1, 0
	v_cmp_gt_i16_sdwa s[74:75], v11, v1 src0_sel:BYTE_0 src1_sel:DWORD
	s_and_saveexec_b64 s[76:77], s[74:75]
	s_xor_b64 s[76:77], exec, s[76:77]
	s_cbranch_execz .LBB47_4138
; %bb.4137:
	v_cvt_i32_f32_e32 v1, v18
                                        ; implicit-def: $vgpr18
	flat_store_byte v[2:3], v1
                                        ; implicit-def: $vgpr2_vgpr3
.LBB47_4138:
	s_andn2_saveexec_b64 s[80:81], s[76:77]
	s_cbranch_execz .LBB47_4140
; %bb.4139:
	v_trunc_f32_e32 v1, v18
	s_mov_b32 s74, 0x2f800000
	v_mul_f32_e64 v4, |v1|, s74
	v_floor_f32_e32 v4, v4
	s_mov_b32 s74, 0xcf800000
	v_fma_f32 v4, v4, s74, |v1|
	v_cvt_u32_f32_e32 v4, v4
	v_ashrrev_i32_e32 v1, 31, v1
	v_xor_b32_e32 v4, v4, v1
	v_sub_u32_e32 v1, v4, v1
	flat_store_byte v[2:3], v1
.LBB47_4140:
	s_or_b64 exec, exec, s[80:81]
.LBB47_4141:
	s_or_b64 exec, exec, vcc
.LBB47_4142:
	s_or_b64 exec, exec, s[88:89]
	s_or_b64 s[4:5], s[4:5], exec
.LBB47_4143:
	s_or_b64 exec, exec, s[92:93]
	s_mov_b64 vcc, 0
	s_and_saveexec_b64 s[76:77], s[4:5]
; %bb.4144:
	s_mov_b64 vcc, exec
	v_add_u32_e32 v101, 0x200, v101
; %bb.4145:
	s_or_b64 exec, exec, s[76:77]
	s_andn2_b64 s[4:5], s[94:95], exec
	s_and_b64 s[74:75], s[90:91], exec
	s_or_b64 s[4:5], s[4:5], s[74:75]
	v_writelane_b32 v43, s4, 30
	v_writelane_b32 v43, s5, 31
	s_orn2_b64 s[82:83], vcc, exec
.LBB47_4146:
	s_or_b64 exec, exec, s[96:97]
	s_mov_b64 s[4:5], 0
	s_mov_b64 vcc, 0
	s_mov_b64 s[80:81], 0
                                        ; implicit-def: $vgpr4
                                        ; implicit-def: $vgpr2_vgpr3
	s_mov_b64 s[74:75], exec
	v_writelane_b32 v43, s74, 32
	v_writelane_b32 v43, s75, 33
	s_and_b64 s[74:75], s[74:75], s[82:83]
	s_mov_b64 exec, s[74:75]
	s_cbranch_execz .LBB47_4758
; %bb.4147:
	v_readlane_b32 s4, v43, 30
	v_readlane_b32 s5, v43, 31
	v_cmp_lt_i32_e32 vcc, v101, v6
	s_mov_b64 s[82:83], -1
	v_writelane_b32 v43, s4, 38
	v_writelane_b32 v43, s5, 39
	s_and_saveexec_b64 s[96:97], vcc
	s_cbranch_execz .LBB47_4275
; %bb.4148:
	v_readlane_b32 s4, v44, 1
	v_add_u32_e32 v1, s4, v101
	v_mul_lo_u32 v1, v1, v12
	v_add_co_u32_e32 v2, vcc, v114, v1
	v_addc_co_u32_e32 v3, vcc, 0, v13, vcc
	v_mov_b32_e32 v1, 10
	v_readlane_b32 s90, v43, 30
	v_cmp_gt_i16_sdwa vcc, v11, v1 src0_sel:BYTE_0 src1_sel:DWORD
	s_mov_b64 s[4:5], 0
	v_readlane_b32 s91, v43, 31
	s_and_saveexec_b64 s[74:75], vcc
	s_xor_b64 s[74:75], exec, s[74:75]
	v_writelane_b32 v43, s74, 42
	v_writelane_b32 v43, s75, 43
	s_cbranch_execz .LBB47_4230
; %bb.4149:
	v_mov_b32_e32 v1, 25
	v_readlane_b32 s92, v43, 30
	v_cmp_gt_i16_sdwa s[4:5], v11, v1 src0_sel:BYTE_0 src1_sel:DWORD
	s_mov_b64 s[88:89], 0
	v_readlane_b32 s93, v43, 31
	s_and_saveexec_b64 vcc, s[4:5]
	s_xor_b64 s[90:91], exec, vcc
	s_cbranch_execz .LBB47_4185
; %bb.4150:
	v_mov_b32_e32 v1, 28
	v_readlane_b32 s92, v43, 30
	v_cmp_gt_i16_sdwa vcc, v11, v1 src0_sel:BYTE_0 src1_sel:DWORD
	s_mov_b64 s[4:5], 0
	v_readlane_b32 s93, v43, 31
	s_and_saveexec_b64 s[74:75], vcc
	s_xor_b64 s[88:89], exec, s[74:75]
	s_cbranch_execz .LBB47_4168
; %bb.4151:
	v_mov_b32_e32 v1, 43
	v_readlane_b32 vcc_lo, v43, 30
	v_cmp_gt_i16_sdwa s[74:75], v11, v1 src0_sel:BYTE_0 src1_sel:DWORD
	v_readlane_b32 vcc_hi, v43, 31
	s_and_saveexec_b64 s[76:77], s[74:75]
	s_xor_b64 s[76:77], exec, s[76:77]
	s_cbranch_execz .LBB47_4163
; %bb.4152:
	v_mov_b32_e32 v1, 45
	v_readlane_b32 s84, v43, 30
	v_cmp_gt_i16_sdwa s[4:5], v11, v1 src0_sel:BYTE_0 src1_sel:DWORD
	s_mov_b64 s[86:87], 0
	v_readlane_b32 s85, v43, 31
	s_and_saveexec_b64 vcc, s[4:5]
	s_xor_b64 s[4:5], exec, vcc
	s_cbranch_execz .LBB47_4156
; %bb.4153:
	v_mov_b32_e32 v1, 46
	v_cmp_eq_u16_sdwa s[74:75], v11, v1 src0_sel:BYTE_0 src1_sel:DWORD
	s_mov_b64 vcc, -1
	s_and_saveexec_b64 s[82:83], s[74:75]
	s_cbranch_execz .LBB47_4155
; %bb.4154:
	v_bfe_u32 v1, v16, 16, 1
	s_movk_i32 vcc_lo, 0x7fff
	v_add3_u32 v1, v16, v1, vcc_lo
	v_lshrrev_b32_e32 v1, 16, v1
	v_mov_b32_e32 v4, 0x7fc0
	v_cmp_o_f32_e32 vcc, v16, v16
	v_cndmask_b32_e32 v1, v4, v1, vcc
	s_mov_b64 s[80:81], exec
	flat_store_dword v[2:3], v1
	s_xor_b64 vcc, exec, -1
.LBB47_4155:
	s_or_b64 exec, exec, s[82:83]
	v_readlane_b32 s74, v43, 30
	v_readlane_b32 s75, v43, 31
	s_andn2_b64 s[74:75], s[74:75], exec
	s_and_b64 vcc, vcc, exec
	s_or_b64 s[84:85], s[74:75], vcc
	s_and_b64 s[86:87], s[80:81], exec
                                        ; implicit-def: $vgpr2_vgpr3
                                        ; implicit-def: $vgpr16
.LBB47_4156:
	s_andn2_saveexec_b64 s[92:93], s[4:5]
	s_cbranch_execz .LBB47_4162
; %bb.4157:
	v_mov_b32_e32 v1, 44
	v_cmp_eq_u16_sdwa s[74:75], v11, v1 src0_sel:BYTE_0 src1_sel:DWORD
	s_mov_b64 vcc, -1
	s_mov_b64 s[4:5], s[86:87]
	s_and_saveexec_b64 s[80:81], s[74:75]
	s_cbranch_execz .LBB47_4161
; %bb.4158:
	v_bfe_u32 v1, v16, 23, 8
	s_movk_i32 s4, 0xff
	v_cmp_ne_u32_e32 vcc, s4, v1
	v_mov_b32_e32 v4, 0xff
	s_and_saveexec_b64 s[82:83], vcc
; %bb.4159:
	s_mov_b32 s4, 0x3fffff
	v_and_b32_e32 v5, 0x400000, v16
	v_and_or_b32 v1, v16, s4, v1
	v_cmp_ne_u32_e32 vcc, 0, v5
	v_cmp_ne_u32_e64 s[4:5], 0, v1
	s_and_b64 s[4:5], vcc, s[4:5]
	v_lshrrev_b32_e32 v4, 23, v16
	v_cndmask_b32_e64 v1, 0, 1, s[4:5]
	v_add_u32_e32 v4, v4, v1
; %bb.4160:
	s_or_b64 exec, exec, s[82:83]
	s_xor_b64 vcc, exec, -1
	s_or_b64 s[4:5], s[86:87], exec
	flat_store_byte v[2:3], v4
.LBB47_4161:
	s_or_b64 exec, exec, s[80:81]
	s_andn2_b64 s[74:75], s[84:85], exec
	s_and_b64 vcc, vcc, exec
	s_or_b64 s[84:85], s[74:75], vcc
	s_andn2_b64 vcc, s[86:87], exec
	s_and_b64 s[4:5], s[4:5], exec
	s_or_b64 s[86:87], vcc, s[4:5]
.LBB47_4162:
	s_or_b64 exec, exec, s[92:93]
	v_readlane_b32 s4, v43, 30
	v_readlane_b32 s5, v43, 31
	s_andn2_b64 s[4:5], s[4:5], exec
	s_and_b64 vcc, s[84:85], exec
	s_or_b64 vcc, s[4:5], vcc
	s_and_b64 s[4:5], s[86:87], exec
                                        ; implicit-def: $vgpr16
                                        ; implicit-def: $vgpr2_vgpr3
.LBB47_4163:
	s_andn2_saveexec_b64 s[82:83], s[76:77]
	s_cbranch_execz .LBB47_4167
; %bb.4164:
	v_mov_b32_e32 v1, 29
	v_cmp_eq_u16_sdwa s[74:75], v11, v1 src0_sel:BYTE_0 src1_sel:DWORD
	s_mov_b64 s[86:87], -1
	s_mov_b64 s[84:85], s[4:5]
	s_and_saveexec_b64 s[80:81], s[74:75]
	s_cbranch_execz .LBB47_4166
; %bb.4165:
	v_trunc_f32_e32 v1, v16
	v_mul_f32_e32 v4, 0x2f800000, v1
	v_floor_f32_e32 v4, v4
	v_fmac_f32_e32 v1, 0xcf800000, v4
	v_cvt_u32_f32_e32 v5, v4
	v_cvt_u32_f32_e32 v4, v1
	s_xor_b64 s[86:87], exec, -1
	s_or_b64 s[84:85], s[4:5], exec
	flat_store_dwordx2 v[2:3], v[4:5]
.LBB47_4166:
	s_or_b64 exec, exec, s[80:81]
	s_andn2_b64 vcc, vcc, exec
	s_and_b64 s[74:75], s[86:87], exec
	s_or_b64 vcc, vcc, s[74:75]
	s_andn2_b64 s[4:5], s[4:5], exec
	s_and_b64 s[74:75], s[84:85], exec
	s_or_b64 s[4:5], s[4:5], s[74:75]
.LBB47_4167:
	s_or_b64 exec, exec, s[82:83]
	v_readlane_b32 s74, v43, 30
	v_readlane_b32 s75, v43, 31
	s_andn2_b64 s[74:75], s[74:75], exec
	s_and_b64 vcc, vcc, exec
	s_or_b64 s[92:93], s[74:75], vcc
	s_and_b64 s[4:5], s[4:5], exec
                                        ; implicit-def: $vgpr2_vgpr3
                                        ; implicit-def: $vgpr16
.LBB47_4168:
	s_andn2_saveexec_b64 s[88:89], s[88:89]
	s_cbranch_execz .LBB47_4184
; %bb.4169:
	v_mov_b32_e32 v1, 26
	v_cmp_gt_i16_sdwa vcc, v11, v1 src0_sel:BYTE_0 src1_sel:DWORD
	s_and_saveexec_b64 s[74:75], vcc
	s_xor_b64 vcc, exec, s[74:75]
	s_cbranch_execz .LBB47_4175
; %bb.4170:
	v_cvt_u32_f32_e32 v1, v16
	v_mov_b32_e32 v4, 27
	v_cmp_gt_i16_sdwa s[74:75], v11, v4 src0_sel:BYTE_0 src1_sel:DWORD
	s_and_saveexec_b64 s[76:77], s[74:75]
	s_xor_b64 s[76:77], exec, s[76:77]
	s_cbranch_execz .LBB47_4172
; %bb.4171:
	flat_store_dword v[2:3], v1
                                        ; implicit-def: $vgpr2_vgpr3
                                        ; implicit-def: $vgpr1
.LBB47_4172:
	s_andn2_saveexec_b64 s[76:77], s[76:77]
	s_cbranch_execz .LBB47_4174
; %bb.4173:
	flat_store_short v[2:3], v1
.LBB47_4174:
	s_or_b64 exec, exec, s[76:77]
                                        ; implicit-def: $vgpr2_vgpr3
                                        ; implicit-def: $vgpr16
.LBB47_4175:
	s_andn2_saveexec_b64 s[86:87], vcc
	s_cbranch_execz .LBB47_4183
; %bb.4176:
	v_and_b32_e32 v1, 0x7fffffff, v16
	s_mov_b32 vcc_lo, 0x43800000
	v_cmp_gt_u32_e32 vcc, vcc_lo, v1
	v_mov_b32_e32 v4, 0x80
	s_and_saveexec_b64 s[84:85], vcc
	s_cbranch_execz .LBB47_4182
; %bb.4177:
	s_mov_b32 vcc_lo, 0x3bffffff
	v_cmp_lt_u32_e32 vcc, vcc_lo, v1
	s_mov_b64 s[82:83], 0
                                        ; implicit-def: $vgpr1
	s_and_saveexec_b64 s[74:75], vcc
	s_xor_b64 vcc, exec, s[74:75]
	s_cbranch_execnz .LBB47_7985
; %bb.4178:
	s_or_saveexec_b64 s[80:81], vcc
                                        ; implicit-def: $sgpr76
	s_xor_b64 exec, exec, s[80:81]
	s_cbranch_execnz .LBB47_7986
.LBB47_4179:
	s_or_b64 exec, exec, s[80:81]
	v_mov_b32_e32 v4, s76
	s_and_saveexec_b64 vcc, s[82:83]
.LBB47_4180:
	v_lshrrev_b32_e32 v4, 24, v16
	s_movk_i32 s74, 0x80
	v_and_or_b32 v4, v4, s74, v1
.LBB47_4181:
	s_or_b64 exec, exec, vcc
.LBB47_4182:
	s_or_b64 exec, exec, s[84:85]
	flat_store_byte v[2:3], v4
.LBB47_4183:
	s_or_b64 exec, exec, s[86:87]
	s_or_b64 s[4:5], s[4:5], exec
.LBB47_4184:
	s_or_b64 exec, exec, s[88:89]
	v_readlane_b32 vcc_lo, v43, 30
	v_readlane_b32 vcc_hi, v43, 31
	s_andn2_b64 vcc, vcc, exec
	s_and_b64 s[74:75], s[92:93], exec
	s_or_b64 s[92:93], vcc, s[74:75]
	s_and_b64 s[88:89], s[4:5], exec
                                        ; implicit-def: $vgpr16
                                        ; implicit-def: $vgpr2_vgpr3
.LBB47_4185:
	s_andn2_saveexec_b64 s[90:91], s[90:91]
	s_cbranch_execz .LBB47_4229
; %bb.4186:
	v_mov_b32_e32 v1, 22
	v_cmp_gt_i16_sdwa vcc, v11, v1 src0_sel:BYTE_0 src1_sel:DWORD
	s_mov_b64 s[4:5], s[88:89]
	s_and_saveexec_b64 s[74:75], vcc
	s_xor_b64 s[86:87], exec, s[74:75]
	s_cbranch_execz .LBB47_4218
; %bb.4187:
	v_mov_b32_e32 v1, 23
	v_cmp_gt_i16_sdwa s[4:5], v11, v1 src0_sel:BYTE_0 src1_sel:DWORD
	s_and_saveexec_b64 vcc, s[4:5]
	s_xor_b64 vcc, exec, vcc
	v_writelane_b32 v43, vcc_lo, 44
	v_writelane_b32 v43, vcc_hi, 45
	s_cbranch_execz .LBB47_4207
; %bb.4188:
	v_mov_b32_e32 v1, 24
	v_cmp_gt_i16_sdwa s[4:5], v11, v1 src0_sel:BYTE_0 src1_sel:DWORD
	s_and_saveexec_b64 vcc, s[4:5]
	s_xor_b64 s[4:5], exec, vcc
	s_cbranch_execz .LBB47_4196
; %bb.4189:
	v_and_b32_e32 v1, 0x7fffffff, v16
	s_mov_b32 vcc_lo, 0x47800000
	v_cmp_gt_u32_e32 vcc, vcc_lo, v1
	v_mov_b32_e32 v4, 0x80
	s_and_saveexec_b64 s[84:85], vcc
	s_cbranch_execz .LBB47_4195
; %bb.4190:
	s_mov_b32 vcc_lo, 0x37ffffff
	v_cmp_lt_u32_e32 vcc, vcc_lo, v1
	s_mov_b64 s[82:83], 0
                                        ; implicit-def: $vgpr1
	s_and_saveexec_b64 s[74:75], vcc
	s_xor_b64 vcc, exec, s[74:75]
	s_cbranch_execnz .LBB47_7987
; %bb.4191:
	s_or_saveexec_b64 s[80:81], vcc
                                        ; implicit-def: $sgpr76
	s_xor_b64 exec, exec, s[80:81]
	s_cbranch_execnz .LBB47_7988
.LBB47_4192:
	s_or_b64 exec, exec, s[80:81]
	v_mov_b32_e32 v4, s76
	s_and_saveexec_b64 vcc, s[82:83]
.LBB47_4193:
	v_lshrrev_b32_e32 v4, 24, v16
	s_movk_i32 s74, 0x80
	v_and_or_b32 v4, v4, s74, v1
.LBB47_4194:
	s_or_b64 exec, exec, vcc
.LBB47_4195:
	s_or_b64 exec, exec, s[84:85]
	flat_store_byte v[2:3], v4
                                        ; implicit-def: $vgpr16
                                        ; implicit-def: $vgpr2_vgpr3
.LBB47_4196:
	s_andn2_saveexec_b64 s[4:5], s[4:5]
	s_cbranch_execz .LBB47_4206
; %bb.4197:
	v_and_b32_e32 v4, 0x7fffffff, v16
	s_mov_b32 vcc_lo, 0x43f00000
	v_cmp_gt_u32_e32 vcc, vcc_lo, v4
                                        ; implicit-def: $vgpr1
	s_and_saveexec_b64 s[74:75], vcc
	s_xor_b64 s[80:81], exec, s[74:75]
	s_cbranch_execz .LBB47_4203
; %bb.4198:
	s_mov_b32 vcc_lo, 0x3c7fffff
	v_cmp_lt_u32_e32 vcc, vcc_lo, v4
                                        ; implicit-def: $vgpr1
	s_and_saveexec_b64 s[74:75], vcc
	s_xor_b64 s[78:79], exec, s[74:75]
; %bb.4199:
	v_bfe_u32 v1, v16, 20, 1
	s_mov_b32 vcc_lo, 0x407ffff
	v_add3_u32 v1, v16, v1, vcc_lo
	v_lshrrev_b32_e32 v4, 20, v1
	v_and_b32_e32 v1, 0xff00000, v1
	s_mov_b32 vcc_lo, 0x7f00000
	v_mov_b32_e32 v5, 0x7e
	v_cmp_ne_u32_e32 vcc, vcc_lo, v1
	v_cndmask_b32_e32 v1, v5, v4, vcc
; %bb.4200:
	s_andn2_saveexec_b64 vcc, s[78:79]
; %bb.4201:
	s_mov_b32 s74, 0x46800000
	v_add_f32_e64 v1, |v16|, s74
; %bb.4202:
	s_or_b64 exec, exec, vcc
                                        ; implicit-def: $vgpr4
.LBB47_4203:
	s_andn2_saveexec_b64 s[80:81], s[80:81]
; %bb.4204:
	s_mov_b32 vcc_lo, 0x7f800000
	v_mov_b32_e32 v1, 0x7e
	v_mov_b32_e32 v5, 0x7f
	v_cmp_lt_u32_e32 vcc, vcc_lo, v4
	v_cndmask_b32_e32 v1, v1, v5, vcc
; %bb.4205:
	s_or_b64 exec, exec, s[80:81]
	v_lshrrev_b32_e32 v4, 24, v16
	s_movk_i32 vcc_lo, 0x80
	v_and_or_b32 v1, v4, vcc_lo, v1
	flat_store_byte v[2:3], v1
.LBB47_4206:
	s_or_b64 exec, exec, s[4:5]
                                        ; implicit-def: $vgpr16
                                        ; implicit-def: $vgpr2_vgpr3
.LBB47_4207:
	v_readlane_b32 s4, v43, 44
	v_readlane_b32 s5, v43, 45
	s_andn2_saveexec_b64 s[4:5], s[4:5]
	s_cbranch_execz .LBB47_4217
; %bb.4208:
	v_and_b32_e32 v4, 0x7fffffff, v16
	s_mov_b32 vcc_lo, 0x47800000
	v_cmp_gt_u32_e32 vcc, vcc_lo, v4
                                        ; implicit-def: $vgpr1
	s_and_saveexec_b64 s[74:75], vcc
	s_xor_b64 s[80:81], exec, s[74:75]
	s_cbranch_execz .LBB47_4214
; %bb.4209:
	s_mov_b32 vcc_lo, 0x387fffff
	v_cmp_lt_u32_e32 vcc, vcc_lo, v4
                                        ; implicit-def: $vgpr1
	s_and_saveexec_b64 s[74:75], vcc
	s_xor_b64 vcc, exec, s[74:75]
; %bb.4210:
	v_bfe_u32 v1, v16, 21, 1
	s_mov_b32 s74, 0x80fffff
	v_add3_u32 v1, v16, v1, s74
	v_lshrrev_b32_e32 v1, 21, v1
; %bb.4211:
	s_andn2_saveexec_b64 vcc, vcc
; %bb.4212:
	s_mov_b32 s74, 0x43000000
	v_add_f32_e64 v1, |v16|, s74
; %bb.4213:
	s_or_b64 exec, exec, vcc
                                        ; implicit-def: $vgpr4
.LBB47_4214:
	s_andn2_saveexec_b64 s[80:81], s[80:81]
; %bb.4215:
	s_mov_b32 vcc_lo, 0x7f800000
	v_mov_b32_e32 v1, 0x7c
	v_mov_b32_e32 v5, 0x7f
	v_cmp_lt_u32_e32 vcc, vcc_lo, v4
	v_cndmask_b32_e32 v1, v1, v5, vcc
; %bb.4216:
	s_or_b64 exec, exec, s[80:81]
	v_lshrrev_b32_e32 v4, 24, v16
	s_movk_i32 vcc_lo, 0x80
	v_and_or_b32 v1, v4, vcc_lo, v1
	flat_store_byte v[2:3], v1
.LBB47_4217:
	s_or_b64 exec, exec, s[4:5]
	s_or_b64 s[4:5], s[88:89], exec
                                        ; implicit-def: $vgpr16
                                        ; implicit-def: $vgpr2_vgpr3
.LBB47_4218:
	s_or_saveexec_b64 s[86:87], s[86:87]
	s_mov_b64 vcc, s[92:93]
	s_xor_b64 exec, exec, s[86:87]
	s_cbranch_execz .LBB47_4228
; %bb.4219:
	v_mov_b32_e32 v1, 14
	v_cmp_gt_i16_sdwa vcc, v11, v1 src0_sel:BYTE_0 src1_sel:DWORD
	s_mov_b64 s[84:85], s[4:5]
	s_mov_b64 s[82:83], s[92:93]
	s_and_saveexec_b64 s[74:75], vcc
	s_xor_b64 s[80:81], exec, s[74:75]
	s_cbranch_execz .LBB47_4223
; %bb.4220:
	v_mov_b32_e32 v1, 15
	v_cmp_eq_u16_sdwa s[74:75], v11, v1 src0_sel:BYTE_0 src1_sel:DWORD
	s_mov_b64 s[78:79], -1
	s_mov_b64 vcc, s[4:5]
	s_and_saveexec_b64 s[82:83], s[74:75]
	s_cbranch_execz .LBB47_4222
; %bb.4221:
	v_bfe_u32 v1, v16, 16, 1
	s_movk_i32 vcc_lo, 0x7fff
	v_add3_u32 v1, v16, v1, vcc_lo
	v_lshrrev_b32_e32 v1, 16, v1
	v_mov_b32_e32 v4, 0x7fc0
	v_cmp_o_f32_e32 vcc, v16, v16
	v_cndmask_b32_e32 v1, v4, v1, vcc
	flat_store_short v[2:3], v1
	s_xor_b64 s[78:79], exec, -1
	s_or_b64 vcc, s[4:5], exec
.LBB47_4222:
	s_or_b64 exec, exec, s[82:83]
	s_andn2_b64 s[74:75], s[92:93], exec
	s_and_b64 s[76:77], s[78:79], exec
	s_or_b64 s[82:83], s[74:75], s[76:77]
	s_andn2_b64 s[74:75], s[4:5], exec
	s_and_b64 vcc, vcc, exec
	s_or_b64 s[84:85], s[74:75], vcc
                                        ; implicit-def: $vgpr16
                                        ; implicit-def: $vgpr2_vgpr3
.LBB47_4223:
	s_andn2_saveexec_b64 s[80:81], s[80:81]
	s_cbranch_execz .LBB47_4227
; %bb.4224:
	v_mov_b32_e32 v1, 11
	v_cmp_eq_u16_sdwa s[74:75], v11, v1 src0_sel:BYTE_0 src1_sel:DWORD
	s_mov_b64 s[78:79], -1
	s_mov_b64 vcc, s[84:85]
	s_and_saveexec_b64 s[76:77], s[74:75]
	s_cbranch_execz .LBB47_4226
; %bb.4225:
	v_cmp_neq_f32_e32 vcc, 0, v16
	v_cndmask_b32_e64 v1, 0, 1, vcc
	flat_store_byte v[2:3], v1
	s_xor_b64 s[78:79], exec, -1
	s_or_b64 vcc, s[84:85], exec
.LBB47_4226:
	s_or_b64 exec, exec, s[76:77]
	s_andn2_b64 s[74:75], s[82:83], exec
	s_and_b64 s[76:77], s[78:79], exec
	s_or_b64 s[82:83], s[74:75], s[76:77]
	s_andn2_b64 s[74:75], s[84:85], exec
	s_and_b64 vcc, vcc, exec
	s_or_b64 s[84:85], s[74:75], vcc
.LBB47_4227:
	s_or_b64 exec, exec, s[80:81]
	s_andn2_b64 vcc, s[92:93], exec
	s_and_b64 s[74:75], s[82:83], exec
	s_or_b64 vcc, vcc, s[74:75]
	s_andn2_b64 s[4:5], s[4:5], exec
	s_and_b64 s[74:75], s[84:85], exec
	s_or_b64 s[4:5], s[4:5], s[74:75]
.LBB47_4228:
	s_or_b64 exec, exec, s[86:87]
	s_andn2_b64 s[74:75], s[92:93], exec
	s_and_b64 vcc, vcc, exec
	s_or_b64 s[92:93], s[74:75], vcc
	s_andn2_b64 vcc, s[88:89], exec
	s_and_b64 s[4:5], s[4:5], exec
	s_or_b64 s[88:89], vcc, s[4:5]
.LBB47_4229:
	s_or_b64 exec, exec, s[90:91]
	v_readlane_b32 s4, v43, 30
	v_readlane_b32 s5, v43, 31
	s_andn2_b64 s[4:5], s[4:5], exec
	s_and_b64 vcc, s[92:93], exec
	s_or_b64 s[90:91], s[4:5], vcc
	s_and_b64 s[4:5], s[88:89], exec
                                        ; implicit-def: $vgpr16
                                        ; implicit-def: $vgpr2_vgpr3
.LBB47_4230:
	v_readlane_b32 vcc_lo, v43, 42
	v_readlane_b32 vcc_hi, v43, 43
	s_andn2_saveexec_b64 s[92:93], vcc
	s_cbranch_execz .LBB47_4272
; %bb.4231:
	v_mov_b32_e32 v1, 4
	v_cmp_gt_i16_sdwa vcc, v11, v1 src0_sel:BYTE_0 src1_sel:DWORD
	s_and_saveexec_b64 s[74:75], vcc
	s_xor_b64 vcc, exec, s[74:75]
	s_cbranch_execz .LBB47_4253
; %bb.4232:
	v_mov_b32_e32 v1, 7
	v_cmp_gt_i16_sdwa s[74:75], v11, v1 src0_sel:BYTE_0 src1_sel:DWORD
	s_and_saveexec_b64 s[76:77], s[74:75]
	s_xor_b64 s[84:85], exec, s[76:77]
	s_cbranch_execz .LBB47_4242
; %bb.4233:
	v_mov_b32_e32 v1, 8
	v_cmp_gt_i16_sdwa s[74:75], v11, v1 src0_sel:BYTE_0 src1_sel:DWORD
	s_and_saveexec_b64 s[76:77], s[74:75]
	s_xor_b64 s[82:83], exec, s[76:77]
	;; [unrolled: 6-line block ×3, first 2 shown]
	s_cbranch_execz .LBB47_4236
; %bb.4235:
	v_mov_b32_e32 v18, 0
	v_cvt_f64_f32_e32 v[16:17], v16
	v_mov_b32_e32 v19, v18
	flat_store_dwordx4 v[2:3], v[16:19]
                                        ; implicit-def: $vgpr16
                                        ; implicit-def: $vgpr2_vgpr3
.LBB47_4236:
	s_andn2_saveexec_b64 s[76:77], s[78:79]
	s_cbranch_execz .LBB47_4238
; %bb.4237:
	v_mov_b32_e32 v17, 0
	flat_store_dwordx2 v[2:3], v[16:17]
.LBB47_4238:
	s_or_b64 exec, exec, s[76:77]
                                        ; implicit-def: $vgpr16
                                        ; implicit-def: $vgpr2_vgpr3
.LBB47_4239:
	s_andn2_saveexec_b64 s[76:77], s[82:83]
	s_cbranch_execz .LBB47_4241
; %bb.4240:
	v_cvt_f16_f32_e32 v1, v16
	flat_store_dword v[2:3], v1
.LBB47_4241:
	s_or_b64 exec, exec, s[76:77]
                                        ; implicit-def: $vgpr16
                                        ; implicit-def: $vgpr2_vgpr3
.LBB47_4242:
	s_andn2_saveexec_b64 s[82:83], s[84:85]
	s_cbranch_execz .LBB47_4252
; %bb.4243:
	v_mov_b32_e32 v1, 5
	v_cmp_gt_i16_sdwa s[74:75], v11, v1 src0_sel:BYTE_0 src1_sel:DWORD
	s_and_saveexec_b64 s[76:77], s[74:75]
	s_xor_b64 s[80:81], exec, s[76:77]
	s_cbranch_execz .LBB47_4249
; %bb.4244:
	v_mov_b32_e32 v1, 6
	v_cmp_gt_i16_sdwa s[74:75], v11, v1 src0_sel:BYTE_0 src1_sel:DWORD
	s_and_saveexec_b64 s[76:77], s[74:75]
	s_xor_b64 s[76:77], exec, s[76:77]
	s_cbranch_execz .LBB47_4246
; %bb.4245:
	v_cvt_f64_f32_e32 v[4:5], v16
	flat_store_dwordx2 v[2:3], v[4:5]
                                        ; implicit-def: $vgpr2_vgpr3
                                        ; implicit-def: $vgpr16
.LBB47_4246:
	s_andn2_saveexec_b64 s[76:77], s[76:77]
	s_cbranch_execz .LBB47_4248
; %bb.4247:
	flat_store_dword v[2:3], v16
.LBB47_4248:
	s_or_b64 exec, exec, s[76:77]
                                        ; implicit-def: $vgpr16
                                        ; implicit-def: $vgpr2_vgpr3
.LBB47_4249:
	s_andn2_saveexec_b64 s[76:77], s[80:81]
	s_cbranch_execz .LBB47_4251
; %bb.4250:
	v_cvt_f16_f32_e32 v1, v16
	flat_store_short v[2:3], v1
.LBB47_4251:
	s_or_b64 exec, exec, s[76:77]
.LBB47_4252:
	s_or_b64 exec, exec, s[82:83]
                                        ; implicit-def: $vgpr16
                                        ; implicit-def: $vgpr2_vgpr3
.LBB47_4253:
	s_andn2_saveexec_b64 s[88:89], vcc
	s_cbranch_execz .LBB47_4271
; %bb.4254:
	v_mov_b32_e32 v1, 1
	v_cmp_gt_i16_sdwa vcc, v11, v1 src0_sel:BYTE_0 src1_sel:DWORD
	s_and_saveexec_b64 s[74:75], vcc
	s_xor_b64 s[84:85], exec, s[74:75]
	s_cbranch_execz .LBB47_4264
; %bb.4255:
	v_mov_b32_e32 v1, 2
	v_cmp_gt_i16_sdwa vcc, v11, v1 src0_sel:BYTE_0 src1_sel:DWORD
	s_and_saveexec_b64 s[74:75], vcc
	s_xor_b64 s[82:83], exec, s[74:75]
	s_cbranch_execz .LBB47_4261
; %bb.4256:
	v_mov_b32_e32 v1, 3
	v_cmp_gt_i16_sdwa vcc, v11, v1 src0_sel:BYTE_0 src1_sel:DWORD
	s_and_saveexec_b64 s[74:75], vcc
	s_xor_b64 s[80:81], exec, s[74:75]
	s_cbranch_execz .LBB47_4258
; %bb.4257:
	v_trunc_f32_e32 v1, v16
	s_mov_b32 s74, 0x2f800000
	v_mul_f32_e64 v4, |v1|, s74
	v_floor_f32_e32 v4, v4
	s_mov_b32 s74, 0xcf800000
	v_cvt_u32_f32_e32 v5, v4
	v_fma_f32 v4, v4, s74, |v1|
	v_cvt_u32_f32_e32 v4, v4
	v_ashrrev_i32_e32 v1, 31, v1
	v_xor_b32_e32 v5, v5, v1
                                        ; implicit-def: $vgpr16
	v_xor_b32_e32 v4, v4, v1
	v_sub_co_u32_e32 v4, vcc, v4, v1
	v_subb_co_u32_e32 v5, vcc, v5, v1, vcc
	flat_store_dwordx2 v[2:3], v[4:5]
                                        ; implicit-def: $vgpr2_vgpr3
.LBB47_4258:
	s_andn2_saveexec_b64 vcc, s[80:81]
	s_cbranch_execz .LBB47_4260
; %bb.4259:
	v_cvt_i32_f32_e32 v1, v16
	flat_store_dword v[2:3], v1
.LBB47_4260:
	s_or_b64 exec, exec, vcc
                                        ; implicit-def: $vgpr16
                                        ; implicit-def: $vgpr2_vgpr3
.LBB47_4261:
	s_andn2_saveexec_b64 vcc, s[82:83]
	s_cbranch_execz .LBB47_4263
; %bb.4262:
	v_cvt_i32_f32_e32 v1, v16
	flat_store_short v[2:3], v1
.LBB47_4263:
	s_or_b64 exec, exec, vcc
                                        ; implicit-def: $vgpr16
                                        ; implicit-def: $vgpr2_vgpr3
.LBB47_4264:
	s_andn2_saveexec_b64 vcc, s[84:85]
	s_cbranch_execz .LBB47_4270
; %bb.4265:
	v_mov_b32_e32 v1, 0
	v_cmp_gt_i16_sdwa s[74:75], v11, v1 src0_sel:BYTE_0 src1_sel:DWORD
	s_and_saveexec_b64 s[76:77], s[74:75]
	s_xor_b64 s[76:77], exec, s[76:77]
	s_cbranch_execz .LBB47_4267
; %bb.4266:
	v_cvt_i32_f32_e32 v1, v16
                                        ; implicit-def: $vgpr16
	flat_store_byte v[2:3], v1
                                        ; implicit-def: $vgpr2_vgpr3
.LBB47_4267:
	s_andn2_saveexec_b64 s[80:81], s[76:77]
	s_cbranch_execz .LBB47_4269
; %bb.4268:
	v_trunc_f32_e32 v1, v16
	s_mov_b32 s74, 0x2f800000
	v_mul_f32_e64 v4, |v1|, s74
	v_floor_f32_e32 v4, v4
	s_mov_b32 s74, 0xcf800000
	v_fma_f32 v4, v4, s74, |v1|
	v_cvt_u32_f32_e32 v4, v4
	v_ashrrev_i32_e32 v1, 31, v1
	v_xor_b32_e32 v4, v4, v1
	v_sub_u32_e32 v1, v4, v1
	flat_store_byte v[2:3], v1
.LBB47_4269:
	s_or_b64 exec, exec, s[80:81]
.LBB47_4270:
	s_or_b64 exec, exec, vcc
.LBB47_4271:
	s_or_b64 exec, exec, s[88:89]
	s_or_b64 s[4:5], s[4:5], exec
.LBB47_4272:
	s_or_b64 exec, exec, s[92:93]
	s_mov_b64 vcc, 0
	s_and_saveexec_b64 s[76:77], s[4:5]
; %bb.4273:
	s_mov_b64 vcc, exec
	v_add_u32_e32 v101, 0x200, v101
; %bb.4274:
	s_or_b64 exec, exec, s[76:77]
	v_readlane_b32 s4, v43, 30
	v_readlane_b32 s5, v43, 31
	s_andn2_b64 s[4:5], s[4:5], exec
	s_and_b64 s[74:75], s[90:91], exec
	s_or_b64 s[4:5], s[4:5], s[74:75]
	v_writelane_b32 v43, s4, 38
	v_writelane_b32 v43, s5, 39
	s_orn2_b64 s[82:83], vcc, exec
.LBB47_4275:
	s_or_b64 exec, exec, s[96:97]
	s_mov_b64 s[4:5], 0
	s_mov_b64 vcc, 0
	s_mov_b64 s[80:81], 0
                                        ; implicit-def: $vgpr4
                                        ; implicit-def: $vgpr2_vgpr3
	s_mov_b64 s[74:75], exec
	v_writelane_b32 v43, s74, 40
	v_writelane_b32 v43, s75, 41
	s_and_b64 s[74:75], s[74:75], s[82:83]
	s_mov_b64 exec, s[74:75]
	s_cbranch_execz .LBB47_4757
; %bb.4276:
	v_readlane_b32 s4, v43, 38
	v_readlane_b32 s5, v43, 39
	v_cmp_lt_i32_e32 vcc, v101, v6
	s_mov_b64 s[82:83], -1
	v_writelane_b32 v43, s4, 46
	v_writelane_b32 v43, s5, 47
	s_and_saveexec_b64 s[96:97], vcc
	s_cbranch_execz .LBB47_4404
; %bb.4277:
	v_readlane_b32 s4, v44, 1
	v_add_u32_e32 v1, s4, v101
	v_mul_lo_u32 v1, v1, v12
	v_add_co_u32_e32 v2, vcc, v114, v1
	v_addc_co_u32_e32 v3, vcc, 0, v13, vcc
	v_mov_b32_e32 v1, 10
	v_readlane_b32 s90, v43, 38
	v_cmp_gt_i16_sdwa vcc, v11, v1 src0_sel:BYTE_0 src1_sel:DWORD
	s_mov_b64 s[4:5], 0
	v_readlane_b32 s91, v43, 39
	s_and_saveexec_b64 s[74:75], vcc
	s_xor_b64 s[74:75], exec, s[74:75]
	v_writelane_b32 v43, s74, 50
	v_writelane_b32 v43, s75, 51
	s_cbranch_execz .LBB47_4359
; %bb.4278:
	v_mov_b32_e32 v1, 25
	v_readlane_b32 s92, v43, 38
	v_cmp_gt_i16_sdwa s[4:5], v11, v1 src0_sel:BYTE_0 src1_sel:DWORD
	s_mov_b64 s[88:89], 0
	v_readlane_b32 s93, v43, 39
	s_and_saveexec_b64 vcc, s[4:5]
	s_xor_b64 s[90:91], exec, vcc
	s_cbranch_execz .LBB47_4314
; %bb.4279:
	v_mov_b32_e32 v1, 28
	v_readlane_b32 s92, v43, 38
	v_cmp_gt_i16_sdwa vcc, v11, v1 src0_sel:BYTE_0 src1_sel:DWORD
	s_mov_b64 s[4:5], 0
	v_readlane_b32 s93, v43, 39
	s_and_saveexec_b64 s[74:75], vcc
	s_xor_b64 s[88:89], exec, s[74:75]
	s_cbranch_execz .LBB47_4297
; %bb.4280:
	v_mov_b32_e32 v1, 43
	v_readlane_b32 vcc_lo, v43, 38
	v_cmp_gt_i16_sdwa s[74:75], v11, v1 src0_sel:BYTE_0 src1_sel:DWORD
	v_readlane_b32 vcc_hi, v43, 39
	s_and_saveexec_b64 s[76:77], s[74:75]
	s_xor_b64 s[76:77], exec, s[76:77]
	s_cbranch_execz .LBB47_4292
; %bb.4281:
	v_mov_b32_e32 v1, 45
	v_readlane_b32 s84, v43, 38
	v_cmp_gt_i16_sdwa s[4:5], v11, v1 src0_sel:BYTE_0 src1_sel:DWORD
	s_mov_b64 s[86:87], 0
	v_readlane_b32 s85, v43, 39
	s_and_saveexec_b64 vcc, s[4:5]
	s_xor_b64 s[4:5], exec, vcc
	s_cbranch_execz .LBB47_4285
; %bb.4282:
	v_mov_b32_e32 v1, 46
	v_cmp_eq_u16_sdwa s[74:75], v11, v1 src0_sel:BYTE_0 src1_sel:DWORD
	s_mov_b64 vcc, -1
	s_and_saveexec_b64 s[82:83], s[74:75]
	s_cbranch_execz .LBB47_4284
; %bb.4283:
	v_bfe_u32 v1, v14, 16, 1
	s_movk_i32 vcc_lo, 0x7fff
	v_add3_u32 v1, v14, v1, vcc_lo
	v_lshrrev_b32_e32 v1, 16, v1
	v_mov_b32_e32 v4, 0x7fc0
	v_cmp_o_f32_e32 vcc, v14, v14
	v_cndmask_b32_e32 v1, v4, v1, vcc
	s_mov_b64 s[80:81], exec
	flat_store_dword v[2:3], v1
	s_xor_b64 vcc, exec, -1
.LBB47_4284:
	s_or_b64 exec, exec, s[82:83]
	v_readlane_b32 s74, v43, 38
	v_readlane_b32 s75, v43, 39
	s_andn2_b64 s[74:75], s[74:75], exec
	s_and_b64 vcc, vcc, exec
	s_or_b64 s[84:85], s[74:75], vcc
	s_and_b64 s[86:87], s[80:81], exec
                                        ; implicit-def: $vgpr2_vgpr3
                                        ; implicit-def: $vgpr14
.LBB47_4285:
	s_andn2_saveexec_b64 s[92:93], s[4:5]
	s_cbranch_execz .LBB47_4291
; %bb.4286:
	v_mov_b32_e32 v1, 44
	v_cmp_eq_u16_sdwa s[74:75], v11, v1 src0_sel:BYTE_0 src1_sel:DWORD
	s_mov_b64 vcc, -1
	s_mov_b64 s[4:5], s[86:87]
	s_and_saveexec_b64 s[80:81], s[74:75]
	s_cbranch_execz .LBB47_4290
; %bb.4287:
	v_bfe_u32 v1, v14, 23, 8
	s_movk_i32 s4, 0xff
	v_cmp_ne_u32_e32 vcc, s4, v1
	v_mov_b32_e32 v4, 0xff
	s_and_saveexec_b64 s[82:83], vcc
; %bb.4288:
	s_mov_b32 s4, 0x3fffff
	v_and_b32_e32 v5, 0x400000, v14
	v_and_or_b32 v1, v14, s4, v1
	v_cmp_ne_u32_e32 vcc, 0, v5
	v_cmp_ne_u32_e64 s[4:5], 0, v1
	s_and_b64 s[4:5], vcc, s[4:5]
	v_lshrrev_b32_e32 v4, 23, v14
	v_cndmask_b32_e64 v1, 0, 1, s[4:5]
	v_add_u32_e32 v4, v4, v1
; %bb.4289:
	s_or_b64 exec, exec, s[82:83]
	s_xor_b64 vcc, exec, -1
	s_or_b64 s[4:5], s[86:87], exec
	flat_store_byte v[2:3], v4
.LBB47_4290:
	s_or_b64 exec, exec, s[80:81]
	s_andn2_b64 s[74:75], s[84:85], exec
	s_and_b64 vcc, vcc, exec
	s_or_b64 s[84:85], s[74:75], vcc
	s_andn2_b64 vcc, s[86:87], exec
	s_and_b64 s[4:5], s[4:5], exec
	s_or_b64 s[86:87], vcc, s[4:5]
.LBB47_4291:
	s_or_b64 exec, exec, s[92:93]
	v_readlane_b32 s4, v43, 38
	v_readlane_b32 s5, v43, 39
	s_andn2_b64 s[4:5], s[4:5], exec
	s_and_b64 vcc, s[84:85], exec
	s_or_b64 vcc, s[4:5], vcc
	s_and_b64 s[4:5], s[86:87], exec
                                        ; implicit-def: $vgpr14
                                        ; implicit-def: $vgpr2_vgpr3
.LBB47_4292:
	s_andn2_saveexec_b64 s[82:83], s[76:77]
	s_cbranch_execz .LBB47_4296
; %bb.4293:
	v_mov_b32_e32 v1, 29
	v_cmp_eq_u16_sdwa s[74:75], v11, v1 src0_sel:BYTE_0 src1_sel:DWORD
	s_mov_b64 s[86:87], -1
	s_mov_b64 s[84:85], s[4:5]
	s_and_saveexec_b64 s[80:81], s[74:75]
	s_cbranch_execz .LBB47_4295
; %bb.4294:
	v_trunc_f32_e32 v1, v14
	v_mul_f32_e32 v4, 0x2f800000, v1
	v_floor_f32_e32 v4, v4
	v_fmac_f32_e32 v1, 0xcf800000, v4
	v_cvt_u32_f32_e32 v5, v4
	v_cvt_u32_f32_e32 v4, v1
	s_xor_b64 s[86:87], exec, -1
	s_or_b64 s[84:85], s[4:5], exec
	flat_store_dwordx2 v[2:3], v[4:5]
.LBB47_4295:
	s_or_b64 exec, exec, s[80:81]
	s_andn2_b64 vcc, vcc, exec
	s_and_b64 s[74:75], s[86:87], exec
	s_or_b64 vcc, vcc, s[74:75]
	s_andn2_b64 s[4:5], s[4:5], exec
	s_and_b64 s[74:75], s[84:85], exec
	s_or_b64 s[4:5], s[4:5], s[74:75]
.LBB47_4296:
	s_or_b64 exec, exec, s[82:83]
	v_readlane_b32 s74, v43, 38
	v_readlane_b32 s75, v43, 39
	s_andn2_b64 s[74:75], s[74:75], exec
	s_and_b64 vcc, vcc, exec
	s_or_b64 s[92:93], s[74:75], vcc
	s_and_b64 s[4:5], s[4:5], exec
                                        ; implicit-def: $vgpr2_vgpr3
                                        ; implicit-def: $vgpr14
.LBB47_4297:
	s_andn2_saveexec_b64 s[88:89], s[88:89]
	s_cbranch_execz .LBB47_4313
; %bb.4298:
	v_mov_b32_e32 v1, 26
	v_cmp_gt_i16_sdwa vcc, v11, v1 src0_sel:BYTE_0 src1_sel:DWORD
	s_and_saveexec_b64 s[74:75], vcc
	s_xor_b64 vcc, exec, s[74:75]
	s_cbranch_execz .LBB47_4304
; %bb.4299:
	v_cvt_u32_f32_e32 v1, v14
	v_mov_b32_e32 v4, 27
	v_cmp_gt_i16_sdwa s[74:75], v11, v4 src0_sel:BYTE_0 src1_sel:DWORD
	s_and_saveexec_b64 s[76:77], s[74:75]
	s_xor_b64 s[76:77], exec, s[76:77]
	s_cbranch_execz .LBB47_4301
; %bb.4300:
	flat_store_dword v[2:3], v1
                                        ; implicit-def: $vgpr2_vgpr3
                                        ; implicit-def: $vgpr1
.LBB47_4301:
	s_andn2_saveexec_b64 s[76:77], s[76:77]
	s_cbranch_execz .LBB47_4303
; %bb.4302:
	flat_store_short v[2:3], v1
.LBB47_4303:
	s_or_b64 exec, exec, s[76:77]
                                        ; implicit-def: $vgpr2_vgpr3
                                        ; implicit-def: $vgpr14
.LBB47_4304:
	s_andn2_saveexec_b64 s[86:87], vcc
	s_cbranch_execz .LBB47_4312
; %bb.4305:
	v_and_b32_e32 v1, 0x7fffffff, v14
	s_mov_b32 vcc_lo, 0x43800000
	v_cmp_gt_u32_e32 vcc, vcc_lo, v1
	v_mov_b32_e32 v4, 0x80
	s_and_saveexec_b64 s[84:85], vcc
	s_cbranch_execz .LBB47_4311
; %bb.4306:
	s_mov_b32 vcc_lo, 0x3bffffff
	v_cmp_lt_u32_e32 vcc, vcc_lo, v1
	s_mov_b64 s[82:83], 0
                                        ; implicit-def: $vgpr1
	s_and_saveexec_b64 s[74:75], vcc
	s_xor_b64 vcc, exec, s[74:75]
	s_cbranch_execnz .LBB47_7989
; %bb.4307:
	s_or_saveexec_b64 s[80:81], vcc
                                        ; implicit-def: $sgpr76
	s_xor_b64 exec, exec, s[80:81]
	s_cbranch_execnz .LBB47_7990
.LBB47_4308:
	s_or_b64 exec, exec, s[80:81]
	v_mov_b32_e32 v4, s76
	s_and_saveexec_b64 vcc, s[82:83]
.LBB47_4309:
	v_lshrrev_b32_e32 v4, 24, v14
	s_movk_i32 s74, 0x80
	v_and_or_b32 v4, v4, s74, v1
.LBB47_4310:
	s_or_b64 exec, exec, vcc
.LBB47_4311:
	s_or_b64 exec, exec, s[84:85]
	flat_store_byte v[2:3], v4
.LBB47_4312:
	s_or_b64 exec, exec, s[86:87]
	s_or_b64 s[4:5], s[4:5], exec
.LBB47_4313:
	s_or_b64 exec, exec, s[88:89]
	v_readlane_b32 vcc_lo, v43, 38
	v_readlane_b32 vcc_hi, v43, 39
	s_andn2_b64 vcc, vcc, exec
	s_and_b64 s[74:75], s[92:93], exec
	s_or_b64 s[92:93], vcc, s[74:75]
	s_and_b64 s[88:89], s[4:5], exec
                                        ; implicit-def: $vgpr14
                                        ; implicit-def: $vgpr2_vgpr3
.LBB47_4314:
	s_andn2_saveexec_b64 s[90:91], s[90:91]
	s_cbranch_execz .LBB47_4358
; %bb.4315:
	v_mov_b32_e32 v1, 22
	v_cmp_gt_i16_sdwa vcc, v11, v1 src0_sel:BYTE_0 src1_sel:DWORD
	s_mov_b64 s[4:5], s[88:89]
	s_and_saveexec_b64 s[74:75], vcc
	s_xor_b64 s[86:87], exec, s[74:75]
	s_cbranch_execz .LBB47_4347
; %bb.4316:
	v_mov_b32_e32 v1, 23
	v_cmp_gt_i16_sdwa s[4:5], v11, v1 src0_sel:BYTE_0 src1_sel:DWORD
	s_and_saveexec_b64 vcc, s[4:5]
	s_xor_b64 vcc, exec, vcc
	v_writelane_b32 v43, vcc_lo, 52
	v_writelane_b32 v43, vcc_hi, 53
	s_cbranch_execz .LBB47_4336
; %bb.4317:
	v_mov_b32_e32 v1, 24
	v_cmp_gt_i16_sdwa s[4:5], v11, v1 src0_sel:BYTE_0 src1_sel:DWORD
	s_and_saveexec_b64 vcc, s[4:5]
	s_xor_b64 s[4:5], exec, vcc
	s_cbranch_execz .LBB47_4325
; %bb.4318:
	v_and_b32_e32 v1, 0x7fffffff, v14
	s_mov_b32 vcc_lo, 0x47800000
	v_cmp_gt_u32_e32 vcc, vcc_lo, v1
	v_mov_b32_e32 v4, 0x80
	s_and_saveexec_b64 s[84:85], vcc
	s_cbranch_execz .LBB47_4324
; %bb.4319:
	s_mov_b32 vcc_lo, 0x37ffffff
	v_cmp_lt_u32_e32 vcc, vcc_lo, v1
	s_mov_b64 s[82:83], 0
                                        ; implicit-def: $vgpr1
	s_and_saveexec_b64 s[74:75], vcc
	s_xor_b64 vcc, exec, s[74:75]
	s_cbranch_execnz .LBB47_7991
; %bb.4320:
	s_or_saveexec_b64 s[80:81], vcc
                                        ; implicit-def: $sgpr76
	s_xor_b64 exec, exec, s[80:81]
	s_cbranch_execnz .LBB47_7992
.LBB47_4321:
	s_or_b64 exec, exec, s[80:81]
	v_mov_b32_e32 v4, s76
	s_and_saveexec_b64 vcc, s[82:83]
.LBB47_4322:
	v_lshrrev_b32_e32 v4, 24, v14
	s_movk_i32 s74, 0x80
	v_and_or_b32 v4, v4, s74, v1
.LBB47_4323:
	s_or_b64 exec, exec, vcc
.LBB47_4324:
	s_or_b64 exec, exec, s[84:85]
	flat_store_byte v[2:3], v4
                                        ; implicit-def: $vgpr14
                                        ; implicit-def: $vgpr2_vgpr3
.LBB47_4325:
	s_andn2_saveexec_b64 s[4:5], s[4:5]
	s_cbranch_execz .LBB47_4335
; %bb.4326:
	v_and_b32_e32 v4, 0x7fffffff, v14
	s_mov_b32 vcc_lo, 0x43f00000
	v_cmp_gt_u32_e32 vcc, vcc_lo, v4
                                        ; implicit-def: $vgpr1
	s_and_saveexec_b64 s[74:75], vcc
	s_xor_b64 s[80:81], exec, s[74:75]
	s_cbranch_execz .LBB47_4332
; %bb.4327:
	s_mov_b32 vcc_lo, 0x3c7fffff
	v_cmp_lt_u32_e32 vcc, vcc_lo, v4
                                        ; implicit-def: $vgpr1
	s_and_saveexec_b64 s[74:75], vcc
	s_xor_b64 s[78:79], exec, s[74:75]
; %bb.4328:
	v_bfe_u32 v1, v14, 20, 1
	s_mov_b32 vcc_lo, 0x407ffff
	v_add3_u32 v1, v14, v1, vcc_lo
	v_lshrrev_b32_e32 v4, 20, v1
	v_and_b32_e32 v1, 0xff00000, v1
	s_mov_b32 vcc_lo, 0x7f00000
	v_mov_b32_e32 v5, 0x7e
	v_cmp_ne_u32_e32 vcc, vcc_lo, v1
	v_cndmask_b32_e32 v1, v5, v4, vcc
; %bb.4329:
	s_andn2_saveexec_b64 vcc, s[78:79]
; %bb.4330:
	s_mov_b32 s74, 0x46800000
	v_add_f32_e64 v1, |v14|, s74
; %bb.4331:
	s_or_b64 exec, exec, vcc
                                        ; implicit-def: $vgpr4
.LBB47_4332:
	s_andn2_saveexec_b64 s[80:81], s[80:81]
; %bb.4333:
	s_mov_b32 vcc_lo, 0x7f800000
	v_mov_b32_e32 v1, 0x7e
	v_mov_b32_e32 v5, 0x7f
	v_cmp_lt_u32_e32 vcc, vcc_lo, v4
	v_cndmask_b32_e32 v1, v1, v5, vcc
; %bb.4334:
	s_or_b64 exec, exec, s[80:81]
	v_lshrrev_b32_e32 v4, 24, v14
	s_movk_i32 vcc_lo, 0x80
	v_and_or_b32 v1, v4, vcc_lo, v1
	flat_store_byte v[2:3], v1
.LBB47_4335:
	s_or_b64 exec, exec, s[4:5]
                                        ; implicit-def: $vgpr14
                                        ; implicit-def: $vgpr2_vgpr3
.LBB47_4336:
	v_readlane_b32 s4, v43, 52
	v_readlane_b32 s5, v43, 53
	s_andn2_saveexec_b64 s[4:5], s[4:5]
	s_cbranch_execz .LBB47_4346
; %bb.4337:
	v_and_b32_e32 v4, 0x7fffffff, v14
	s_mov_b32 vcc_lo, 0x47800000
	v_cmp_gt_u32_e32 vcc, vcc_lo, v4
                                        ; implicit-def: $vgpr1
	s_and_saveexec_b64 s[74:75], vcc
	s_xor_b64 s[80:81], exec, s[74:75]
	s_cbranch_execz .LBB47_4343
; %bb.4338:
	s_mov_b32 vcc_lo, 0x387fffff
	v_cmp_lt_u32_e32 vcc, vcc_lo, v4
                                        ; implicit-def: $vgpr1
	s_and_saveexec_b64 s[74:75], vcc
	s_xor_b64 vcc, exec, s[74:75]
; %bb.4339:
	v_bfe_u32 v1, v14, 21, 1
	s_mov_b32 s74, 0x80fffff
	v_add3_u32 v1, v14, v1, s74
	v_lshrrev_b32_e32 v1, 21, v1
; %bb.4340:
	s_andn2_saveexec_b64 vcc, vcc
; %bb.4341:
	s_mov_b32 s74, 0x43000000
	v_add_f32_e64 v1, |v14|, s74
; %bb.4342:
	s_or_b64 exec, exec, vcc
                                        ; implicit-def: $vgpr4
.LBB47_4343:
	s_andn2_saveexec_b64 s[80:81], s[80:81]
; %bb.4344:
	s_mov_b32 vcc_lo, 0x7f800000
	v_mov_b32_e32 v1, 0x7c
	v_mov_b32_e32 v5, 0x7f
	v_cmp_lt_u32_e32 vcc, vcc_lo, v4
	v_cndmask_b32_e32 v1, v1, v5, vcc
; %bb.4345:
	s_or_b64 exec, exec, s[80:81]
	v_lshrrev_b32_e32 v4, 24, v14
	s_movk_i32 vcc_lo, 0x80
	v_and_or_b32 v1, v4, vcc_lo, v1
	flat_store_byte v[2:3], v1
.LBB47_4346:
	s_or_b64 exec, exec, s[4:5]
	s_or_b64 s[4:5], s[88:89], exec
                                        ; implicit-def: $vgpr14
                                        ; implicit-def: $vgpr2_vgpr3
.LBB47_4347:
	s_or_saveexec_b64 s[86:87], s[86:87]
	s_mov_b64 vcc, s[92:93]
	s_xor_b64 exec, exec, s[86:87]
	s_cbranch_execz .LBB47_4357
; %bb.4348:
	v_mov_b32_e32 v1, 14
	v_cmp_gt_i16_sdwa vcc, v11, v1 src0_sel:BYTE_0 src1_sel:DWORD
	s_mov_b64 s[84:85], s[4:5]
	s_mov_b64 s[82:83], s[92:93]
	s_and_saveexec_b64 s[74:75], vcc
	s_xor_b64 s[80:81], exec, s[74:75]
	s_cbranch_execz .LBB47_4352
; %bb.4349:
	v_mov_b32_e32 v1, 15
	v_cmp_eq_u16_sdwa s[74:75], v11, v1 src0_sel:BYTE_0 src1_sel:DWORD
	s_mov_b64 s[78:79], -1
	s_mov_b64 vcc, s[4:5]
	s_and_saveexec_b64 s[82:83], s[74:75]
	s_cbranch_execz .LBB47_4351
; %bb.4350:
	v_bfe_u32 v1, v14, 16, 1
	s_movk_i32 vcc_lo, 0x7fff
	v_add3_u32 v1, v14, v1, vcc_lo
	v_lshrrev_b32_e32 v1, 16, v1
	v_mov_b32_e32 v4, 0x7fc0
	v_cmp_o_f32_e32 vcc, v14, v14
	v_cndmask_b32_e32 v1, v4, v1, vcc
	flat_store_short v[2:3], v1
	s_xor_b64 s[78:79], exec, -1
	s_or_b64 vcc, s[4:5], exec
.LBB47_4351:
	s_or_b64 exec, exec, s[82:83]
	s_andn2_b64 s[74:75], s[92:93], exec
	s_and_b64 s[76:77], s[78:79], exec
	s_or_b64 s[82:83], s[74:75], s[76:77]
	s_andn2_b64 s[74:75], s[4:5], exec
	s_and_b64 vcc, vcc, exec
	s_or_b64 s[84:85], s[74:75], vcc
                                        ; implicit-def: $vgpr14
                                        ; implicit-def: $vgpr2_vgpr3
.LBB47_4352:
	s_andn2_saveexec_b64 s[80:81], s[80:81]
	s_cbranch_execz .LBB47_4356
; %bb.4353:
	v_mov_b32_e32 v1, 11
	v_cmp_eq_u16_sdwa s[74:75], v11, v1 src0_sel:BYTE_0 src1_sel:DWORD
	s_mov_b64 s[78:79], -1
	s_mov_b64 vcc, s[84:85]
	s_and_saveexec_b64 s[76:77], s[74:75]
	s_cbranch_execz .LBB47_4355
; %bb.4354:
	v_cmp_neq_f32_e32 vcc, 0, v14
	v_cndmask_b32_e64 v1, 0, 1, vcc
	flat_store_byte v[2:3], v1
	s_xor_b64 s[78:79], exec, -1
	s_or_b64 vcc, s[84:85], exec
.LBB47_4355:
	s_or_b64 exec, exec, s[76:77]
	s_andn2_b64 s[74:75], s[82:83], exec
	s_and_b64 s[76:77], s[78:79], exec
	s_or_b64 s[82:83], s[74:75], s[76:77]
	s_andn2_b64 s[74:75], s[84:85], exec
	s_and_b64 vcc, vcc, exec
	s_or_b64 s[84:85], s[74:75], vcc
.LBB47_4356:
	s_or_b64 exec, exec, s[80:81]
	s_andn2_b64 vcc, s[92:93], exec
	s_and_b64 s[74:75], s[82:83], exec
	s_or_b64 vcc, vcc, s[74:75]
	s_andn2_b64 s[4:5], s[4:5], exec
	s_and_b64 s[74:75], s[84:85], exec
	s_or_b64 s[4:5], s[4:5], s[74:75]
.LBB47_4357:
	s_or_b64 exec, exec, s[86:87]
	s_andn2_b64 s[74:75], s[92:93], exec
	s_and_b64 vcc, vcc, exec
	s_or_b64 s[92:93], s[74:75], vcc
	s_andn2_b64 vcc, s[88:89], exec
	s_and_b64 s[4:5], s[4:5], exec
	s_or_b64 s[88:89], vcc, s[4:5]
.LBB47_4358:
	s_or_b64 exec, exec, s[90:91]
	v_readlane_b32 s4, v43, 38
	v_readlane_b32 s5, v43, 39
	s_andn2_b64 s[4:5], s[4:5], exec
	s_and_b64 vcc, s[92:93], exec
	s_or_b64 s[90:91], s[4:5], vcc
	s_and_b64 s[4:5], s[88:89], exec
                                        ; implicit-def: $vgpr14
                                        ; implicit-def: $vgpr2_vgpr3
.LBB47_4359:
	v_readlane_b32 vcc_lo, v43, 50
	v_readlane_b32 vcc_hi, v43, 51
	s_andn2_saveexec_b64 s[92:93], vcc
	s_cbranch_execz .LBB47_4401
; %bb.4360:
	v_mov_b32_e32 v1, 4
	v_cmp_gt_i16_sdwa vcc, v11, v1 src0_sel:BYTE_0 src1_sel:DWORD
	s_and_saveexec_b64 s[74:75], vcc
	s_xor_b64 vcc, exec, s[74:75]
	s_cbranch_execz .LBB47_4382
; %bb.4361:
	v_mov_b32_e32 v1, 7
	v_cmp_gt_i16_sdwa s[74:75], v11, v1 src0_sel:BYTE_0 src1_sel:DWORD
	s_and_saveexec_b64 s[76:77], s[74:75]
	s_xor_b64 s[84:85], exec, s[76:77]
	s_cbranch_execz .LBB47_4371
; %bb.4362:
	v_mov_b32_e32 v1, 8
	v_cmp_gt_i16_sdwa s[74:75], v11, v1 src0_sel:BYTE_0 src1_sel:DWORD
	s_and_saveexec_b64 s[76:77], s[74:75]
	s_xor_b64 s[82:83], exec, s[76:77]
	;; [unrolled: 6-line block ×3, first 2 shown]
	s_cbranch_execz .LBB47_4365
; %bb.4364:
	v_mov_b32_e32 v16, 0
	v_cvt_f64_f32_e32 v[14:15], v14
	v_mov_b32_e32 v17, v16
	flat_store_dwordx4 v[2:3], v[14:17]
                                        ; implicit-def: $vgpr14
                                        ; implicit-def: $vgpr2_vgpr3
.LBB47_4365:
	s_andn2_saveexec_b64 s[76:77], s[78:79]
	s_cbranch_execz .LBB47_4367
; %bb.4366:
	v_mov_b32_e32 v15, 0
	flat_store_dwordx2 v[2:3], v[14:15]
.LBB47_4367:
	s_or_b64 exec, exec, s[76:77]
                                        ; implicit-def: $vgpr14
                                        ; implicit-def: $vgpr2_vgpr3
.LBB47_4368:
	s_andn2_saveexec_b64 s[76:77], s[82:83]
	s_cbranch_execz .LBB47_4370
; %bb.4369:
	v_cvt_f16_f32_e32 v1, v14
	flat_store_dword v[2:3], v1
.LBB47_4370:
	s_or_b64 exec, exec, s[76:77]
                                        ; implicit-def: $vgpr14
                                        ; implicit-def: $vgpr2_vgpr3
.LBB47_4371:
	s_andn2_saveexec_b64 s[82:83], s[84:85]
	s_cbranch_execz .LBB47_4381
; %bb.4372:
	v_mov_b32_e32 v1, 5
	v_cmp_gt_i16_sdwa s[74:75], v11, v1 src0_sel:BYTE_0 src1_sel:DWORD
	s_and_saveexec_b64 s[76:77], s[74:75]
	s_xor_b64 s[80:81], exec, s[76:77]
	s_cbranch_execz .LBB47_4378
; %bb.4373:
	v_mov_b32_e32 v1, 6
	v_cmp_gt_i16_sdwa s[74:75], v11, v1 src0_sel:BYTE_0 src1_sel:DWORD
	s_and_saveexec_b64 s[76:77], s[74:75]
	s_xor_b64 s[76:77], exec, s[76:77]
	s_cbranch_execz .LBB47_4375
; %bb.4374:
	v_cvt_f64_f32_e32 v[4:5], v14
	flat_store_dwordx2 v[2:3], v[4:5]
                                        ; implicit-def: $vgpr2_vgpr3
                                        ; implicit-def: $vgpr14
.LBB47_4375:
	s_andn2_saveexec_b64 s[76:77], s[76:77]
	s_cbranch_execz .LBB47_4377
; %bb.4376:
	flat_store_dword v[2:3], v14
.LBB47_4377:
	s_or_b64 exec, exec, s[76:77]
                                        ; implicit-def: $vgpr14
                                        ; implicit-def: $vgpr2_vgpr3
.LBB47_4378:
	s_andn2_saveexec_b64 s[76:77], s[80:81]
	s_cbranch_execz .LBB47_4380
; %bb.4379:
	v_cvt_f16_f32_e32 v1, v14
	flat_store_short v[2:3], v1
.LBB47_4380:
	s_or_b64 exec, exec, s[76:77]
.LBB47_4381:
	s_or_b64 exec, exec, s[82:83]
                                        ; implicit-def: $vgpr14
                                        ; implicit-def: $vgpr2_vgpr3
.LBB47_4382:
	s_andn2_saveexec_b64 s[88:89], vcc
	s_cbranch_execz .LBB47_4400
; %bb.4383:
	v_mov_b32_e32 v1, 1
	v_cmp_gt_i16_sdwa vcc, v11, v1 src0_sel:BYTE_0 src1_sel:DWORD
	s_and_saveexec_b64 s[74:75], vcc
	s_xor_b64 s[84:85], exec, s[74:75]
	s_cbranch_execz .LBB47_4393
; %bb.4384:
	v_mov_b32_e32 v1, 2
	v_cmp_gt_i16_sdwa vcc, v11, v1 src0_sel:BYTE_0 src1_sel:DWORD
	s_and_saveexec_b64 s[74:75], vcc
	s_xor_b64 s[82:83], exec, s[74:75]
	;; [unrolled: 6-line block ×3, first 2 shown]
	s_cbranch_execz .LBB47_4387
; %bb.4386:
	v_trunc_f32_e32 v1, v14
	s_mov_b32 s74, 0x2f800000
	v_mul_f32_e64 v4, |v1|, s74
	v_floor_f32_e32 v4, v4
	s_mov_b32 s74, 0xcf800000
	v_cvt_u32_f32_e32 v5, v4
	v_fma_f32 v4, v4, s74, |v1|
	v_cvt_u32_f32_e32 v4, v4
	v_ashrrev_i32_e32 v1, 31, v1
	v_xor_b32_e32 v5, v5, v1
                                        ; implicit-def: $vgpr14
	v_xor_b32_e32 v4, v4, v1
	v_sub_co_u32_e32 v4, vcc, v4, v1
	v_subb_co_u32_e32 v5, vcc, v5, v1, vcc
	flat_store_dwordx2 v[2:3], v[4:5]
                                        ; implicit-def: $vgpr2_vgpr3
.LBB47_4387:
	s_andn2_saveexec_b64 vcc, s[80:81]
	s_cbranch_execz .LBB47_4389
; %bb.4388:
	v_cvt_i32_f32_e32 v1, v14
	flat_store_dword v[2:3], v1
.LBB47_4389:
	s_or_b64 exec, exec, vcc
                                        ; implicit-def: $vgpr14
                                        ; implicit-def: $vgpr2_vgpr3
.LBB47_4390:
	s_andn2_saveexec_b64 vcc, s[82:83]
	s_cbranch_execz .LBB47_4392
; %bb.4391:
	v_cvt_i32_f32_e32 v1, v14
	flat_store_short v[2:3], v1
.LBB47_4392:
	s_or_b64 exec, exec, vcc
                                        ; implicit-def: $vgpr14
                                        ; implicit-def: $vgpr2_vgpr3
.LBB47_4393:
	s_andn2_saveexec_b64 vcc, s[84:85]
	s_cbranch_execz .LBB47_4399
; %bb.4394:
	v_mov_b32_e32 v1, 0
	v_cmp_gt_i16_sdwa s[74:75], v11, v1 src0_sel:BYTE_0 src1_sel:DWORD
	s_and_saveexec_b64 s[76:77], s[74:75]
	s_xor_b64 s[76:77], exec, s[76:77]
	s_cbranch_execz .LBB47_4396
; %bb.4395:
	v_cvt_i32_f32_e32 v1, v14
                                        ; implicit-def: $vgpr14
	flat_store_byte v[2:3], v1
                                        ; implicit-def: $vgpr2_vgpr3
.LBB47_4396:
	s_andn2_saveexec_b64 s[80:81], s[76:77]
	s_cbranch_execz .LBB47_4398
; %bb.4397:
	v_trunc_f32_e32 v1, v14
	s_mov_b32 s74, 0x2f800000
	v_mul_f32_e64 v4, |v1|, s74
	v_floor_f32_e32 v4, v4
	s_mov_b32 s74, 0xcf800000
	v_fma_f32 v4, v4, s74, |v1|
	v_cvt_u32_f32_e32 v4, v4
	v_ashrrev_i32_e32 v1, 31, v1
	v_xor_b32_e32 v4, v4, v1
	v_sub_u32_e32 v1, v4, v1
	flat_store_byte v[2:3], v1
.LBB47_4398:
	s_or_b64 exec, exec, s[80:81]
.LBB47_4399:
	s_or_b64 exec, exec, vcc
.LBB47_4400:
	s_or_b64 exec, exec, s[88:89]
	s_or_b64 s[4:5], s[4:5], exec
.LBB47_4401:
	s_or_b64 exec, exec, s[92:93]
	s_mov_b64 vcc, 0
	s_and_saveexec_b64 s[76:77], s[4:5]
; %bb.4402:
	s_mov_b64 vcc, exec
	v_add_u32_e32 v101, 0x200, v101
; %bb.4403:
	s_or_b64 exec, exec, s[76:77]
	v_readlane_b32 s4, v43, 38
	v_readlane_b32 s5, v43, 39
	s_andn2_b64 s[4:5], s[4:5], exec
	s_and_b64 s[74:75], s[90:91], exec
	s_or_b64 s[4:5], s[4:5], s[74:75]
	v_writelane_b32 v43, s4, 46
	v_writelane_b32 v43, s5, 47
	s_orn2_b64 s[82:83], vcc, exec
.LBB47_4404:
	s_or_b64 exec, exec, s[96:97]
	s_mov_b64 s[4:5], 0
	s_mov_b64 vcc, 0
	s_mov_b64 s[80:81], 0
                                        ; implicit-def: $vgpr4
                                        ; implicit-def: $vgpr2_vgpr3
	s_mov_b64 s[74:75], exec
	v_writelane_b32 v43, s74, 48
	v_writelane_b32 v43, s75, 49
	s_and_b64 s[74:75], s[74:75], s[82:83]
	s_mov_b64 exec, s[74:75]
	s_cbranch_execz .LBB47_4756
; %bb.4405:
	v_readlane_b32 s4, v43, 46
	v_readlane_b32 s5, v43, 47
	v_cmp_lt_i32_e32 vcc, v101, v6
	s_mov_b64 s[82:83], -1
	v_writelane_b32 v43, s4, 54
	v_writelane_b32 v43, s5, 55
	s_and_saveexec_b64 s[96:97], vcc
	s_cbranch_execz .LBB47_4533
; %bb.4406:
	v_readlane_b32 s4, v44, 1
	v_add_u32_e32 v1, s4, v101
	v_mul_lo_u32 v1, v1, v12
	v_add_co_u32_e32 v2, vcc, v114, v1
	v_addc_co_u32_e32 v3, vcc, 0, v13, vcc
	v_mov_b32_e32 v1, 10
	v_readlane_b32 s90, v43, 46
	v_cmp_gt_i16_sdwa vcc, v11, v1 src0_sel:BYTE_0 src1_sel:DWORD
	s_mov_b64 s[4:5], 0
	v_readlane_b32 s91, v43, 47
	s_and_saveexec_b64 s[74:75], vcc
	s_xor_b64 s[74:75], exec, s[74:75]
	v_writelane_b32 v43, s74, 58
	v_writelane_b32 v43, s75, 59
	s_cbranch_execz .LBB47_4488
; %bb.4407:
	v_mov_b32_e32 v1, 25
	v_readlane_b32 s92, v43, 46
	v_cmp_gt_i16_sdwa s[4:5], v11, v1 src0_sel:BYTE_0 src1_sel:DWORD
	s_mov_b64 s[88:89], 0
	v_readlane_b32 s93, v43, 47
	s_and_saveexec_b64 vcc, s[4:5]
	s_xor_b64 s[90:91], exec, vcc
	s_cbranch_execz .LBB47_4443
; %bb.4408:
	v_mov_b32_e32 v1, 28
	v_readlane_b32 s92, v43, 46
	v_cmp_gt_i16_sdwa vcc, v11, v1 src0_sel:BYTE_0 src1_sel:DWORD
	s_mov_b64 s[4:5], 0
	v_readlane_b32 s93, v43, 47
	s_and_saveexec_b64 s[74:75], vcc
	s_xor_b64 s[88:89], exec, s[74:75]
	s_cbranch_execz .LBB47_4426
; %bb.4409:
	v_mov_b32_e32 v1, 43
	v_readlane_b32 vcc_lo, v43, 46
	v_cmp_gt_i16_sdwa s[74:75], v11, v1 src0_sel:BYTE_0 src1_sel:DWORD
	v_readlane_b32 vcc_hi, v43, 47
	s_and_saveexec_b64 s[76:77], s[74:75]
	s_xor_b64 s[76:77], exec, s[76:77]
	s_cbranch_execz .LBB47_4421
; %bb.4410:
	v_mov_b32_e32 v1, 45
	v_readlane_b32 s84, v43, 46
	v_cmp_gt_i16_sdwa s[4:5], v11, v1 src0_sel:BYTE_0 src1_sel:DWORD
	s_mov_b64 s[86:87], 0
	v_readlane_b32 s85, v43, 47
	s_and_saveexec_b64 vcc, s[4:5]
	s_xor_b64 s[4:5], exec, vcc
	s_cbranch_execz .LBB47_4414
; %bb.4411:
	v_mov_b32_e32 v1, 46
	v_cmp_eq_u16_sdwa s[74:75], v11, v1 src0_sel:BYTE_0 src1_sel:DWORD
	s_mov_b64 vcc, -1
	s_and_saveexec_b64 s[82:83], s[74:75]
	s_cbranch_execz .LBB47_4413
; %bb.4412:
	v_bfe_u32 v1, v112, 16, 1
	s_movk_i32 vcc_lo, 0x7fff
	v_add3_u32 v1, v112, v1, vcc_lo
	v_lshrrev_b32_e32 v1, 16, v1
	v_mov_b32_e32 v4, 0x7fc0
	v_cmp_o_f32_e32 vcc, v112, v112
	v_cndmask_b32_e32 v1, v4, v1, vcc
	s_mov_b64 s[80:81], exec
	flat_store_dword v[2:3], v1
	s_xor_b64 vcc, exec, -1
.LBB47_4413:
	s_or_b64 exec, exec, s[82:83]
	v_readlane_b32 s74, v43, 46
	v_readlane_b32 s75, v43, 47
	s_andn2_b64 s[74:75], s[74:75], exec
	s_and_b64 vcc, vcc, exec
	s_or_b64 s[84:85], s[74:75], vcc
	s_and_b64 s[86:87], s[80:81], exec
                                        ; implicit-def: $vgpr2_vgpr3
                                        ; implicit-def: $vgpr112
.LBB47_4414:
	s_andn2_saveexec_b64 s[92:93], s[4:5]
	s_cbranch_execz .LBB47_4420
; %bb.4415:
	v_mov_b32_e32 v1, 44
	v_cmp_eq_u16_sdwa s[74:75], v11, v1 src0_sel:BYTE_0 src1_sel:DWORD
	s_mov_b64 vcc, -1
	s_mov_b64 s[4:5], s[86:87]
	s_and_saveexec_b64 s[80:81], s[74:75]
	s_cbranch_execz .LBB47_4419
; %bb.4416:
	v_bfe_u32 v1, v112, 23, 8
	s_movk_i32 s4, 0xff
	v_cmp_ne_u32_e32 vcc, s4, v1
	v_mov_b32_e32 v4, 0xff
	s_and_saveexec_b64 s[82:83], vcc
; %bb.4417:
	s_mov_b32 s4, 0x3fffff
	v_and_b32_e32 v5, 0x400000, v112
	v_and_or_b32 v1, v112, s4, v1
	v_cmp_ne_u32_e32 vcc, 0, v5
	v_cmp_ne_u32_e64 s[4:5], 0, v1
	s_and_b64 s[4:5], vcc, s[4:5]
	v_lshrrev_b32_e32 v4, 23, v112
	v_cndmask_b32_e64 v1, 0, 1, s[4:5]
	v_add_u32_e32 v4, v4, v1
; %bb.4418:
	s_or_b64 exec, exec, s[82:83]
	s_xor_b64 vcc, exec, -1
	s_or_b64 s[4:5], s[86:87], exec
	flat_store_byte v[2:3], v4
.LBB47_4419:
	s_or_b64 exec, exec, s[80:81]
	s_andn2_b64 s[74:75], s[84:85], exec
	s_and_b64 vcc, vcc, exec
	s_or_b64 s[84:85], s[74:75], vcc
	s_andn2_b64 vcc, s[86:87], exec
	s_and_b64 s[4:5], s[4:5], exec
	s_or_b64 s[86:87], vcc, s[4:5]
.LBB47_4420:
	s_or_b64 exec, exec, s[92:93]
	v_readlane_b32 s4, v43, 46
	v_readlane_b32 s5, v43, 47
	s_andn2_b64 s[4:5], s[4:5], exec
	s_and_b64 vcc, s[84:85], exec
	s_or_b64 vcc, s[4:5], vcc
	s_and_b64 s[4:5], s[86:87], exec
                                        ; implicit-def: $vgpr112
                                        ; implicit-def: $vgpr2_vgpr3
.LBB47_4421:
	s_andn2_saveexec_b64 s[82:83], s[76:77]
	s_cbranch_execz .LBB47_4425
; %bb.4422:
	v_mov_b32_e32 v1, 29
	v_cmp_eq_u16_sdwa s[74:75], v11, v1 src0_sel:BYTE_0 src1_sel:DWORD
	s_mov_b64 s[86:87], -1
	s_mov_b64 s[84:85], s[4:5]
	s_and_saveexec_b64 s[80:81], s[74:75]
	s_cbranch_execz .LBB47_4424
; %bb.4423:
	v_trunc_f32_e32 v1, v112
	v_mul_f32_e32 v4, 0x2f800000, v1
	v_floor_f32_e32 v4, v4
	v_fmac_f32_e32 v1, 0xcf800000, v4
	v_cvt_u32_f32_e32 v5, v4
	v_cvt_u32_f32_e32 v4, v1
	s_xor_b64 s[86:87], exec, -1
	s_or_b64 s[84:85], s[4:5], exec
	flat_store_dwordx2 v[2:3], v[4:5]
.LBB47_4424:
	s_or_b64 exec, exec, s[80:81]
	s_andn2_b64 vcc, vcc, exec
	s_and_b64 s[74:75], s[86:87], exec
	s_or_b64 vcc, vcc, s[74:75]
	s_andn2_b64 s[4:5], s[4:5], exec
	s_and_b64 s[74:75], s[84:85], exec
	s_or_b64 s[4:5], s[4:5], s[74:75]
.LBB47_4425:
	s_or_b64 exec, exec, s[82:83]
	v_readlane_b32 s74, v43, 46
	v_readlane_b32 s75, v43, 47
	s_andn2_b64 s[74:75], s[74:75], exec
	s_and_b64 vcc, vcc, exec
	s_or_b64 s[92:93], s[74:75], vcc
	s_and_b64 s[4:5], s[4:5], exec
                                        ; implicit-def: $vgpr2_vgpr3
                                        ; implicit-def: $vgpr112
.LBB47_4426:
	s_andn2_saveexec_b64 s[88:89], s[88:89]
	s_cbranch_execz .LBB47_4442
; %bb.4427:
	v_mov_b32_e32 v1, 26
	v_cmp_gt_i16_sdwa vcc, v11, v1 src0_sel:BYTE_0 src1_sel:DWORD
	s_and_saveexec_b64 s[74:75], vcc
	s_xor_b64 vcc, exec, s[74:75]
	s_cbranch_execz .LBB47_4433
; %bb.4428:
	v_cvt_u32_f32_e32 v1, v112
	v_mov_b32_e32 v4, 27
	v_cmp_gt_i16_sdwa s[74:75], v11, v4 src0_sel:BYTE_0 src1_sel:DWORD
	s_and_saveexec_b64 s[76:77], s[74:75]
	s_xor_b64 s[76:77], exec, s[76:77]
	s_cbranch_execz .LBB47_4430
; %bb.4429:
	flat_store_dword v[2:3], v1
                                        ; implicit-def: $vgpr2_vgpr3
                                        ; implicit-def: $vgpr1
.LBB47_4430:
	s_andn2_saveexec_b64 s[76:77], s[76:77]
	s_cbranch_execz .LBB47_4432
; %bb.4431:
	flat_store_short v[2:3], v1
.LBB47_4432:
	s_or_b64 exec, exec, s[76:77]
                                        ; implicit-def: $vgpr2_vgpr3
                                        ; implicit-def: $vgpr112
.LBB47_4433:
	s_andn2_saveexec_b64 s[86:87], vcc
	s_cbranch_execz .LBB47_4441
; %bb.4434:
	v_and_b32_e32 v1, 0x7fffffff, v112
	s_mov_b32 vcc_lo, 0x43800000
	v_cmp_gt_u32_e32 vcc, vcc_lo, v1
	v_mov_b32_e32 v4, 0x80
	s_and_saveexec_b64 s[84:85], vcc
	s_cbranch_execz .LBB47_4440
; %bb.4435:
	s_mov_b32 vcc_lo, 0x3bffffff
	v_cmp_lt_u32_e32 vcc, vcc_lo, v1
	s_mov_b64 s[82:83], 0
                                        ; implicit-def: $vgpr1
	s_and_saveexec_b64 s[74:75], vcc
	s_xor_b64 vcc, exec, s[74:75]
	s_cbranch_execnz .LBB47_7993
; %bb.4436:
	s_or_saveexec_b64 s[80:81], vcc
                                        ; implicit-def: $sgpr76
	s_xor_b64 exec, exec, s[80:81]
	s_cbranch_execnz .LBB47_7994
.LBB47_4437:
	s_or_b64 exec, exec, s[80:81]
	v_mov_b32_e32 v4, s76
	s_and_saveexec_b64 vcc, s[82:83]
.LBB47_4438:
	v_lshrrev_b32_e32 v4, 24, v112
	s_movk_i32 s74, 0x80
	v_and_or_b32 v4, v4, s74, v1
.LBB47_4439:
	s_or_b64 exec, exec, vcc
.LBB47_4440:
	s_or_b64 exec, exec, s[84:85]
	flat_store_byte v[2:3], v4
.LBB47_4441:
	s_or_b64 exec, exec, s[86:87]
	s_or_b64 s[4:5], s[4:5], exec
.LBB47_4442:
	s_or_b64 exec, exec, s[88:89]
	v_readlane_b32 vcc_lo, v43, 46
	v_readlane_b32 vcc_hi, v43, 47
	s_andn2_b64 vcc, vcc, exec
	s_and_b64 s[74:75], s[92:93], exec
	s_or_b64 s[92:93], vcc, s[74:75]
	s_and_b64 s[88:89], s[4:5], exec
                                        ; implicit-def: $vgpr112
                                        ; implicit-def: $vgpr2_vgpr3
.LBB47_4443:
	s_andn2_saveexec_b64 s[90:91], s[90:91]
	s_cbranch_execz .LBB47_4487
; %bb.4444:
	v_mov_b32_e32 v1, 22
	v_cmp_gt_i16_sdwa vcc, v11, v1 src0_sel:BYTE_0 src1_sel:DWORD
	s_mov_b64 s[4:5], s[88:89]
	s_and_saveexec_b64 s[74:75], vcc
	s_xor_b64 s[86:87], exec, s[74:75]
	s_cbranch_execz .LBB47_4476
; %bb.4445:
	v_mov_b32_e32 v1, 23
	v_cmp_gt_i16_sdwa s[4:5], v11, v1 src0_sel:BYTE_0 src1_sel:DWORD
	s_and_saveexec_b64 vcc, s[4:5]
	s_xor_b64 vcc, exec, vcc
	v_writelane_b32 v43, vcc_lo, 60
	v_writelane_b32 v43, vcc_hi, 61
	s_cbranch_execz .LBB47_4465
; %bb.4446:
	v_mov_b32_e32 v1, 24
	v_cmp_gt_i16_sdwa s[4:5], v11, v1 src0_sel:BYTE_0 src1_sel:DWORD
	s_and_saveexec_b64 vcc, s[4:5]
	s_xor_b64 s[4:5], exec, vcc
	s_cbranch_execz .LBB47_4454
; %bb.4447:
	v_and_b32_e32 v1, 0x7fffffff, v112
	s_mov_b32 vcc_lo, 0x47800000
	v_cmp_gt_u32_e32 vcc, vcc_lo, v1
	v_mov_b32_e32 v4, 0x80
	s_and_saveexec_b64 s[84:85], vcc
	s_cbranch_execz .LBB47_4453
; %bb.4448:
	s_mov_b32 vcc_lo, 0x37ffffff
	v_cmp_lt_u32_e32 vcc, vcc_lo, v1
	s_mov_b64 s[82:83], 0
                                        ; implicit-def: $vgpr1
	s_and_saveexec_b64 s[74:75], vcc
	s_xor_b64 vcc, exec, s[74:75]
	s_cbranch_execnz .LBB47_7995
; %bb.4449:
	s_or_saveexec_b64 s[80:81], vcc
                                        ; implicit-def: $sgpr76
	s_xor_b64 exec, exec, s[80:81]
	s_cbranch_execnz .LBB47_7996
.LBB47_4450:
	s_or_b64 exec, exec, s[80:81]
	v_mov_b32_e32 v4, s76
	s_and_saveexec_b64 vcc, s[82:83]
.LBB47_4451:
	v_lshrrev_b32_e32 v4, 24, v112
	s_movk_i32 s74, 0x80
	v_and_or_b32 v4, v4, s74, v1
.LBB47_4452:
	s_or_b64 exec, exec, vcc
.LBB47_4453:
	s_or_b64 exec, exec, s[84:85]
	flat_store_byte v[2:3], v4
                                        ; implicit-def: $vgpr112
                                        ; implicit-def: $vgpr2_vgpr3
.LBB47_4454:
	s_andn2_saveexec_b64 s[4:5], s[4:5]
	s_cbranch_execz .LBB47_4464
; %bb.4455:
	v_and_b32_e32 v4, 0x7fffffff, v112
	s_mov_b32 vcc_lo, 0x43f00000
	v_cmp_gt_u32_e32 vcc, vcc_lo, v4
                                        ; implicit-def: $vgpr1
	s_and_saveexec_b64 s[74:75], vcc
	s_xor_b64 s[80:81], exec, s[74:75]
	s_cbranch_execz .LBB47_4461
; %bb.4456:
	s_mov_b32 vcc_lo, 0x3c7fffff
	v_cmp_lt_u32_e32 vcc, vcc_lo, v4
                                        ; implicit-def: $vgpr1
	s_and_saveexec_b64 s[74:75], vcc
	s_xor_b64 s[78:79], exec, s[74:75]
; %bb.4457:
	v_bfe_u32 v1, v112, 20, 1
	s_mov_b32 vcc_lo, 0x407ffff
	v_add3_u32 v1, v112, v1, vcc_lo
	v_lshrrev_b32_e32 v4, 20, v1
	v_and_b32_e32 v1, 0xff00000, v1
	s_mov_b32 vcc_lo, 0x7f00000
	v_mov_b32_e32 v5, 0x7e
	v_cmp_ne_u32_e32 vcc, vcc_lo, v1
	v_cndmask_b32_e32 v1, v5, v4, vcc
; %bb.4458:
	s_andn2_saveexec_b64 vcc, s[78:79]
; %bb.4459:
	s_mov_b32 s74, 0x46800000
	v_add_f32_e64 v1, |v112|, s74
; %bb.4460:
	s_or_b64 exec, exec, vcc
                                        ; implicit-def: $vgpr4
.LBB47_4461:
	s_andn2_saveexec_b64 s[80:81], s[80:81]
; %bb.4462:
	s_mov_b32 vcc_lo, 0x7f800000
	v_mov_b32_e32 v1, 0x7e
	v_mov_b32_e32 v5, 0x7f
	v_cmp_lt_u32_e32 vcc, vcc_lo, v4
	v_cndmask_b32_e32 v1, v1, v5, vcc
; %bb.4463:
	s_or_b64 exec, exec, s[80:81]
	v_lshrrev_b32_e32 v4, 24, v112
	s_movk_i32 vcc_lo, 0x80
	v_and_or_b32 v1, v4, vcc_lo, v1
	flat_store_byte v[2:3], v1
.LBB47_4464:
	s_or_b64 exec, exec, s[4:5]
                                        ; implicit-def: $vgpr112
                                        ; implicit-def: $vgpr2_vgpr3
.LBB47_4465:
	v_readlane_b32 s4, v43, 60
	v_readlane_b32 s5, v43, 61
	s_andn2_saveexec_b64 s[4:5], s[4:5]
	s_cbranch_execz .LBB47_4475
; %bb.4466:
	v_and_b32_e32 v4, 0x7fffffff, v112
	s_mov_b32 vcc_lo, 0x47800000
	v_cmp_gt_u32_e32 vcc, vcc_lo, v4
                                        ; implicit-def: $vgpr1
	s_and_saveexec_b64 s[74:75], vcc
	s_xor_b64 s[80:81], exec, s[74:75]
	s_cbranch_execz .LBB47_4472
; %bb.4467:
	s_mov_b32 vcc_lo, 0x387fffff
	v_cmp_lt_u32_e32 vcc, vcc_lo, v4
                                        ; implicit-def: $vgpr1
	s_and_saveexec_b64 s[74:75], vcc
	s_xor_b64 vcc, exec, s[74:75]
; %bb.4468:
	v_bfe_u32 v1, v112, 21, 1
	s_mov_b32 s74, 0x80fffff
	v_add3_u32 v1, v112, v1, s74
	v_lshrrev_b32_e32 v1, 21, v1
; %bb.4469:
	s_andn2_saveexec_b64 vcc, vcc
; %bb.4470:
	s_mov_b32 s74, 0x43000000
	v_add_f32_e64 v1, |v112|, s74
; %bb.4471:
	s_or_b64 exec, exec, vcc
                                        ; implicit-def: $vgpr4
.LBB47_4472:
	s_andn2_saveexec_b64 s[80:81], s[80:81]
; %bb.4473:
	s_mov_b32 vcc_lo, 0x7f800000
	v_mov_b32_e32 v1, 0x7c
	v_mov_b32_e32 v5, 0x7f
	v_cmp_lt_u32_e32 vcc, vcc_lo, v4
	v_cndmask_b32_e32 v1, v1, v5, vcc
; %bb.4474:
	s_or_b64 exec, exec, s[80:81]
	v_lshrrev_b32_e32 v4, 24, v112
	s_movk_i32 vcc_lo, 0x80
	v_and_or_b32 v1, v4, vcc_lo, v1
	flat_store_byte v[2:3], v1
.LBB47_4475:
	s_or_b64 exec, exec, s[4:5]
	s_or_b64 s[4:5], s[88:89], exec
                                        ; implicit-def: $vgpr112
                                        ; implicit-def: $vgpr2_vgpr3
.LBB47_4476:
	s_or_saveexec_b64 s[86:87], s[86:87]
	s_mov_b64 vcc, s[92:93]
	s_xor_b64 exec, exec, s[86:87]
	s_cbranch_execz .LBB47_4486
; %bb.4477:
	v_mov_b32_e32 v1, 14
	v_cmp_gt_i16_sdwa vcc, v11, v1 src0_sel:BYTE_0 src1_sel:DWORD
	s_mov_b64 s[84:85], s[4:5]
	s_mov_b64 s[82:83], s[92:93]
	s_and_saveexec_b64 s[74:75], vcc
	s_xor_b64 s[80:81], exec, s[74:75]
	s_cbranch_execz .LBB47_4481
; %bb.4478:
	v_mov_b32_e32 v1, 15
	v_cmp_eq_u16_sdwa s[74:75], v11, v1 src0_sel:BYTE_0 src1_sel:DWORD
	s_mov_b64 s[78:79], -1
	s_mov_b64 vcc, s[4:5]
	s_and_saveexec_b64 s[82:83], s[74:75]
	s_cbranch_execz .LBB47_4480
; %bb.4479:
	v_bfe_u32 v1, v112, 16, 1
	s_movk_i32 vcc_lo, 0x7fff
	v_add3_u32 v1, v112, v1, vcc_lo
	v_lshrrev_b32_e32 v1, 16, v1
	v_mov_b32_e32 v4, 0x7fc0
	v_cmp_o_f32_e32 vcc, v112, v112
	v_cndmask_b32_e32 v1, v4, v1, vcc
	flat_store_short v[2:3], v1
	s_xor_b64 s[78:79], exec, -1
	s_or_b64 vcc, s[4:5], exec
.LBB47_4480:
	s_or_b64 exec, exec, s[82:83]
	s_andn2_b64 s[74:75], s[92:93], exec
	s_and_b64 s[76:77], s[78:79], exec
	s_or_b64 s[82:83], s[74:75], s[76:77]
	s_andn2_b64 s[74:75], s[4:5], exec
	s_and_b64 vcc, vcc, exec
	s_or_b64 s[84:85], s[74:75], vcc
                                        ; implicit-def: $vgpr112
                                        ; implicit-def: $vgpr2_vgpr3
.LBB47_4481:
	s_andn2_saveexec_b64 s[80:81], s[80:81]
	s_cbranch_execz .LBB47_4485
; %bb.4482:
	v_mov_b32_e32 v1, 11
	v_cmp_eq_u16_sdwa s[74:75], v11, v1 src0_sel:BYTE_0 src1_sel:DWORD
	s_mov_b64 s[78:79], -1
	s_mov_b64 vcc, s[84:85]
	s_and_saveexec_b64 s[76:77], s[74:75]
	s_cbranch_execz .LBB47_4484
; %bb.4483:
	v_cmp_neq_f32_e32 vcc, 0, v112
	v_cndmask_b32_e64 v1, 0, 1, vcc
	flat_store_byte v[2:3], v1
	s_xor_b64 s[78:79], exec, -1
	s_or_b64 vcc, s[84:85], exec
.LBB47_4484:
	s_or_b64 exec, exec, s[76:77]
	s_andn2_b64 s[74:75], s[82:83], exec
	s_and_b64 s[76:77], s[78:79], exec
	s_or_b64 s[82:83], s[74:75], s[76:77]
	s_andn2_b64 s[74:75], s[84:85], exec
	s_and_b64 vcc, vcc, exec
	s_or_b64 s[84:85], s[74:75], vcc
.LBB47_4485:
	s_or_b64 exec, exec, s[80:81]
	s_andn2_b64 vcc, s[92:93], exec
	s_and_b64 s[74:75], s[82:83], exec
	s_or_b64 vcc, vcc, s[74:75]
	s_andn2_b64 s[4:5], s[4:5], exec
	s_and_b64 s[74:75], s[84:85], exec
	s_or_b64 s[4:5], s[4:5], s[74:75]
.LBB47_4486:
	s_or_b64 exec, exec, s[86:87]
	s_andn2_b64 s[74:75], s[92:93], exec
	s_and_b64 vcc, vcc, exec
	s_or_b64 s[92:93], s[74:75], vcc
	s_andn2_b64 vcc, s[88:89], exec
	s_and_b64 s[4:5], s[4:5], exec
	s_or_b64 s[88:89], vcc, s[4:5]
.LBB47_4487:
	s_or_b64 exec, exec, s[90:91]
	v_readlane_b32 s4, v43, 46
	v_readlane_b32 s5, v43, 47
	s_andn2_b64 s[4:5], s[4:5], exec
	s_and_b64 vcc, s[92:93], exec
	s_or_b64 s[90:91], s[4:5], vcc
	s_and_b64 s[4:5], s[88:89], exec
                                        ; implicit-def: $vgpr112
                                        ; implicit-def: $vgpr2_vgpr3
.LBB47_4488:
	v_readlane_b32 vcc_lo, v43, 58
	v_readlane_b32 vcc_hi, v43, 59
	s_andn2_saveexec_b64 s[92:93], vcc
	s_cbranch_execz .LBB47_4530
; %bb.4489:
	v_mov_b32_e32 v1, 4
	v_cmp_gt_i16_sdwa vcc, v11, v1 src0_sel:BYTE_0 src1_sel:DWORD
	s_and_saveexec_b64 s[74:75], vcc
	s_xor_b64 vcc, exec, s[74:75]
	s_cbranch_execz .LBB47_4511
; %bb.4490:
	v_mov_b32_e32 v1, 7
	v_cmp_gt_i16_sdwa s[74:75], v11, v1 src0_sel:BYTE_0 src1_sel:DWORD
	s_and_saveexec_b64 s[76:77], s[74:75]
	s_xor_b64 s[84:85], exec, s[76:77]
	s_cbranch_execz .LBB47_4500
; %bb.4491:
	v_mov_b32_e32 v1, 8
	v_cmp_gt_i16_sdwa s[74:75], v11, v1 src0_sel:BYTE_0 src1_sel:DWORD
	s_and_saveexec_b64 s[76:77], s[74:75]
	s_xor_b64 s[82:83], exec, s[76:77]
	;; [unrolled: 6-line block ×3, first 2 shown]
	s_cbranch_execz .LBB47_4494
; %bb.4493:
	v_mov_b32_e32 v16, 0
	v_cvt_f64_f32_e32 v[14:15], v112
	v_mov_b32_e32 v17, v16
	flat_store_dwordx4 v[2:3], v[14:17]
                                        ; implicit-def: $vgpr112
                                        ; implicit-def: $vgpr2_vgpr3
.LBB47_4494:
	s_andn2_saveexec_b64 s[76:77], s[78:79]
	s_cbranch_execz .LBB47_4496
; %bb.4495:
	v_mov_b32_e32 v113, 0
	flat_store_dwordx2 v[2:3], v[112:113]
.LBB47_4496:
	s_or_b64 exec, exec, s[76:77]
                                        ; implicit-def: $vgpr112
                                        ; implicit-def: $vgpr2_vgpr3
.LBB47_4497:
	s_andn2_saveexec_b64 s[76:77], s[82:83]
	s_cbranch_execz .LBB47_4499
; %bb.4498:
	v_cvt_f16_f32_e32 v1, v112
	flat_store_dword v[2:3], v1
.LBB47_4499:
	s_or_b64 exec, exec, s[76:77]
                                        ; implicit-def: $vgpr112
                                        ; implicit-def: $vgpr2_vgpr3
.LBB47_4500:
	s_andn2_saveexec_b64 s[82:83], s[84:85]
	s_cbranch_execz .LBB47_4510
; %bb.4501:
	v_mov_b32_e32 v1, 5
	v_cmp_gt_i16_sdwa s[74:75], v11, v1 src0_sel:BYTE_0 src1_sel:DWORD
	s_and_saveexec_b64 s[76:77], s[74:75]
	s_xor_b64 s[80:81], exec, s[76:77]
	s_cbranch_execz .LBB47_4507
; %bb.4502:
	v_mov_b32_e32 v1, 6
	v_cmp_gt_i16_sdwa s[74:75], v11, v1 src0_sel:BYTE_0 src1_sel:DWORD
	s_and_saveexec_b64 s[76:77], s[74:75]
	s_xor_b64 s[76:77], exec, s[76:77]
	s_cbranch_execz .LBB47_4504
; %bb.4503:
	v_cvt_f64_f32_e32 v[4:5], v112
	flat_store_dwordx2 v[2:3], v[4:5]
                                        ; implicit-def: $vgpr2_vgpr3
                                        ; implicit-def: $vgpr112
.LBB47_4504:
	s_andn2_saveexec_b64 s[76:77], s[76:77]
	s_cbranch_execz .LBB47_4506
; %bb.4505:
	flat_store_dword v[2:3], v112
.LBB47_4506:
	s_or_b64 exec, exec, s[76:77]
                                        ; implicit-def: $vgpr112
                                        ; implicit-def: $vgpr2_vgpr3
.LBB47_4507:
	s_andn2_saveexec_b64 s[76:77], s[80:81]
	s_cbranch_execz .LBB47_4509
; %bb.4508:
	v_cvt_f16_f32_e32 v1, v112
	flat_store_short v[2:3], v1
.LBB47_4509:
	s_or_b64 exec, exec, s[76:77]
.LBB47_4510:
	s_or_b64 exec, exec, s[82:83]
                                        ; implicit-def: $vgpr112
                                        ; implicit-def: $vgpr2_vgpr3
.LBB47_4511:
	s_andn2_saveexec_b64 s[88:89], vcc
	s_cbranch_execz .LBB47_4529
; %bb.4512:
	v_mov_b32_e32 v1, 1
	v_cmp_gt_i16_sdwa vcc, v11, v1 src0_sel:BYTE_0 src1_sel:DWORD
	s_and_saveexec_b64 s[74:75], vcc
	s_xor_b64 s[84:85], exec, s[74:75]
	s_cbranch_execz .LBB47_4522
; %bb.4513:
	v_mov_b32_e32 v1, 2
	v_cmp_gt_i16_sdwa vcc, v11, v1 src0_sel:BYTE_0 src1_sel:DWORD
	s_and_saveexec_b64 s[74:75], vcc
	s_xor_b64 s[82:83], exec, s[74:75]
	;; [unrolled: 6-line block ×3, first 2 shown]
	s_cbranch_execz .LBB47_4516
; %bb.4515:
	v_trunc_f32_e32 v1, v112
	s_mov_b32 s74, 0x2f800000
	v_mul_f32_e64 v4, |v1|, s74
	v_floor_f32_e32 v4, v4
	s_mov_b32 s74, 0xcf800000
	v_cvt_u32_f32_e32 v5, v4
	v_fma_f32 v4, v4, s74, |v1|
	v_cvt_u32_f32_e32 v4, v4
	v_ashrrev_i32_e32 v1, 31, v1
	v_xor_b32_e32 v5, v5, v1
                                        ; implicit-def: $vgpr112
	v_xor_b32_e32 v4, v4, v1
	v_sub_co_u32_e32 v4, vcc, v4, v1
	v_subb_co_u32_e32 v5, vcc, v5, v1, vcc
	flat_store_dwordx2 v[2:3], v[4:5]
                                        ; implicit-def: $vgpr2_vgpr3
.LBB47_4516:
	s_andn2_saveexec_b64 vcc, s[80:81]
	s_cbranch_execz .LBB47_4518
; %bb.4517:
	v_cvt_i32_f32_e32 v1, v112
	flat_store_dword v[2:3], v1
.LBB47_4518:
	s_or_b64 exec, exec, vcc
                                        ; implicit-def: $vgpr112
                                        ; implicit-def: $vgpr2_vgpr3
.LBB47_4519:
	s_andn2_saveexec_b64 vcc, s[82:83]
	s_cbranch_execz .LBB47_4521
; %bb.4520:
	v_cvt_i32_f32_e32 v1, v112
	flat_store_short v[2:3], v1
.LBB47_4521:
	s_or_b64 exec, exec, vcc
                                        ; implicit-def: $vgpr112
                                        ; implicit-def: $vgpr2_vgpr3
.LBB47_4522:
	s_andn2_saveexec_b64 vcc, s[84:85]
	s_cbranch_execz .LBB47_4528
; %bb.4523:
	v_mov_b32_e32 v1, 0
	v_cmp_gt_i16_sdwa s[74:75], v11, v1 src0_sel:BYTE_0 src1_sel:DWORD
	s_and_saveexec_b64 s[76:77], s[74:75]
	s_xor_b64 s[76:77], exec, s[76:77]
	s_cbranch_execz .LBB47_4525
; %bb.4524:
	v_cvt_i32_f32_e32 v1, v112
                                        ; implicit-def: $vgpr112
	flat_store_byte v[2:3], v1
                                        ; implicit-def: $vgpr2_vgpr3
.LBB47_4525:
	s_andn2_saveexec_b64 s[80:81], s[76:77]
	s_cbranch_execz .LBB47_4527
; %bb.4526:
	v_trunc_f32_e32 v1, v112
	s_mov_b32 s74, 0x2f800000
	v_mul_f32_e64 v4, |v1|, s74
	v_floor_f32_e32 v4, v4
	s_mov_b32 s74, 0xcf800000
	v_fma_f32 v4, v4, s74, |v1|
	v_cvt_u32_f32_e32 v4, v4
	v_ashrrev_i32_e32 v1, 31, v1
	v_xor_b32_e32 v4, v4, v1
	v_sub_u32_e32 v1, v4, v1
	flat_store_byte v[2:3], v1
.LBB47_4527:
	s_or_b64 exec, exec, s[80:81]
.LBB47_4528:
	s_or_b64 exec, exec, vcc
.LBB47_4529:
	s_or_b64 exec, exec, s[88:89]
	s_or_b64 s[4:5], s[4:5], exec
.LBB47_4530:
	s_or_b64 exec, exec, s[92:93]
	s_mov_b64 vcc, 0
	s_and_saveexec_b64 s[76:77], s[4:5]
; %bb.4531:
	s_mov_b64 vcc, exec
	v_add_u32_e32 v101, 0x200, v101
; %bb.4532:
	s_or_b64 exec, exec, s[76:77]
	v_readlane_b32 s4, v43, 46
	v_readlane_b32 s5, v43, 47
	s_andn2_b64 s[4:5], s[4:5], exec
	s_and_b64 s[74:75], s[90:91], exec
	s_or_b64 s[4:5], s[4:5], s[74:75]
	v_writelane_b32 v43, s4, 54
	v_writelane_b32 v43, s5, 55
	s_orn2_b64 s[82:83], vcc, exec
.LBB47_4533:
	s_or_b64 exec, exec, s[96:97]
	s_mov_b64 s[4:5], 0
	s_mov_b64 vcc, 0
	s_mov_b64 s[80:81], 0
                                        ; implicit-def: $vgpr4
                                        ; implicit-def: $vgpr2_vgpr3
	s_mov_b64 s[74:75], exec
	v_writelane_b32 v43, s74, 56
	v_writelane_b32 v43, s75, 57
	s_and_b64 s[74:75], s[74:75], s[82:83]
	s_mov_b64 exec, s[74:75]
	s_cbranch_execz .LBB47_4755
; %bb.4534:
	v_readlane_b32 s4, v43, 54
	v_readlane_b32 s5, v43, 55
	v_cmp_lt_i32_e32 vcc, v101, v6
	s_mov_b64 s[82:83], -1
	v_writelane_b32 v43, s4, 62
	v_writelane_b32 v43, s5, 63
	s_and_saveexec_b64 s[96:97], vcc
                                        ; implicit-def: $vgpr42 : SGPR spill to VGPR lane
	s_cbranch_execz .LBB47_4662
; %bb.4535:
	v_readlane_b32 s4, v44, 1
	v_add_u32_e32 v1, s4, v101
	v_mul_lo_u32 v1, v1, v12
	v_add_co_u32_e32 v2, vcc, v114, v1
	v_addc_co_u32_e32 v3, vcc, 0, v13, vcc
	v_mov_b32_e32 v1, 10
	v_readlane_b32 s90, v43, 54
	v_cmp_gt_i16_sdwa vcc, v11, v1 src0_sel:BYTE_0 src1_sel:DWORD
	s_mov_b64 s[4:5], 0
	v_readlane_b32 s91, v43, 55
	s_and_saveexec_b64 s[74:75], vcc
	s_xor_b64 s[74:75], exec, s[74:75]
	v_writelane_b32 v42, s74, 2
	v_writelane_b32 v42, s75, 3
	s_cbranch_execz .LBB47_4617
; %bb.4536:
	v_mov_b32_e32 v1, 25
	v_readlane_b32 s92, v43, 54
	v_cmp_gt_i16_sdwa s[4:5], v11, v1 src0_sel:BYTE_0 src1_sel:DWORD
	s_mov_b64 s[88:89], 0
	v_readlane_b32 s93, v43, 55
	s_and_saveexec_b64 vcc, s[4:5]
	s_xor_b64 s[90:91], exec, vcc
	s_cbranch_execz .LBB47_4572
; %bb.4537:
	v_mov_b32_e32 v1, 28
	v_readlane_b32 s92, v43, 54
	v_cmp_gt_i16_sdwa vcc, v11, v1 src0_sel:BYTE_0 src1_sel:DWORD
	s_mov_b64 s[4:5], 0
	v_readlane_b32 s93, v43, 55
	s_and_saveexec_b64 s[74:75], vcc
	s_xor_b64 s[88:89], exec, s[74:75]
	s_cbranch_execz .LBB47_4555
; %bb.4538:
	v_mov_b32_e32 v1, 43
	v_readlane_b32 vcc_lo, v43, 54
	v_cmp_gt_i16_sdwa s[74:75], v11, v1 src0_sel:BYTE_0 src1_sel:DWORD
	v_readlane_b32 vcc_hi, v43, 55
	s_and_saveexec_b64 s[76:77], s[74:75]
	s_xor_b64 s[76:77], exec, s[76:77]
	s_cbranch_execz .LBB47_4550
; %bb.4539:
	v_mov_b32_e32 v1, 45
	v_readlane_b32 s84, v43, 54
	v_cmp_gt_i16_sdwa s[4:5], v11, v1 src0_sel:BYTE_0 src1_sel:DWORD
	s_mov_b64 s[86:87], 0
	v_readlane_b32 s85, v43, 55
	s_and_saveexec_b64 vcc, s[4:5]
	s_xor_b64 s[4:5], exec, vcc
	s_cbranch_execz .LBB47_4543
; %bb.4540:
	v_mov_b32_e32 v1, 46
	v_cmp_eq_u16_sdwa s[74:75], v11, v1 src0_sel:BYTE_0 src1_sel:DWORD
	s_mov_b64 vcc, -1
	s_and_saveexec_b64 s[82:83], s[74:75]
	s_cbranch_execz .LBB47_4542
; %bb.4541:
	v_bfe_u32 v1, v102, 16, 1
	s_movk_i32 vcc_lo, 0x7fff
	v_add3_u32 v1, v102, v1, vcc_lo
	v_lshrrev_b32_e32 v1, 16, v1
	v_mov_b32_e32 v4, 0x7fc0
	v_cmp_o_f32_e32 vcc, v102, v102
	v_cndmask_b32_e32 v1, v4, v1, vcc
	s_mov_b64 s[80:81], exec
	flat_store_dword v[2:3], v1
	s_xor_b64 vcc, exec, -1
.LBB47_4542:
	s_or_b64 exec, exec, s[82:83]
	v_readlane_b32 s74, v43, 54
	v_readlane_b32 s75, v43, 55
	s_andn2_b64 s[74:75], s[74:75], exec
	s_and_b64 vcc, vcc, exec
	s_or_b64 s[84:85], s[74:75], vcc
	s_and_b64 s[86:87], s[80:81], exec
                                        ; implicit-def: $vgpr2_vgpr3
                                        ; implicit-def: $vgpr102
.LBB47_4543:
	s_andn2_saveexec_b64 s[92:93], s[4:5]
	s_cbranch_execz .LBB47_4549
; %bb.4544:
	v_mov_b32_e32 v1, 44
	v_cmp_eq_u16_sdwa s[74:75], v11, v1 src0_sel:BYTE_0 src1_sel:DWORD
	s_mov_b64 vcc, -1
	s_mov_b64 s[4:5], s[86:87]
	s_and_saveexec_b64 s[80:81], s[74:75]
	s_cbranch_execz .LBB47_4548
; %bb.4545:
	v_bfe_u32 v1, v102, 23, 8
	s_movk_i32 s4, 0xff
	v_cmp_ne_u32_e32 vcc, s4, v1
	v_mov_b32_e32 v4, 0xff
	s_and_saveexec_b64 s[82:83], vcc
; %bb.4546:
	s_mov_b32 s4, 0x3fffff
	v_and_b32_e32 v5, 0x400000, v102
	v_and_or_b32 v1, v102, s4, v1
	v_cmp_ne_u32_e32 vcc, 0, v5
	v_cmp_ne_u32_e64 s[4:5], 0, v1
	s_and_b64 s[4:5], vcc, s[4:5]
	v_lshrrev_b32_e32 v4, 23, v102
	v_cndmask_b32_e64 v1, 0, 1, s[4:5]
	v_add_u32_e32 v4, v4, v1
; %bb.4547:
	s_or_b64 exec, exec, s[82:83]
	s_xor_b64 vcc, exec, -1
	s_or_b64 s[4:5], s[86:87], exec
	flat_store_byte v[2:3], v4
.LBB47_4548:
	s_or_b64 exec, exec, s[80:81]
	s_andn2_b64 s[74:75], s[84:85], exec
	s_and_b64 vcc, vcc, exec
	s_or_b64 s[84:85], s[74:75], vcc
	s_andn2_b64 vcc, s[86:87], exec
	s_and_b64 s[4:5], s[4:5], exec
	s_or_b64 s[86:87], vcc, s[4:5]
.LBB47_4549:
	s_or_b64 exec, exec, s[92:93]
	v_readlane_b32 s4, v43, 54
	v_readlane_b32 s5, v43, 55
	s_andn2_b64 s[4:5], s[4:5], exec
	s_and_b64 vcc, s[84:85], exec
	s_or_b64 vcc, s[4:5], vcc
	s_and_b64 s[4:5], s[86:87], exec
                                        ; implicit-def: $vgpr102
                                        ; implicit-def: $vgpr2_vgpr3
.LBB47_4550:
	s_andn2_saveexec_b64 s[82:83], s[76:77]
	s_cbranch_execz .LBB47_4554
; %bb.4551:
	v_mov_b32_e32 v1, 29
	v_cmp_eq_u16_sdwa s[74:75], v11, v1 src0_sel:BYTE_0 src1_sel:DWORD
	s_mov_b64 s[86:87], -1
	s_mov_b64 s[84:85], s[4:5]
	s_and_saveexec_b64 s[80:81], s[74:75]
	s_cbranch_execz .LBB47_4553
; %bb.4552:
	v_trunc_f32_e32 v1, v102
	v_mul_f32_e32 v4, 0x2f800000, v1
	v_floor_f32_e32 v4, v4
	v_fmac_f32_e32 v1, 0xcf800000, v4
	v_cvt_u32_f32_e32 v5, v4
	v_cvt_u32_f32_e32 v4, v1
	s_xor_b64 s[86:87], exec, -1
	s_or_b64 s[84:85], s[4:5], exec
	flat_store_dwordx2 v[2:3], v[4:5]
.LBB47_4553:
	s_or_b64 exec, exec, s[80:81]
	s_andn2_b64 vcc, vcc, exec
	s_and_b64 s[74:75], s[86:87], exec
	s_or_b64 vcc, vcc, s[74:75]
	s_andn2_b64 s[4:5], s[4:5], exec
	s_and_b64 s[74:75], s[84:85], exec
	s_or_b64 s[4:5], s[4:5], s[74:75]
.LBB47_4554:
	s_or_b64 exec, exec, s[82:83]
	v_readlane_b32 s74, v43, 54
	v_readlane_b32 s75, v43, 55
	s_andn2_b64 s[74:75], s[74:75], exec
	s_and_b64 vcc, vcc, exec
	s_or_b64 s[92:93], s[74:75], vcc
	s_and_b64 s[4:5], s[4:5], exec
                                        ; implicit-def: $vgpr2_vgpr3
                                        ; implicit-def: $vgpr102
.LBB47_4555:
	s_andn2_saveexec_b64 s[88:89], s[88:89]
	s_cbranch_execz .LBB47_4571
; %bb.4556:
	v_mov_b32_e32 v1, 26
	v_cmp_gt_i16_sdwa vcc, v11, v1 src0_sel:BYTE_0 src1_sel:DWORD
	s_and_saveexec_b64 s[74:75], vcc
	s_xor_b64 vcc, exec, s[74:75]
	s_cbranch_execz .LBB47_4562
; %bb.4557:
	v_cvt_u32_f32_e32 v1, v102
	v_mov_b32_e32 v4, 27
	v_cmp_gt_i16_sdwa s[74:75], v11, v4 src0_sel:BYTE_0 src1_sel:DWORD
	s_and_saveexec_b64 s[76:77], s[74:75]
	s_xor_b64 s[76:77], exec, s[76:77]
	s_cbranch_execz .LBB47_4559
; %bb.4558:
	flat_store_dword v[2:3], v1
                                        ; implicit-def: $vgpr2_vgpr3
                                        ; implicit-def: $vgpr1
.LBB47_4559:
	s_andn2_saveexec_b64 s[76:77], s[76:77]
	s_cbranch_execz .LBB47_4561
; %bb.4560:
	flat_store_short v[2:3], v1
.LBB47_4561:
	s_or_b64 exec, exec, s[76:77]
                                        ; implicit-def: $vgpr2_vgpr3
                                        ; implicit-def: $vgpr102
.LBB47_4562:
	s_andn2_saveexec_b64 s[86:87], vcc
	s_cbranch_execz .LBB47_4570
; %bb.4563:
	v_and_b32_e32 v1, 0x7fffffff, v102
	s_mov_b32 vcc_lo, 0x43800000
	v_cmp_gt_u32_e32 vcc, vcc_lo, v1
	v_mov_b32_e32 v4, 0x80
	s_and_saveexec_b64 s[84:85], vcc
	s_cbranch_execz .LBB47_4569
; %bb.4564:
	s_mov_b32 vcc_lo, 0x3bffffff
	v_cmp_lt_u32_e32 vcc, vcc_lo, v1
	s_mov_b64 s[82:83], 0
                                        ; implicit-def: $vgpr1
	s_and_saveexec_b64 s[74:75], vcc
	s_xor_b64 vcc, exec, s[74:75]
	s_cbranch_execnz .LBB47_7997
; %bb.4565:
	s_or_saveexec_b64 s[80:81], vcc
                                        ; implicit-def: $sgpr76
	s_xor_b64 exec, exec, s[80:81]
	s_cbranch_execnz .LBB47_7998
.LBB47_4566:
	s_or_b64 exec, exec, s[80:81]
	v_mov_b32_e32 v4, s76
	s_and_saveexec_b64 vcc, s[82:83]
.LBB47_4567:
	v_lshrrev_b32_e32 v4, 24, v102
	s_movk_i32 s74, 0x80
	v_and_or_b32 v4, v4, s74, v1
.LBB47_4568:
	s_or_b64 exec, exec, vcc
.LBB47_4569:
	s_or_b64 exec, exec, s[84:85]
	flat_store_byte v[2:3], v4
.LBB47_4570:
	s_or_b64 exec, exec, s[86:87]
	s_or_b64 s[4:5], s[4:5], exec
.LBB47_4571:
	s_or_b64 exec, exec, s[88:89]
	v_readlane_b32 vcc_lo, v43, 54
	v_readlane_b32 vcc_hi, v43, 55
	s_andn2_b64 vcc, vcc, exec
	s_and_b64 s[74:75], s[92:93], exec
	s_or_b64 s[92:93], vcc, s[74:75]
	s_and_b64 s[88:89], s[4:5], exec
                                        ; implicit-def: $vgpr102
                                        ; implicit-def: $vgpr2_vgpr3
.LBB47_4572:
	s_andn2_saveexec_b64 s[90:91], s[90:91]
	s_cbranch_execz .LBB47_4616
; %bb.4573:
	v_mov_b32_e32 v1, 22
	v_cmp_gt_i16_sdwa vcc, v11, v1 src0_sel:BYTE_0 src1_sel:DWORD
	s_mov_b64 s[4:5], s[88:89]
	s_and_saveexec_b64 s[74:75], vcc
	s_xor_b64 s[86:87], exec, s[74:75]
	s_cbranch_execz .LBB47_4605
; %bb.4574:
	v_mov_b32_e32 v1, 23
	v_cmp_gt_i16_sdwa s[4:5], v11, v1 src0_sel:BYTE_0 src1_sel:DWORD
	s_and_saveexec_b64 vcc, s[4:5]
	s_xor_b64 vcc, exec, vcc
	v_writelane_b32 v42, vcc_lo, 4
	v_writelane_b32 v42, vcc_hi, 5
	s_cbranch_execz .LBB47_4594
; %bb.4575:
	v_mov_b32_e32 v1, 24
	v_cmp_gt_i16_sdwa s[4:5], v11, v1 src0_sel:BYTE_0 src1_sel:DWORD
	s_and_saveexec_b64 vcc, s[4:5]
	s_xor_b64 s[4:5], exec, vcc
	s_cbranch_execz .LBB47_4583
; %bb.4576:
	v_and_b32_e32 v1, 0x7fffffff, v102
	s_mov_b32 vcc_lo, 0x47800000
	v_cmp_gt_u32_e32 vcc, vcc_lo, v1
	v_mov_b32_e32 v4, 0x80
	s_and_saveexec_b64 s[84:85], vcc
	s_cbranch_execz .LBB47_4582
; %bb.4577:
	s_mov_b32 vcc_lo, 0x37ffffff
	v_cmp_lt_u32_e32 vcc, vcc_lo, v1
	s_mov_b64 s[82:83], 0
                                        ; implicit-def: $vgpr1
	s_and_saveexec_b64 s[74:75], vcc
	s_xor_b64 vcc, exec, s[74:75]
	s_cbranch_execnz .LBB47_7999
; %bb.4578:
	s_or_saveexec_b64 s[80:81], vcc
                                        ; implicit-def: $sgpr76
	s_xor_b64 exec, exec, s[80:81]
	s_cbranch_execnz .LBB47_8000
.LBB47_4579:
	s_or_b64 exec, exec, s[80:81]
	v_mov_b32_e32 v4, s76
	s_and_saveexec_b64 vcc, s[82:83]
.LBB47_4580:
	v_lshrrev_b32_e32 v4, 24, v102
	s_movk_i32 s74, 0x80
	v_and_or_b32 v4, v4, s74, v1
.LBB47_4581:
	s_or_b64 exec, exec, vcc
.LBB47_4582:
	s_or_b64 exec, exec, s[84:85]
	flat_store_byte v[2:3], v4
                                        ; implicit-def: $vgpr102
                                        ; implicit-def: $vgpr2_vgpr3
.LBB47_4583:
	s_andn2_saveexec_b64 s[4:5], s[4:5]
	s_cbranch_execz .LBB47_4593
; %bb.4584:
	v_and_b32_e32 v4, 0x7fffffff, v102
	s_mov_b32 vcc_lo, 0x43f00000
	v_cmp_gt_u32_e32 vcc, vcc_lo, v4
                                        ; implicit-def: $vgpr1
	s_and_saveexec_b64 s[74:75], vcc
	s_xor_b64 s[80:81], exec, s[74:75]
	s_cbranch_execz .LBB47_4590
; %bb.4585:
	s_mov_b32 vcc_lo, 0x3c7fffff
	v_cmp_lt_u32_e32 vcc, vcc_lo, v4
                                        ; implicit-def: $vgpr1
	s_and_saveexec_b64 s[74:75], vcc
	s_xor_b64 s[78:79], exec, s[74:75]
; %bb.4586:
	v_bfe_u32 v1, v102, 20, 1
	s_mov_b32 vcc_lo, 0x407ffff
	v_add3_u32 v1, v102, v1, vcc_lo
	v_lshrrev_b32_e32 v4, 20, v1
	v_and_b32_e32 v1, 0xff00000, v1
	s_mov_b32 vcc_lo, 0x7f00000
	v_mov_b32_e32 v5, 0x7e
	v_cmp_ne_u32_e32 vcc, vcc_lo, v1
	v_cndmask_b32_e32 v1, v5, v4, vcc
; %bb.4587:
	s_andn2_saveexec_b64 vcc, s[78:79]
; %bb.4588:
	s_mov_b32 s74, 0x46800000
	v_add_f32_e64 v1, |v102|, s74
; %bb.4589:
	s_or_b64 exec, exec, vcc
                                        ; implicit-def: $vgpr4
.LBB47_4590:
	s_andn2_saveexec_b64 s[80:81], s[80:81]
; %bb.4591:
	s_mov_b32 vcc_lo, 0x7f800000
	v_mov_b32_e32 v1, 0x7e
	v_mov_b32_e32 v5, 0x7f
	v_cmp_lt_u32_e32 vcc, vcc_lo, v4
	v_cndmask_b32_e32 v1, v1, v5, vcc
; %bb.4592:
	s_or_b64 exec, exec, s[80:81]
	v_lshrrev_b32_e32 v4, 24, v102
	s_movk_i32 vcc_lo, 0x80
	v_and_or_b32 v1, v4, vcc_lo, v1
	flat_store_byte v[2:3], v1
.LBB47_4593:
	s_or_b64 exec, exec, s[4:5]
                                        ; implicit-def: $vgpr102
                                        ; implicit-def: $vgpr2_vgpr3
.LBB47_4594:
	v_readlane_b32 s4, v42, 4
	v_readlane_b32 s5, v42, 5
	s_andn2_saveexec_b64 s[4:5], s[4:5]
	s_cbranch_execz .LBB47_4604
; %bb.4595:
	v_and_b32_e32 v4, 0x7fffffff, v102
	s_mov_b32 vcc_lo, 0x47800000
	v_cmp_gt_u32_e32 vcc, vcc_lo, v4
                                        ; implicit-def: $vgpr1
	s_and_saveexec_b64 s[74:75], vcc
	s_xor_b64 s[80:81], exec, s[74:75]
	s_cbranch_execz .LBB47_4601
; %bb.4596:
	s_mov_b32 vcc_lo, 0x387fffff
	v_cmp_lt_u32_e32 vcc, vcc_lo, v4
                                        ; implicit-def: $vgpr1
	s_and_saveexec_b64 s[74:75], vcc
	s_xor_b64 vcc, exec, s[74:75]
; %bb.4597:
	v_bfe_u32 v1, v102, 21, 1
	s_mov_b32 s74, 0x80fffff
	v_add3_u32 v1, v102, v1, s74
	v_lshrrev_b32_e32 v1, 21, v1
; %bb.4598:
	s_andn2_saveexec_b64 vcc, vcc
; %bb.4599:
	s_mov_b32 s74, 0x43000000
	v_add_f32_e64 v1, |v102|, s74
; %bb.4600:
	s_or_b64 exec, exec, vcc
                                        ; implicit-def: $vgpr4
.LBB47_4601:
	s_andn2_saveexec_b64 s[80:81], s[80:81]
; %bb.4602:
	s_mov_b32 vcc_lo, 0x7f800000
	v_mov_b32_e32 v1, 0x7c
	v_mov_b32_e32 v5, 0x7f
	v_cmp_lt_u32_e32 vcc, vcc_lo, v4
	v_cndmask_b32_e32 v1, v1, v5, vcc
; %bb.4603:
	s_or_b64 exec, exec, s[80:81]
	v_lshrrev_b32_e32 v4, 24, v102
	s_movk_i32 vcc_lo, 0x80
	v_and_or_b32 v1, v4, vcc_lo, v1
	flat_store_byte v[2:3], v1
.LBB47_4604:
	s_or_b64 exec, exec, s[4:5]
	s_or_b64 s[4:5], s[88:89], exec
                                        ; implicit-def: $vgpr102
                                        ; implicit-def: $vgpr2_vgpr3
.LBB47_4605:
	s_or_saveexec_b64 s[86:87], s[86:87]
	s_mov_b64 vcc, s[92:93]
	s_xor_b64 exec, exec, s[86:87]
	s_cbranch_execz .LBB47_4615
; %bb.4606:
	v_mov_b32_e32 v1, 14
	v_cmp_gt_i16_sdwa vcc, v11, v1 src0_sel:BYTE_0 src1_sel:DWORD
	s_mov_b64 s[84:85], s[4:5]
	s_mov_b64 s[82:83], s[92:93]
	s_and_saveexec_b64 s[74:75], vcc
	s_xor_b64 s[80:81], exec, s[74:75]
	s_cbranch_execz .LBB47_4610
; %bb.4607:
	v_mov_b32_e32 v1, 15
	v_cmp_eq_u16_sdwa s[74:75], v11, v1 src0_sel:BYTE_0 src1_sel:DWORD
	s_mov_b64 s[78:79], -1
	s_mov_b64 vcc, s[4:5]
	s_and_saveexec_b64 s[82:83], s[74:75]
	s_cbranch_execz .LBB47_4609
; %bb.4608:
	v_bfe_u32 v1, v102, 16, 1
	s_movk_i32 vcc_lo, 0x7fff
	v_add3_u32 v1, v102, v1, vcc_lo
	v_lshrrev_b32_e32 v1, 16, v1
	v_mov_b32_e32 v4, 0x7fc0
	v_cmp_o_f32_e32 vcc, v102, v102
	v_cndmask_b32_e32 v1, v4, v1, vcc
	flat_store_short v[2:3], v1
	s_xor_b64 s[78:79], exec, -1
	s_or_b64 vcc, s[4:5], exec
.LBB47_4609:
	s_or_b64 exec, exec, s[82:83]
	s_andn2_b64 s[74:75], s[92:93], exec
	s_and_b64 s[76:77], s[78:79], exec
	s_or_b64 s[82:83], s[74:75], s[76:77]
	s_andn2_b64 s[74:75], s[4:5], exec
	s_and_b64 vcc, vcc, exec
	s_or_b64 s[84:85], s[74:75], vcc
                                        ; implicit-def: $vgpr102
                                        ; implicit-def: $vgpr2_vgpr3
.LBB47_4610:
	s_andn2_saveexec_b64 s[80:81], s[80:81]
	s_cbranch_execz .LBB47_4614
; %bb.4611:
	v_mov_b32_e32 v1, 11
	v_cmp_eq_u16_sdwa s[74:75], v11, v1 src0_sel:BYTE_0 src1_sel:DWORD
	s_mov_b64 s[78:79], -1
	s_mov_b64 vcc, s[84:85]
	s_and_saveexec_b64 s[76:77], s[74:75]
	s_cbranch_execz .LBB47_4613
; %bb.4612:
	v_cmp_neq_f32_e32 vcc, 0, v102
	v_cndmask_b32_e64 v1, 0, 1, vcc
	flat_store_byte v[2:3], v1
	s_xor_b64 s[78:79], exec, -1
	s_or_b64 vcc, s[84:85], exec
.LBB47_4613:
	s_or_b64 exec, exec, s[76:77]
	s_andn2_b64 s[74:75], s[82:83], exec
	s_and_b64 s[76:77], s[78:79], exec
	s_or_b64 s[82:83], s[74:75], s[76:77]
	s_andn2_b64 s[74:75], s[84:85], exec
	s_and_b64 vcc, vcc, exec
	s_or_b64 s[84:85], s[74:75], vcc
.LBB47_4614:
	s_or_b64 exec, exec, s[80:81]
	s_andn2_b64 vcc, s[92:93], exec
	s_and_b64 s[74:75], s[82:83], exec
	s_or_b64 vcc, vcc, s[74:75]
	s_andn2_b64 s[4:5], s[4:5], exec
	s_and_b64 s[74:75], s[84:85], exec
	s_or_b64 s[4:5], s[4:5], s[74:75]
.LBB47_4615:
	s_or_b64 exec, exec, s[86:87]
	s_andn2_b64 s[74:75], s[92:93], exec
	s_and_b64 vcc, vcc, exec
	s_or_b64 s[92:93], s[74:75], vcc
	s_andn2_b64 vcc, s[88:89], exec
	s_and_b64 s[4:5], s[4:5], exec
	s_or_b64 s[88:89], vcc, s[4:5]
.LBB47_4616:
	s_or_b64 exec, exec, s[90:91]
	v_readlane_b32 s4, v43, 54
	v_readlane_b32 s5, v43, 55
	s_andn2_b64 s[4:5], s[4:5], exec
	s_and_b64 vcc, s[92:93], exec
	s_or_b64 s[90:91], s[4:5], vcc
	s_and_b64 s[4:5], s[88:89], exec
                                        ; implicit-def: $vgpr102
                                        ; implicit-def: $vgpr2_vgpr3
.LBB47_4617:
	v_readlane_b32 vcc_lo, v42, 2
	v_readlane_b32 vcc_hi, v42, 3
	s_andn2_saveexec_b64 s[92:93], vcc
	s_cbranch_execz .LBB47_4659
; %bb.4618:
	v_mov_b32_e32 v1, 4
	v_cmp_gt_i16_sdwa vcc, v11, v1 src0_sel:BYTE_0 src1_sel:DWORD
	s_and_saveexec_b64 s[74:75], vcc
	s_xor_b64 vcc, exec, s[74:75]
	s_cbranch_execz .LBB47_4640
; %bb.4619:
	v_mov_b32_e32 v1, 7
	v_cmp_gt_i16_sdwa s[74:75], v11, v1 src0_sel:BYTE_0 src1_sel:DWORD
	s_and_saveexec_b64 s[76:77], s[74:75]
	s_xor_b64 s[84:85], exec, s[76:77]
	s_cbranch_execz .LBB47_4629
; %bb.4620:
	v_mov_b32_e32 v1, 8
	v_cmp_gt_i16_sdwa s[74:75], v11, v1 src0_sel:BYTE_0 src1_sel:DWORD
	s_and_saveexec_b64 s[76:77], s[74:75]
	s_xor_b64 s[82:83], exec, s[76:77]
	;; [unrolled: 6-line block ×3, first 2 shown]
	s_cbranch_execz .LBB47_4623
; %bb.4622:
	v_mov_b32_e32 v16, 0
	v_cvt_f64_f32_e32 v[14:15], v102
	v_mov_b32_e32 v17, v16
	flat_store_dwordx4 v[2:3], v[14:17]
                                        ; implicit-def: $vgpr102
                                        ; implicit-def: $vgpr2_vgpr3
.LBB47_4623:
	s_andn2_saveexec_b64 s[76:77], s[78:79]
	s_cbranch_execz .LBB47_4625
; %bb.4624:
	v_mov_b32_e32 v103, 0
	flat_store_dwordx2 v[2:3], v[102:103]
.LBB47_4625:
	s_or_b64 exec, exec, s[76:77]
                                        ; implicit-def: $vgpr102
                                        ; implicit-def: $vgpr2_vgpr3
.LBB47_4626:
	s_andn2_saveexec_b64 s[76:77], s[82:83]
	s_cbranch_execz .LBB47_4628
; %bb.4627:
	v_cvt_f16_f32_e32 v1, v102
	flat_store_dword v[2:3], v1
.LBB47_4628:
	s_or_b64 exec, exec, s[76:77]
                                        ; implicit-def: $vgpr102
                                        ; implicit-def: $vgpr2_vgpr3
.LBB47_4629:
	s_andn2_saveexec_b64 s[82:83], s[84:85]
	s_cbranch_execz .LBB47_4639
; %bb.4630:
	v_mov_b32_e32 v1, 5
	v_cmp_gt_i16_sdwa s[74:75], v11, v1 src0_sel:BYTE_0 src1_sel:DWORD
	s_and_saveexec_b64 s[76:77], s[74:75]
	s_xor_b64 s[80:81], exec, s[76:77]
	s_cbranch_execz .LBB47_4636
; %bb.4631:
	v_mov_b32_e32 v1, 6
	v_cmp_gt_i16_sdwa s[74:75], v11, v1 src0_sel:BYTE_0 src1_sel:DWORD
	s_and_saveexec_b64 s[76:77], s[74:75]
	s_xor_b64 s[76:77], exec, s[76:77]
	s_cbranch_execz .LBB47_4633
; %bb.4632:
	v_cvt_f64_f32_e32 v[4:5], v102
	flat_store_dwordx2 v[2:3], v[4:5]
                                        ; implicit-def: $vgpr2_vgpr3
                                        ; implicit-def: $vgpr102
.LBB47_4633:
	s_andn2_saveexec_b64 s[76:77], s[76:77]
	s_cbranch_execz .LBB47_4635
; %bb.4634:
	flat_store_dword v[2:3], v102
.LBB47_4635:
	s_or_b64 exec, exec, s[76:77]
                                        ; implicit-def: $vgpr102
                                        ; implicit-def: $vgpr2_vgpr3
.LBB47_4636:
	s_andn2_saveexec_b64 s[76:77], s[80:81]
	s_cbranch_execz .LBB47_4638
; %bb.4637:
	v_cvt_f16_f32_e32 v1, v102
	flat_store_short v[2:3], v1
.LBB47_4638:
	s_or_b64 exec, exec, s[76:77]
.LBB47_4639:
	s_or_b64 exec, exec, s[82:83]
                                        ; implicit-def: $vgpr102
                                        ; implicit-def: $vgpr2_vgpr3
.LBB47_4640:
	s_andn2_saveexec_b64 s[88:89], vcc
	s_cbranch_execz .LBB47_4658
; %bb.4641:
	v_mov_b32_e32 v1, 1
	v_cmp_gt_i16_sdwa vcc, v11, v1 src0_sel:BYTE_0 src1_sel:DWORD
	s_and_saveexec_b64 s[74:75], vcc
	s_xor_b64 s[84:85], exec, s[74:75]
	s_cbranch_execz .LBB47_4651
; %bb.4642:
	v_mov_b32_e32 v1, 2
	v_cmp_gt_i16_sdwa vcc, v11, v1 src0_sel:BYTE_0 src1_sel:DWORD
	s_and_saveexec_b64 s[74:75], vcc
	s_xor_b64 s[82:83], exec, s[74:75]
	;; [unrolled: 6-line block ×3, first 2 shown]
	s_cbranch_execz .LBB47_4645
; %bb.4644:
	v_trunc_f32_e32 v1, v102
	s_mov_b32 s74, 0x2f800000
	v_mul_f32_e64 v4, |v1|, s74
	v_floor_f32_e32 v4, v4
	s_mov_b32 s74, 0xcf800000
	v_cvt_u32_f32_e32 v5, v4
	v_fma_f32 v4, v4, s74, |v1|
	v_cvt_u32_f32_e32 v4, v4
	v_ashrrev_i32_e32 v1, 31, v1
	v_xor_b32_e32 v5, v5, v1
                                        ; implicit-def: $vgpr102
	v_xor_b32_e32 v4, v4, v1
	v_sub_co_u32_e32 v4, vcc, v4, v1
	v_subb_co_u32_e32 v5, vcc, v5, v1, vcc
	flat_store_dwordx2 v[2:3], v[4:5]
                                        ; implicit-def: $vgpr2_vgpr3
.LBB47_4645:
	s_andn2_saveexec_b64 vcc, s[80:81]
	s_cbranch_execz .LBB47_4647
; %bb.4646:
	v_cvt_i32_f32_e32 v1, v102
	flat_store_dword v[2:3], v1
.LBB47_4647:
	s_or_b64 exec, exec, vcc
                                        ; implicit-def: $vgpr102
                                        ; implicit-def: $vgpr2_vgpr3
.LBB47_4648:
	s_andn2_saveexec_b64 vcc, s[82:83]
	s_cbranch_execz .LBB47_4650
; %bb.4649:
	v_cvt_i32_f32_e32 v1, v102
	flat_store_short v[2:3], v1
.LBB47_4650:
	s_or_b64 exec, exec, vcc
                                        ; implicit-def: $vgpr102
                                        ; implicit-def: $vgpr2_vgpr3
.LBB47_4651:
	s_andn2_saveexec_b64 vcc, s[84:85]
	s_cbranch_execz .LBB47_4657
; %bb.4652:
	v_mov_b32_e32 v1, 0
	v_cmp_gt_i16_sdwa s[74:75], v11, v1 src0_sel:BYTE_0 src1_sel:DWORD
	s_and_saveexec_b64 s[76:77], s[74:75]
	s_xor_b64 s[76:77], exec, s[76:77]
	s_cbranch_execz .LBB47_4654
; %bb.4653:
	v_cvt_i32_f32_e32 v1, v102
                                        ; implicit-def: $vgpr102
	flat_store_byte v[2:3], v1
                                        ; implicit-def: $vgpr2_vgpr3
.LBB47_4654:
	s_andn2_saveexec_b64 s[80:81], s[76:77]
	s_cbranch_execz .LBB47_4656
; %bb.4655:
	v_trunc_f32_e32 v1, v102
	s_mov_b32 s74, 0x2f800000
	v_mul_f32_e64 v4, |v1|, s74
	v_floor_f32_e32 v4, v4
	s_mov_b32 s74, 0xcf800000
	v_fma_f32 v4, v4, s74, |v1|
	v_cvt_u32_f32_e32 v4, v4
	v_ashrrev_i32_e32 v1, 31, v1
	v_xor_b32_e32 v4, v4, v1
	v_sub_u32_e32 v1, v4, v1
	flat_store_byte v[2:3], v1
.LBB47_4656:
	s_or_b64 exec, exec, s[80:81]
.LBB47_4657:
	s_or_b64 exec, exec, vcc
.LBB47_4658:
	s_or_b64 exec, exec, s[88:89]
	s_or_b64 s[4:5], s[4:5], exec
.LBB47_4659:
	s_or_b64 exec, exec, s[92:93]
	s_mov_b64 vcc, 0
	s_and_saveexec_b64 s[76:77], s[4:5]
; %bb.4660:
	s_mov_b64 vcc, exec
	v_add_u32_e32 v101, 0x200, v101
; %bb.4661:
	s_or_b64 exec, exec, s[76:77]
	v_readlane_b32 s4, v43, 54
	v_readlane_b32 s5, v43, 55
	s_andn2_b64 s[4:5], s[4:5], exec
	s_and_b64 s[74:75], s[90:91], exec
	s_or_b64 s[4:5], s[4:5], s[74:75]
	v_writelane_b32 v43, s4, 62
	v_writelane_b32 v43, s5, 63
	s_orn2_b64 s[82:83], vcc, exec
.LBB47_4662:
	s_or_b64 exec, exec, s[96:97]
	s_mov_b64 s[4:5], 0
	s_mov_b64 vcc, 0
	s_mov_b64 s[80:81], 0
                                        ; implicit-def: $vgpr4
                                        ; implicit-def: $vgpr2_vgpr3
	s_mov_b64 s[74:75], exec
	v_writelane_b32 v42, s74, 0
	v_writelane_b32 v42, s75, 1
	s_and_b64 s[74:75], s[74:75], s[82:83]
	s_mov_b64 exec, s[74:75]
	s_cbranch_execz .LBB47_4754
; %bb.4663:
	v_readlane_b32 s96, v43, 62
	s_mov_b64 s[82:83], -1
	v_readlane_b32 s97, v43, 63
	v_cmp_lt_i32_e32 vcc, v101, v6
	s_mov_b64 s[4:5], exec
	v_writelane_b32 v42, s4, 6
	v_writelane_b32 v42, s5, 7
	s_and_b64 s[4:5], s[4:5], vcc
	s_mov_b64 exec, s[4:5]
	s_cbranch_execz .LBB47_4669
; %bb.4664:
	v_readlane_b32 s4, v44, 1
	v_add_u32_e32 v1, s4, v101
	v_mul_lo_u32 v1, v1, v12
	v_add_co_u32_e32 v2, vcc, v114, v1
	v_addc_co_u32_e32 v3, vcc, 0, v13, vcc
	v_mov_b32_e32 v1, 10
	v_readlane_b32 s90, v43, 62
	v_cmp_gt_i16_sdwa vcc, v11, v1 src0_sel:BYTE_0 src1_sel:DWORD
	s_mov_b64 s[4:5], 0
	v_readlane_b32 s91, v43, 63
	s_and_saveexec_b64 s[74:75], vcc
	s_xor_b64 s[96:97], exec, s[74:75]
	s_cbranch_execnz .LBB47_7859
; %bb.4665:
	s_andn2_saveexec_b64 s[92:93], s[96:97]
	s_cbranch_execnz .LBB47_7940
.LBB47_4666:
	s_or_b64 exec, exec, s[92:93]
	s_mov_b64 vcc, 0
	s_and_saveexec_b64 s[76:77], s[4:5]
.LBB47_4667:
	s_mov_b64 vcc, exec
	v_add_u32_e32 v101, 0x200, v101
.LBB47_4668:
	s_or_b64 exec, exec, s[76:77]
	v_readlane_b32 s4, v43, 62
	v_readlane_b32 s5, v43, 63
	s_andn2_b64 s[4:5], s[4:5], exec
	s_and_b64 s[74:75], s[90:91], exec
	s_or_b64 s[96:97], s[4:5], s[74:75]
	s_orn2_b64 s[82:83], vcc, exec
.LBB47_4669:
	v_readlane_b32 s4, v42, 6
	v_readlane_b32 s5, v42, 7
	s_or_b64 exec, exec, s[4:5]
	s_mov_b64 s[4:5], 0
	s_mov_b64 vcc, 0
	s_mov_b64 s[80:81], 0
                                        ; implicit-def: $vgpr4
                                        ; implicit-def: $vgpr2_vgpr3
	s_mov_b64 s[74:75], exec
	s_mov_b64 s[90:91], s[74:75]
	s_and_b64 s[74:75], s[74:75], s[82:83]
	s_mov_b64 exec, s[74:75]
	s_cbranch_execz .LBB47_4753
; %bb.4670:
	s_mov_b64 s[80:81], -1
	s_mov_b64 s[82:83], s[96:97]
	s_mov_b64 s[84:85], 0
	v_cmp_lt_i32_e32 vcc, v101, v6
                                        ; implicit-def: $vgpr4
                                        ; implicit-def: $vgpr2_vgpr3
	s_mov_b64 s[74:75], exec
	v_writelane_b32 v42, s74, 10
	s_and_b64 vcc, s[74:75], vcc
	v_writelane_b32 v42, s75, 11
	s_mov_b64 exec, vcc
	s_cbranch_execz .LBB47_4752
; %bb.4671:
	v_readlane_b32 s4, v44, 1
	v_add_u32_e32 v1, s4, v101
	v_mul_lo_u32 v1, v1, v12
	v_add_co_u32_e32 v2, vcc, v114, v1
	v_addc_co_u32_e32 v3, vcc, 0, v13, vcc
	v_and_b32_e32 v4, 0xff, v11
	s_mov_b64 s[84:85], -1
	s_mov_b64 s[82:83], 0
	s_mov_b64 s[86:87], s[96:97]
	;; [unrolled: 1-line block ×3, first 2 shown]
	v_cmp_lt_i16_e32 vcc, 10, v4
	s_mov_b64 s[4:5], exec
	v_writelane_b32 v42, s4, 12
	v_writelane_b32 v42, s5, 13
	s_and_b64 s[4:5], s[4:5], vcc
	s_mov_b64 exec, s[4:5]
	s_cbranch_execz .LBB47_4751
; %bb.4672:
	s_mov_b64 s[4:5], 0
	v_writelane_b32 v42, s4, 14
	v_writelane_b32 v42, s5, 15
	s_mov_b64 s[74:75], 0
	v_cmp_lt_i16_e32 vcc, 25, v4
	s_mov_b64 s[4:5], s[96:97]
	v_writelane_b32 v42, s74, 16
	v_writelane_b32 v42, s75, 17
	s_and_saveexec_b64 s[74:75], vcc
	s_xor_b64 s[92:93], exec, s[74:75]
	s_cbranch_execz .LBB47_4708
; %bb.4673:
	v_cmp_lt_i16_e32 vcc, 28, v4
	s_mov_b64 s[4:5], 0
	s_mov_b64 s[88:89], s[96:97]
	s_and_saveexec_b64 s[74:75], vcc
	s_xor_b64 s[76:77], exec, s[74:75]
	s_cbranch_execz .LBB47_4691
; %bb.4674:
	v_cmp_lt_i16_e32 vcc, 43, v4
	s_mov_b64 s[84:85], s[96:97]
	s_and_saveexec_b64 s[74:75], vcc
	s_xor_b64 s[74:75], exec, s[74:75]
	v_writelane_b32 v42, s74, 20
	v_writelane_b32 v42, s75, 21
	s_cbranch_execz .LBB47_4686
; %bb.4675:
	v_cmp_lt_i16_e32 vcc, 45, v4
	s_mov_b64 s[84:85], 0
	s_mov_b64 s[86:87], s[96:97]
	s_and_saveexec_b64 s[4:5], vcc
	s_xor_b64 s[4:5], exec, s[4:5]
	s_cbranch_execz .LBB47_4679
; %bb.4676:
	v_cmp_eq_u16_e32 vcc, 46, v4
	s_mov_b64 s[86:87], -1
	s_and_saveexec_b64 s[82:83], vcc
	s_cbranch_execz .LBB47_4678
; %bb.4677:
	v_bfe_u32 v1, v0, 16, 1
	s_movk_i32 vcc_lo, 0x7fff
	v_add3_u32 v1, v0, v1, vcc_lo
	v_lshrrev_b32_e32 v1, 16, v1
	v_mov_b32_e32 v5, 0x7fc0
	v_cmp_o_f32_e32 vcc, v0, v0
	v_cndmask_b32_e32 v1, v5, v1, vcc
	s_mov_b64 s[80:81], exec
	flat_store_dword v[2:3], v1
	s_xor_b64 s[86:87], exec, -1
.LBB47_4678:
	s_or_b64 exec, exec, s[82:83]
	s_andn2_b64 vcc, s[96:97], exec
	s_and_b64 s[74:75], s[86:87], exec
	s_and_b64 s[84:85], s[80:81], exec
	s_or_b64 s[86:87], vcc, s[74:75]
.LBB47_4679:
	s_andn2_saveexec_b64 s[88:89], s[4:5]
	s_cbranch_execz .LBB47_4685
; %bb.4680:
	v_cmp_eq_u16_e32 vcc, 44, v4
	s_mov_b64 s[4:5], -1
	s_mov_b64 s[78:79], s[84:85]
	s_and_saveexec_b64 s[80:81], vcc
	s_cbranch_execz .LBB47_4684
; %bb.4681:
	v_bfe_u32 v1, v0, 23, 8
	s_movk_i32 s4, 0xff
	v_cmp_ne_u32_e32 vcc, s4, v1
	v_mov_b32_e32 v5, 0xff
	s_and_saveexec_b64 s[82:83], vcc
; %bb.4682:
	s_mov_b32 s4, 0x3fffff
	v_and_b32_e32 v6, 0x400000, v0
	v_and_or_b32 v1, v0, s4, v1
	v_cmp_ne_u32_e32 vcc, 0, v6
	v_cmp_ne_u32_e64 s[4:5], 0, v1
	s_and_b64 s[4:5], vcc, s[4:5]
	v_lshrrev_b32_e32 v5, 23, v0
	v_cndmask_b32_e64 v1, 0, 1, s[4:5]
	v_add_u32_e32 v5, v5, v1
; %bb.4683:
	s_or_b64 exec, exec, s[82:83]
	s_or_b64 s[78:79], s[84:85], exec
	s_xor_b64 s[4:5], exec, -1
	flat_store_byte v[2:3], v5
.LBB47_4684:
	s_or_b64 exec, exec, s[80:81]
	s_andn2_b64 vcc, s[84:85], exec
	s_and_b64 s[74:75], s[78:79], exec
	s_or_b64 s[84:85], vcc, s[74:75]
	s_andn2_b64 vcc, s[86:87], exec
	s_and_b64 s[4:5], s[4:5], exec
	s_or_b64 s[86:87], vcc, s[4:5]
.LBB47_4685:
	s_or_b64 exec, exec, s[88:89]
	s_andn2_b64 vcc, s[96:97], exec
	s_and_b64 s[74:75], s[86:87], exec
	s_and_b64 s[4:5], s[84:85], exec
	s_or_b64 s[84:85], vcc, s[74:75]
.LBB47_4686:
	v_readlane_b32 vcc_lo, v42, 20
	v_readlane_b32 vcc_hi, v42, 21
	s_andn2_saveexec_b64 s[82:83], vcc
	s_cbranch_execz .LBB47_4690
; %bb.4687:
	v_cmp_eq_u16_e32 vcc, 29, v4
	s_mov_b64 s[86:87], -1
	s_mov_b64 s[78:79], s[4:5]
	s_and_saveexec_b64 s[80:81], vcc
	s_cbranch_execz .LBB47_4689
; %bb.4688:
	v_trunc_f32_e32 v1, v0
	v_mul_f32_e32 v5, 0x2f800000, v1
	v_floor_f32_e32 v5, v5
	v_fmac_f32_e32 v1, 0xcf800000, v5
	v_cvt_u32_f32_e32 v7, v5
	v_cvt_u32_f32_e32 v6, v1
	s_or_b64 s[78:79], s[4:5], exec
	s_xor_b64 s[86:87], exec, -1
	flat_store_dwordx2 v[2:3], v[6:7]
.LBB47_4689:
	s_or_b64 exec, exec, s[80:81]
	s_andn2_b64 s[4:5], s[4:5], exec
	s_and_b64 vcc, s[78:79], exec
	s_or_b64 s[4:5], s[4:5], vcc
	s_andn2_b64 vcc, s[84:85], exec
	s_and_b64 s[74:75], s[86:87], exec
	s_or_b64 s[84:85], vcc, s[74:75]
.LBB47_4690:
	s_or_b64 exec, exec, s[82:83]
	s_andn2_b64 vcc, s[96:97], exec
	s_and_b64 s[74:75], s[84:85], exec
	s_and_b64 s[4:5], s[4:5], exec
	s_or_b64 s[88:89], vcc, s[74:75]
.LBB47_4691:
	s_andn2_saveexec_b64 s[78:79], s[76:77]
	s_cbranch_execz .LBB47_4707
; %bb.4692:
	v_cmp_lt_i16_e32 vcc, 26, v4
	s_and_saveexec_b64 s[74:75], vcc
	s_xor_b64 s[80:81], exec, s[74:75]
	s_cbranch_execz .LBB47_4698
; %bb.4693:
	v_cvt_u32_f32_e32 v1, v0
	v_cmp_lt_i16_e32 vcc, 27, v4
	s_and_saveexec_b64 s[74:75], vcc
	s_xor_b64 vcc, exec, s[74:75]
	s_cbranch_execz .LBB47_4695
; %bb.4694:
	flat_store_dword v[2:3], v1
                                        ; implicit-def: $vgpr1
.LBB47_4695:
	s_andn2_saveexec_b64 vcc, vcc
	s_cbranch_execz .LBB47_4697
; %bb.4696:
	flat_store_short v[2:3], v1
.LBB47_4697:
	s_or_b64 exec, exec, vcc
.LBB47_4698:
	s_andn2_saveexec_b64 s[84:85], s[80:81]
	s_cbranch_execz .LBB47_4706
; %bb.4699:
	v_and_b32_e32 v1, 0x7fffffff, v0
	s_mov_b32 vcc_lo, 0x43800000
	v_cmp_gt_u32_e32 vcc, vcc_lo, v1
	v_mov_b32_e32 v5, 0x80
	s_and_saveexec_b64 s[86:87], vcc
	s_cbranch_execz .LBB47_4705
; %bb.4700:
	s_mov_b32 vcc_lo, 0x3bffffff
	v_cmp_lt_u32_e32 vcc, vcc_lo, v1
	s_mov_b64 s[82:83], 0
                                        ; implicit-def: $vgpr1
	s_and_saveexec_b64 s[74:75], vcc
	s_xor_b64 vcc, exec, s[74:75]
	s_cbranch_execnz .LBB47_8003
; %bb.4701:
	s_or_saveexec_b64 s[80:81], vcc
                                        ; implicit-def: $sgpr76
	s_xor_b64 exec, exec, s[80:81]
	s_cbranch_execnz .LBB47_8004
.LBB47_4702:
	s_or_b64 exec, exec, s[80:81]
	v_mov_b32_e32 v5, s76
	s_and_saveexec_b64 vcc, s[82:83]
.LBB47_4703:
	v_lshrrev_b32_e32 v5, 24, v0
	s_movk_i32 s74, 0x80
	v_and_or_b32 v5, v5, s74, v1
.LBB47_4704:
	s_or_b64 exec, exec, vcc
.LBB47_4705:
	s_or_b64 exec, exec, s[86:87]
	flat_store_byte v[2:3], v5
.LBB47_4706:
	s_or_b64 exec, exec, s[84:85]
	s_or_b64 s[4:5], s[4:5], exec
.LBB47_4707:
	s_or_b64 exec, exec, s[78:79]
	s_and_b64 s[4:5], s[4:5], exec
	v_writelane_b32 v42, s4, 16
	v_writelane_b32 v42, s5, 17
	s_andn2_b64 s[4:5], s[96:97], exec
	s_and_b64 vcc, s[88:89], exec
	s_or_b64 s[4:5], s[4:5], vcc
.LBB47_4708:
	s_or_saveexec_b64 vcc, s[92:93]
	v_writelane_b32 v42, vcc_lo, 18
	v_writelane_b32 v42, vcc_hi, 19
	s_xor_b64 exec, exec, vcc
	s_cbranch_execz .LBB47_4750
; %bb.4709:
	v_readlane_b32 s86, v42, 16
	v_cmp_lt_i16_e32 vcc, 22, v4
	v_readlane_b32 s87, v42, 17
	s_and_saveexec_b64 s[74:75], vcc
	s_xor_b64 s[88:89], exec, s[74:75]
	s_cbranch_execz .LBB47_4741
; %bb.4710:
	v_cmp_lt_i16_e32 vcc, 23, v4
	s_and_saveexec_b64 s[74:75], vcc
	s_xor_b64 s[92:93], exec, s[74:75]
	s_cbranch_execz .LBB47_4730
; %bb.4711:
	v_cmp_lt_i16_e32 vcc, 24, v4
	s_and_saveexec_b64 s[74:75], vcc
	s_xor_b64 s[84:85], exec, s[74:75]
	s_cbranch_execz .LBB47_4719
; %bb.4712:
	v_and_b32_e32 v1, 0x7fffffff, v0
	s_mov_b32 vcc_lo, 0x47800000
	v_cmp_gt_u32_e32 vcc, vcc_lo, v1
	v_mov_b32_e32 v5, 0x80
	s_and_saveexec_b64 s[86:87], vcc
	s_cbranch_execz .LBB47_4718
; %bb.4713:
	s_mov_b32 vcc_lo, 0x37ffffff
	v_cmp_lt_u32_e32 vcc, vcc_lo, v1
	s_mov_b64 s[82:83], 0
                                        ; implicit-def: $vgpr1
	s_and_saveexec_b64 s[74:75], vcc
	s_xor_b64 vcc, exec, s[74:75]
	s_cbranch_execnz .LBB47_8007
; %bb.4714:
	s_or_saveexec_b64 s[80:81], vcc
                                        ; implicit-def: $sgpr76
	s_xor_b64 exec, exec, s[80:81]
	s_cbranch_execnz .LBB47_8008
.LBB47_4715:
	s_or_b64 exec, exec, s[80:81]
	v_mov_b32_e32 v5, s76
	s_and_saveexec_b64 vcc, s[82:83]
.LBB47_4716:
	v_lshrrev_b32_e32 v5, 24, v0
	s_movk_i32 s74, 0x80
	v_and_or_b32 v5, v5, s74, v1
.LBB47_4717:
	s_or_b64 exec, exec, vcc
.LBB47_4718:
	s_or_b64 exec, exec, s[86:87]
	flat_store_byte v[2:3], v5
.LBB47_4719:
	s_andn2_saveexec_b64 s[84:85], s[84:85]
	s_cbranch_execz .LBB47_4729
; %bb.4720:
	v_and_b32_e32 v5, 0x7fffffff, v0
	s_mov_b32 vcc_lo, 0x43f00000
	v_cmp_gt_u32_e32 vcc, vcc_lo, v5
                                        ; implicit-def: $vgpr1
	s_and_saveexec_b64 s[74:75], vcc
	s_xor_b64 s[80:81], exec, s[74:75]
	s_cbranch_execz .LBB47_4726
; %bb.4721:
	s_mov_b32 vcc_lo, 0x3c7fffff
	v_cmp_lt_u32_e32 vcc, vcc_lo, v5
                                        ; implicit-def: $vgpr1
	s_and_saveexec_b64 s[74:75], vcc
	s_xor_b64 s[78:79], exec, s[74:75]
; %bb.4722:
	v_bfe_u32 v1, v0, 20, 1
	s_mov_b32 vcc_lo, 0x407ffff
	v_add3_u32 v1, v0, v1, vcc_lo
	v_lshrrev_b32_e32 v5, 20, v1
	v_and_b32_e32 v1, 0xff00000, v1
	s_mov_b32 vcc_lo, 0x7f00000
	v_mov_b32_e32 v6, 0x7e
	v_cmp_ne_u32_e32 vcc, vcc_lo, v1
	v_cndmask_b32_e32 v1, v6, v5, vcc
; %bb.4723:
	s_andn2_saveexec_b64 vcc, s[78:79]
; %bb.4724:
	s_mov_b32 s74, 0x46800000
	v_add_f32_e64 v1, |v0|, s74
; %bb.4725:
	s_or_b64 exec, exec, vcc
                                        ; implicit-def: $vgpr5
.LBB47_4726:
	s_andn2_saveexec_b64 s[80:81], s[80:81]
; %bb.4727:
	s_mov_b32 vcc_lo, 0x7f800000
	v_mov_b32_e32 v1, 0x7e
	v_mov_b32_e32 v6, 0x7f
	v_cmp_lt_u32_e32 vcc, vcc_lo, v5
	v_cndmask_b32_e32 v1, v1, v6, vcc
; %bb.4728:
	s_or_b64 exec, exec, s[80:81]
	v_lshrrev_b32_e32 v5, 24, v0
	s_movk_i32 vcc_lo, 0x80
	v_and_or_b32 v1, v5, vcc_lo, v1
	flat_store_byte v[2:3], v1
.LBB47_4729:
	s_or_b64 exec, exec, s[84:85]
.LBB47_4730:
	s_andn2_saveexec_b64 s[84:85], s[92:93]
	s_cbranch_execz .LBB47_4740
; %bb.4731:
	v_and_b32_e32 v5, 0x7fffffff, v0
	s_mov_b32 vcc_lo, 0x47800000
	v_cmp_gt_u32_e32 vcc, vcc_lo, v5
                                        ; implicit-def: $vgpr1
	s_and_saveexec_b64 s[74:75], vcc
	s_xor_b64 s[80:81], exec, s[74:75]
	s_cbranch_execz .LBB47_4737
; %bb.4732:
	s_mov_b32 vcc_lo, 0x387fffff
	v_cmp_lt_u32_e32 vcc, vcc_lo, v5
                                        ; implicit-def: $vgpr1
	s_and_saveexec_b64 s[74:75], vcc
	s_xor_b64 vcc, exec, s[74:75]
; %bb.4733:
	v_bfe_u32 v1, v0, 21, 1
	s_mov_b32 s74, 0x80fffff
	v_add3_u32 v1, v0, v1, s74
	v_lshrrev_b32_e32 v1, 21, v1
; %bb.4734:
	s_andn2_saveexec_b64 vcc, vcc
; %bb.4735:
	s_mov_b32 s74, 0x43000000
	v_add_f32_e64 v1, |v0|, s74
; %bb.4736:
	s_or_b64 exec, exec, vcc
                                        ; implicit-def: $vgpr5
.LBB47_4737:
	s_andn2_saveexec_b64 s[80:81], s[80:81]
; %bb.4738:
	s_mov_b32 vcc_lo, 0x7f800000
	v_mov_b32_e32 v1, 0x7c
	v_mov_b32_e32 v6, 0x7f
	v_cmp_lt_u32_e32 vcc, vcc_lo, v5
	v_cndmask_b32_e32 v1, v1, v6, vcc
; %bb.4739:
	s_or_b64 exec, exec, s[80:81]
	v_lshrrev_b32_e32 v5, 24, v0
	s_movk_i32 vcc_lo, 0x80
	v_and_or_b32 v1, v5, vcc_lo, v1
	flat_store_byte v[2:3], v1
.LBB47_4740:
	s_or_b64 exec, exec, s[84:85]
	v_readlane_b32 vcc_lo, v42, 16
	v_readlane_b32 vcc_hi, v42, 17
	s_or_b64 s[86:87], vcc, exec
.LBB47_4741:
	s_or_saveexec_b64 s[88:89], s[88:89]
	s_mov_b64 vcc, 0
	s_mov_b64 s[80:81], s[4:5]
	s_xor_b64 exec, exec, s[88:89]
	s_cbranch_execz .LBB47_4749
; %bb.4742:
	v_cmp_lt_i16_e32 vcc, 14, v4
	s_mov_b64 s[82:83], s[4:5]
	s_mov_b64 s[84:85], s[86:87]
	s_and_saveexec_b64 s[74:75], vcc
	s_xor_b64 s[80:81], exec, s[74:75]
	s_cbranch_execz .LBB47_4746
; %bb.4743:
	v_cmp_eq_u16_e32 vcc, 15, v4
	s_mov_b64 s[92:93], -1
	s_mov_b64 s[78:79], s[86:87]
	s_and_saveexec_b64 s[82:83], vcc
	s_cbranch_execz .LBB47_4745
; %bb.4744:
	v_bfe_u32 v1, v0, 16, 1
	s_movk_i32 vcc_lo, 0x7fff
	v_add3_u32 v1, v0, v1, vcc_lo
	v_lshrrev_b32_e32 v1, 16, v1
	v_mov_b32_e32 v5, 0x7fc0
	v_cmp_o_f32_e32 vcc, v0, v0
	v_cndmask_b32_e32 v1, v5, v1, vcc
	flat_store_short v[2:3], v1
	s_or_b64 s[78:79], s[86:87], exec
	s_xor_b64 s[92:93], exec, -1
.LBB47_4745:
	s_or_b64 exec, exec, s[82:83]
	s_andn2_b64 vcc, s[86:87], exec
	s_and_b64 s[74:75], s[78:79], exec
	s_or_b64 s[84:85], vcc, s[74:75]
	s_andn2_b64 vcc, s[4:5], exec
	s_and_b64 s[74:75], s[92:93], exec
	s_or_b64 s[82:83], vcc, s[74:75]
.LBB47_4746:
	s_or_saveexec_b64 s[80:81], s[80:81]
	s_mov_b64 s[92:93], 0
	s_xor_b64 exec, exec, s[80:81]
; %bb.4747:
	v_cmp_ne_u16_e32 vcc, 11, v4
	s_andn2_b64 s[74:75], s[82:83], exec
	s_and_b64 vcc, vcc, exec
	s_mov_b64 s[92:93], exec
	s_or_b64 s[82:83], s[74:75], vcc
; %bb.4748:
	s_or_b64 exec, exec, s[80:81]
	s_andn2_b64 vcc, s[86:87], exec
	s_and_b64 s[76:77], s[84:85], exec
	s_or_b64 s[86:87], vcc, s[76:77]
	s_andn2_b64 s[76:77], s[4:5], exec
	s_and_b64 s[78:79], s[82:83], exec
	s_and_b64 vcc, s[92:93], exec
	s_or_b64 s[80:81], s[76:77], s[78:79]
.LBB47_4749:
	s_or_b64 exec, exec, s[88:89]
	v_readlane_b32 s74, v42, 16
	v_readlane_b32 s75, v42, 17
	s_andn2_b64 s[74:75], s[74:75], exec
	s_and_b64 s[76:77], s[86:87], exec
	s_or_b64 s[74:75], s[74:75], s[76:77]
	v_writelane_b32 v42, s74, 16
	v_writelane_b32 v42, s75, 17
	s_and_b64 vcc, vcc, exec
	v_writelane_b32 v42, vcc_lo, 14
	v_writelane_b32 v42, vcc_hi, 15
	s_andn2_b64 s[4:5], s[4:5], exec
	s_and_b64 vcc, s[80:81], exec
	s_or_b64 s[4:5], s[4:5], vcc
.LBB47_4750:
	v_readlane_b32 vcc_lo, v42, 18
	v_readlane_b32 vcc_hi, v42, 19
	s_or_b64 exec, exec, vcc
	v_readlane_b32 vcc_lo, v42, 16
	v_readlane_b32 vcc_hi, v42, 17
	s_and_b64 s[80:81], vcc, exec
	v_readlane_b32 vcc_lo, v42, 14
	v_readlane_b32 vcc_hi, v42, 15
	s_and_b64 s[82:83], vcc, exec
	s_andn2_b64 vcc, s[96:97], exec
	s_and_b64 s[4:5], s[4:5], exec
	s_xor_b64 s[84:85], exec, -1
	s_or_b64 s[86:87], vcc, s[4:5]
.LBB47_4751:
	v_readlane_b32 s4, v42, 12
	v_readlane_b32 s5, v42, 13
	s_or_b64 exec, exec, s[4:5]
	s_andn2_b64 vcc, s[96:97], exec
	s_and_b64 s[74:75], s[86:87], exec
	s_orn2_b64 s[80:81], s[80:81], exec
	s_and_b64 s[84:85], s[84:85], exec
	s_and_b64 s[4:5], s[82:83], exec
	s_or_b64 s[82:83], vcc, s[74:75]
.LBB47_4752:
	v_readlane_b32 vcc_lo, v42, 10
	v_readlane_b32 vcc_hi, v42, 11
	s_or_b64 exec, exec, vcc
	s_andn2_b64 s[74:75], s[96:97], exec
	s_and_b64 s[76:77], s[82:83], exec
	s_and_b64 s[80:81], s[80:81], exec
	s_and_b64 vcc, s[84:85], exec
	s_and_b64 s[4:5], s[4:5], exec
	s_or_b64 s[96:97], s[74:75], s[76:77]
.LBB47_4753:
	s_or_b64 exec, exec, s[90:91]
	v_readlane_b32 s74, v43, 62
	v_readlane_b32 s75, v43, 63
	s_andn2_b64 s[74:75], s[74:75], exec
	s_and_b64 s[76:77], s[96:97], exec
	s_or_b64 s[74:75], s[74:75], s[76:77]
	s_and_b64 s[80:81], s[80:81], exec
	s_and_b64 vcc, vcc, exec
	s_and_b64 s[4:5], s[4:5], exec
	v_writelane_b32 v43, s74, 62
	v_writelane_b32 v43, s75, 63
.LBB47_4754:
	v_readlane_b32 s74, v42, 0
	v_readlane_b32 s75, v42, 1
	s_or_b64 exec, exec, s[74:75]
	v_readlane_b32 s74, v43, 54
	v_readlane_b32 s76, v43, 62
	;; [unrolled: 1-line block ×4, first 2 shown]
	s_andn2_b64 s[74:75], s[74:75], exec
	s_and_b64 s[76:77], s[76:77], exec
	s_or_b64 s[74:75], s[74:75], s[76:77]
	s_and_b64 s[80:81], s[80:81], exec
	s_and_b64 vcc, vcc, exec
	s_and_b64 s[4:5], s[4:5], exec
	v_writelane_b32 v43, s74, 54
	v_writelane_b32 v43, s75, 55
.LBB47_4755:
	v_readlane_b32 s74, v43, 56
	v_readlane_b32 s75, v43, 57
	s_or_b64 exec, exec, s[74:75]
	v_readlane_b32 s74, v43, 46
	v_readlane_b32 s76, v43, 54
	;; [unrolled: 1-line block ×4, first 2 shown]
	s_andn2_b64 s[74:75], s[74:75], exec
	s_and_b64 s[76:77], s[76:77], exec
	s_or_b64 s[74:75], s[74:75], s[76:77]
	s_and_b64 s[80:81], s[80:81], exec
	s_and_b64 vcc, vcc, exec
	s_and_b64 s[4:5], s[4:5], exec
	v_writelane_b32 v43, s74, 46
	v_writelane_b32 v43, s75, 47
.LBB47_4756:
	v_readlane_b32 s74, v43, 48
	v_readlane_b32 s75, v43, 49
	s_or_b64 exec, exec, s[74:75]
	v_readlane_b32 s74, v43, 38
	v_readlane_b32 s76, v43, 46
	;; [unrolled: 1-line block ×4, first 2 shown]
	s_andn2_b64 s[74:75], s[74:75], exec
	s_and_b64 s[76:77], s[76:77], exec
	s_or_b64 s[74:75], s[74:75], s[76:77]
	s_and_b64 s[80:81], s[80:81], exec
	s_and_b64 vcc, vcc, exec
	s_and_b64 s[4:5], s[4:5], exec
	v_writelane_b32 v43, s74, 38
	v_writelane_b32 v43, s75, 39
.LBB47_4757:
	v_readlane_b32 s74, v43, 40
	v_readlane_b32 s75, v43, 41
	s_or_b64 exec, exec, s[74:75]
	v_readlane_b32 s74, v43, 30
	v_readlane_b32 s76, v43, 38
	;; [unrolled: 1-line block ×4, first 2 shown]
	s_andn2_b64 s[74:75], s[74:75], exec
	s_and_b64 s[76:77], s[76:77], exec
	s_or_b64 s[74:75], s[74:75], s[76:77]
	s_and_b64 s[80:81], s[80:81], exec
	s_and_b64 vcc, vcc, exec
	s_and_b64 s[4:5], s[4:5], exec
	v_writelane_b32 v43, s74, 30
	v_writelane_b32 v43, s75, 31
.LBB47_4758:
	v_readlane_b32 s74, v43, 32
	v_readlane_b32 s75, v43, 33
	s_or_b64 exec, exec, s[74:75]
	v_readlane_b32 s76, v43, 30
	v_readlane_b32 s77, v43, 31
	s_andn2_b64 s[74:75], s[94:95], exec
	s_and_b64 s[76:77], s[76:77], exec
	s_and_b64 s[80:81], s[80:81], exec
	s_and_b64 vcc, vcc, exec
	s_and_b64 s[4:5], s[4:5], exec
	s_or_b64 s[94:95], s[74:75], s[76:77]
.LBB47_4759:
	v_readlane_b32 s74, v43, 26
	v_readlane_b32 s75, v43, 27
	s_or_b64 exec, exec, s[74:75]
	v_readlane_b32 s74, v43, 22
	v_readlane_b32 s75, v43, 23
	s_andn2_b64 s[74:75], s[74:75], exec
	s_and_b64 s[76:77], s[94:95], exec
	s_or_b64 s[74:75], s[74:75], s[76:77]
	s_and_b64 s[80:81], s[80:81], exec
	s_and_b64 vcc, vcc, exec
	s_and_b64 s[4:5], s[4:5], exec
	v_writelane_b32 v43, s74, 22
	v_writelane_b32 v43, s75, 23
.LBB47_4760:
	v_readlane_b32 s74, v43, 24
	v_readlane_b32 s75, v43, 25
	s_or_b64 exec, exec, s[74:75]
	v_readlane_b32 s74, v43, 18
	v_readlane_b32 s76, v43, 22
	;; [unrolled: 1-line block ×4, first 2 shown]
	s_andn2_b64 s[74:75], s[74:75], exec
	s_and_b64 s[76:77], s[76:77], exec
	s_or_b64 s[74:75], s[74:75], s[76:77]
	s_and_b64 s[80:81], s[80:81], exec
	s_and_b64 vcc, vcc, exec
	s_and_b64 s[4:5], s[4:5], exec
	v_writelane_b32 v43, s74, 18
	v_writelane_b32 v43, s75, 19
.LBB47_4761:
	v_readlane_b32 s74, v43, 20
	v_readlane_b32 s75, v43, 21
	s_or_b64 exec, exec, s[74:75]
	v_readlane_b32 s74, v43, 14
	v_readlane_b32 s76, v43, 18
	;; [unrolled: 1-line block ×4, first 2 shown]
	s_andn2_b64 s[74:75], s[74:75], exec
	s_and_b64 s[76:77], s[76:77], exec
	s_or_b64 s[74:75], s[74:75], s[76:77]
	s_and_b64 s[80:81], s[80:81], exec
	s_and_b64 vcc, vcc, exec
	s_and_b64 s[4:5], s[4:5], exec
	v_writelane_b32 v43, s74, 14
	v_writelane_b32 v43, s75, 15
.LBB47_4762:
	v_readlane_b32 s74, v43, 16
	v_readlane_b32 s75, v43, 17
	s_or_b64 exec, exec, s[74:75]
	v_readlane_b32 s74, v43, 10
	v_readlane_b32 s76, v43, 14
	;; [unrolled: 1-line block ×4, first 2 shown]
	s_andn2_b64 s[74:75], s[74:75], exec
	s_and_b64 s[76:77], s[76:77], exec
	s_or_b64 s[74:75], s[74:75], s[76:77]
	s_and_b64 s[80:81], s[80:81], exec
	s_and_b64 vcc, vcc, exec
	s_and_b64 s[4:5], s[4:5], exec
	v_writelane_b32 v43, s74, 10
	v_writelane_b32 v43, s75, 11
.LBB47_4763:
	v_readlane_b32 s74, v43, 12
	v_readlane_b32 s75, v43, 13
	s_or_b64 exec, exec, s[74:75]
	v_readlane_b32 s74, v43, 10
	v_readlane_b32 s75, v43, 11
	s_andn2_b64 s[70:71], s[70:71], exec
	s_and_b64 s[74:75], s[74:75], exec
	s_and_b64 s[76:77], s[80:81], exec
	s_and_b64 vcc, vcc, exec
	s_and_b64 s[4:5], s[4:5], exec
	s_or_b64 s[70:71], s[70:71], s[74:75]
.LBB47_4764:
	s_or_b64 exec, exec, s[72:73]
	s_andn2_b64 s[66:67], s[66:67], exec
	s_and_b64 s[70:71], s[70:71], exec
	s_and_b64 s[72:73], s[76:77], exec
	s_and_b64 vcc, vcc, exec
	s_and_b64 s[4:5], s[4:5], exec
	s_or_b64 s[66:67], s[66:67], s[70:71]
.LBB47_4765:
	s_or_b64 exec, exec, s[68:69]
	s_andn2_b64 s[62:63], s[62:63], exec
	s_and_b64 s[66:67], s[66:67], exec
	s_and_b64 s[68:69], s[72:73], exec
	s_and_b64 vcc, vcc, exec
	s_and_b64 s[4:5], s[4:5], exec
	s_or_b64 s[62:63], s[62:63], s[66:67]
.LBB47_4766:
	s_or_b64 exec, exec, s[64:65]
	s_andn2_b64 s[58:59], s[58:59], exec
	s_and_b64 s[62:63], s[62:63], exec
	s_and_b64 s[64:65], s[68:69], exec
	s_and_b64 vcc, vcc, exec
	s_and_b64 s[4:5], s[4:5], exec
	s_or_b64 s[58:59], s[58:59], s[62:63]
.LBB47_4767:
	s_or_b64 exec, exec, s[60:61]
	s_andn2_b64 s[54:55], s[54:55], exec
	s_and_b64 s[58:59], s[58:59], exec
	s_and_b64 s[60:61], s[64:65], exec
	s_and_b64 vcc, vcc, exec
	s_and_b64 s[4:5], s[4:5], exec
	s_or_b64 s[54:55], s[54:55], s[58:59]
.LBB47_4768:
	s_or_b64 exec, exec, s[56:57]
	s_andn2_b64 s[50:51], s[50:51], exec
	s_and_b64 s[54:55], s[54:55], exec
	s_and_b64 s[56:57], s[60:61], exec
	s_and_b64 vcc, vcc, exec
	s_and_b64 s[4:5], s[4:5], exec
	s_or_b64 s[50:51], s[50:51], s[54:55]
.LBB47_4769:
	s_or_b64 exec, exec, s[52:53]
	s_andn2_b64 s[46:47], s[46:47], exec
	s_and_b64 s[50:51], s[50:51], exec
	s_and_b64 s[52:53], s[56:57], exec
	s_and_b64 vcc, vcc, exec
	s_and_b64 s[4:5], s[4:5], exec
	s_or_b64 s[46:47], s[46:47], s[50:51]
.LBB47_4770:
	s_or_b64 exec, exec, s[48:49]
	s_andn2_b64 s[42:43], s[42:43], exec
	s_and_b64 s[46:47], s[46:47], exec
	s_and_b64 s[48:49], s[52:53], exec
	s_and_b64 vcc, vcc, exec
	s_and_b64 s[4:5], s[4:5], exec
	s_or_b64 s[42:43], s[42:43], s[46:47]
.LBB47_4771:
	s_or_b64 exec, exec, s[44:45]
	s_and_b64 s[44:45], vcc, exec
	s_and_b64 vcc, s[4:5], exec
	s_andn2_b64 s[4:5], s[40:41], exec
	s_and_b64 s[40:41], s[42:43], exec
	s_or_b64 s[40:41], s[4:5], s[40:41]
	v_readlane_b32 s4, v43, 8
	v_readlane_b32 s42, v43, 6
	s_and_b64 s[46:47], s[48:49], exec
	v_readlane_b32 s5, v43, 9
	v_readlane_b32 s43, v43, 7
.LBB47_4772:
	s_or_b64 exec, exec, s[42:43]
	s_and_b64 s[42:43], vcc, exec
	v_readlane_b32 vcc_lo, v43, 2
	v_readlane_b32 vcc_hi, v43, 3
	s_andn2_b64 vcc, vcc, exec
	s_and_b64 s[40:41], s[40:41], exec
	s_or_b64 vcc, vcc, s[40:41]
	v_writelane_b32 v43, vcc_lo, 2
	v_writelane_b32 v43, vcc_hi, 3
	s_and_b64 s[48:49], s[46:47], exec
	s_and_b64 s[46:47], s[44:45], exec
	v_readlane_b32 vcc_lo, v44, 56
	v_readlane_b32 s40, v44, 60
	v_readlane_b32 s44, v43, 0
	v_readlane_b32 s50, v43, 4
	v_readlane_b32 vcc_hi, v44, 57
	v_readlane_b32 s41, v44, 61
	v_readlane_b32 s45, v43, 1
	;; [unrolled: 1-line block ×3, first 2 shown]
.LBB47_4773:
	s_or_b64 exec, exec, s[50:51]
	v_readlane_b32 s50, v44, 62
	v_readlane_b32 s51, v44, 63
	s_andn2_b64 s[52:53], s[50:51], exec
	v_readlane_b32 s50, v43, 2
	v_readlane_b32 s51, v43, 3
	s_and_b64 s[50:51], s[50:51], exec
	s_or_b64 s[50:51], s[52:53], s[50:51]
	s_and_b64 s[48:49], s[48:49], exec
	s_and_b64 s[46:47], s[46:47], exec
	;; [unrolled: 1-line block ×3, first 2 shown]
	v_writelane_b32 v44, s50, 62
	v_writelane_b32 v44, s51, 63
.LBB47_4774:
	s_or_b64 exec, exec, s[44:45]
	s_and_b64 s[44:45], s[46:47], exec
	v_readlane_b32 s46, v44, 58
	v_readlane_b32 s47, v44, 59
	s_andn2_b64 s[50:51], s[46:47], exec
	v_readlane_b32 s46, v44, 62
	v_readlane_b32 s47, v44, 63
	s_and_b64 s[46:47], s[46:47], exec
	s_or_b64 s[46:47], s[50:51], s[46:47]
	s_and_b64 s[48:49], s[48:49], exec
	s_and_b64 s[42:43], s[42:43], exec
	v_writelane_b32 v44, s46, 58
	v_writelane_b32 v44, s47, 59
.LBB47_4775:
	s_or_b64 exec, exec, s[40:41]
	s_and_b64 s[40:41], s[42:43], exec
	s_andn2_b64 s[42:43], s[38:39], exec
	v_readlane_b32 s38, v44, 58
	v_readlane_b32 s39, v44, 59
	s_and_b64 s[38:39], s[38:39], exec
	s_and_b64 s[46:47], s[48:49], exec
	;; [unrolled: 1-line block ×3, first 2 shown]
	s_or_b64 s[38:39], s[42:43], s[38:39]
.LBB47_4776:
	s_or_b64 exec, exec, vcc
	s_andn2_b64 s[34:35], s[34:35], exec
	s_and_b64 s[38:39], s[38:39], exec
	s_and_b64 s[46:47], s[46:47], exec
	;; [unrolled: 1-line block ×3, first 2 shown]
	s_and_b64 vcc, s[40:41], exec
	s_or_b64 s[34:35], s[34:35], s[38:39]
.LBB47_4777:
	s_or_b64 exec, exec, s[36:37]
	s_andn2_b64 s[4:5], s[4:5], exec
	s_and_b64 s[34:35], s[34:35], exec
	s_and_b64 s[38:39], s[46:47], exec
	s_and_b64 s[36:37], s[42:43], exec
	s_and_b64 vcc, vcc, exec
	s_or_b64 s[4:5], s[4:5], s[34:35]
.LBB47_4778:
	s_or_b64 exec, exec, s[30:31]
	s_andn2_b64 s[26:27], s[26:27], exec
	s_and_b64 s[4:5], s[4:5], exec
	s_and_b64 s[34:35], s[38:39], exec
	;; [unrolled: 1-line block ×3, first 2 shown]
	s_and_b64 vcc, vcc, exec
	s_or_b64 s[26:27], s[26:27], s[4:5]
.LBB47_4779:
	s_or_b64 exec, exec, s[28:29]
	s_andn2_b64 s[18:19], s[18:19], exec
	s_and_b64 s[26:27], s[26:27], exec
	s_and_b64 s[34:35], s[34:35], exec
	;; [unrolled: 1-line block ×3, first 2 shown]
	s_and_b64 s[4:5], vcc, exec
	s_or_b64 s[18:19], s[18:19], s[26:27]
.LBB47_4780:
	s_or_b64 exec, exec, s[20:21]
	s_andn2_b64 s[14:15], s[14:15], exec
	s_and_b64 s[18:19], s[18:19], exec
	s_and_b64 s[26:27], s[34:35], exec
	;; [unrolled: 1-line block ×4, first 2 shown]
	s_or_b64 s[14:15], s[14:15], s[18:19]
.LBB47_4781:
	s_or_b64 exec, exec, s[16:17]
	s_and_b64 s[16:17], s[4:5], exec
	s_andn2_b64 s[4:5], s[10:11], exec
	s_and_b64 s[10:11], s[14:15], exec
	s_and_b64 s[26:27], s[26:27], exec
	;; [unrolled: 1-line block ×3, first 2 shown]
	s_or_b64 s[10:11], s[4:5], s[10:11]
.LBB47_4782:
	s_or_b64 exec, exec, s[12:13]
	s_andn2_b64 s[6:7], s[6:7], exec
	s_and_b64 s[10:11], s[10:11], exec
	s_and_b64 s[4:5], s[26:27], exec
	s_and_b64 s[14:15], s[18:19], exec
	s_and_b64 s[12:13], s[16:17], exec
	s_or_b64 s[6:7], s[6:7], s[10:11]
	s_or_b64 exec, exec, s[8:9]
	s_mov_b64 s[8:9], 0
	s_and_saveexec_b64 s[10:11], s[6:7]
	s_cbranch_execz .LBB47_3848
.LBB47_4783:
	s_mov_b64 s[8:9], exec
	s_andn2_b64 s[12:13], s[12:13], exec
	s_trap 2
	s_or_b64 exec, exec, s[10:11]
	s_and_saveexec_b64 s[6:7], s[12:13]
	s_xor_b64 s[6:7], exec, s[6:7]
	s_cbranch_execz .LBB47_3849
.LBB47_4784:
	v_cmp_neq_f32_e32 vcc, 0, v0
	v_cndmask_b32_e64 v1, 0, 1, vcc
	s_or_b64 s[4:5], s[4:5], exec
	flat_store_byte v[2:3], v1
	s_or_b64 exec, exec, s[6:7]
	s_and_saveexec_b64 s[6:7], s[14:15]
	s_cbranch_execz .LBB47_4826
.LBB47_4785:
	v_cmp_lt_i16_e32 vcc, 4, v4
	s_and_saveexec_b64 s[10:11], vcc
	s_xor_b64 s[10:11], exec, s[10:11]
	s_cbranch_execz .LBB47_4807
; %bb.4786:
	v_cmp_lt_i16_e32 vcc, 7, v4
	s_and_saveexec_b64 s[12:13], vcc
	s_xor_b64 s[12:13], exec, s[12:13]
	s_cbranch_execz .LBB47_4796
; %bb.4787:
	;; [unrolled: 5-line block ×4, first 2 shown]
	v_mov_b32_e32 v8, 0
	v_cvt_f64_f32_e32 v[6:7], v0
	v_mov_b32_e32 v9, v8
	flat_store_dwordx4 v[2:3], v[6:9]
                                        ; implicit-def: $vgpr0
.LBB47_4790:
	s_andn2_saveexec_b64 s[16:17], s[16:17]
	s_cbranch_execz .LBB47_4792
; %bb.4791:
	v_mov_b32_e32 v1, 0
	flat_store_dwordx2 v[2:3], v[0:1]
.LBB47_4792:
	s_or_b64 exec, exec, s[16:17]
                                        ; implicit-def: $vgpr0
.LBB47_4793:
	s_andn2_saveexec_b64 s[14:15], s[14:15]
	s_cbranch_execz .LBB47_4795
; %bb.4794:
	v_cvt_f16_f32_e32 v0, v0
	flat_store_dword v[2:3], v0
.LBB47_4795:
	s_or_b64 exec, exec, s[14:15]
                                        ; implicit-def: $vgpr0
.LBB47_4796:
	s_andn2_saveexec_b64 s[12:13], s[12:13]
	s_cbranch_execz .LBB47_4806
; %bb.4797:
	v_cmp_lt_i16_e32 vcc, 5, v4
	s_and_saveexec_b64 s[14:15], vcc
	s_xor_b64 s[14:15], exec, s[14:15]
	s_cbranch_execz .LBB47_4803
; %bb.4798:
	v_cmp_lt_i16_e32 vcc, 6, v4
	s_and_saveexec_b64 s[16:17], vcc
	s_xor_b64 s[16:17], exec, s[16:17]
	s_cbranch_execz .LBB47_4800
; %bb.4799:
	v_cvt_f64_f32_e32 v[0:1], v0
	flat_store_dwordx2 v[2:3], v[0:1]
                                        ; implicit-def: $vgpr0
.LBB47_4800:
	s_andn2_saveexec_b64 s[16:17], s[16:17]
	s_cbranch_execz .LBB47_4802
; %bb.4801:
	flat_store_dword v[2:3], v0
.LBB47_4802:
	s_or_b64 exec, exec, s[16:17]
                                        ; implicit-def: $vgpr0
.LBB47_4803:
	s_andn2_saveexec_b64 s[14:15], s[14:15]
	s_cbranch_execz .LBB47_4805
; %bb.4804:
	v_cvt_f16_f32_e32 v0, v0
	flat_store_short v[2:3], v0
.LBB47_4805:
	s_or_b64 exec, exec, s[14:15]
.LBB47_4806:
	s_or_b64 exec, exec, s[12:13]
                                        ; implicit-def: $vgpr0
.LBB47_4807:
	s_andn2_saveexec_b64 s[10:11], s[10:11]
	s_cbranch_execz .LBB47_4825
; %bb.4808:
	v_cmp_lt_i16_e32 vcc, 1, v4
	s_and_saveexec_b64 s[12:13], vcc
	s_xor_b64 s[12:13], exec, s[12:13]
	s_cbranch_execz .LBB47_4818
; %bb.4809:
	v_cmp_lt_i16_e32 vcc, 2, v4
	s_and_saveexec_b64 s[14:15], vcc
	s_xor_b64 s[14:15], exec, s[14:15]
	;; [unrolled: 5-line block ×3, first 2 shown]
	s_cbranch_execz .LBB47_4812
; %bb.4811:
	v_trunc_f32_e32 v0, v0
	s_mov_b32 s18, 0x2f800000
	v_mul_f32_e64 v1, |v0|, s18
	v_floor_f32_e32 v1, v1
	s_mov_b32 s18, 0xcf800000
	v_cvt_u32_f32_e32 v5, v1
	v_fma_f32 v1, v1, s18, |v0|
	v_cvt_u32_f32_e32 v1, v1
	v_ashrrev_i32_e32 v6, 31, v0
	v_xor_b32_e32 v5, v5, v6
	v_xor_b32_e32 v0, v1, v6
	v_sub_co_u32_e32 v0, vcc, v0, v6
	v_subb_co_u32_e32 v1, vcc, v5, v6, vcc
	flat_store_dwordx2 v[2:3], v[0:1]
                                        ; implicit-def: $vgpr0
                                        ; implicit-def: $vgpr2_vgpr3
.LBB47_4812:
	s_andn2_saveexec_b64 s[16:17], s[16:17]
	s_cbranch_execz .LBB47_4814
; %bb.4813:
	v_cvt_i32_f32_e32 v0, v0
	flat_store_dword v[2:3], v0
.LBB47_4814:
	s_or_b64 exec, exec, s[16:17]
                                        ; implicit-def: $vgpr0
                                        ; implicit-def: $vgpr2_vgpr3
.LBB47_4815:
	s_andn2_saveexec_b64 s[14:15], s[14:15]
	s_cbranch_execz .LBB47_4817
; %bb.4816:
	v_cvt_i32_f32_e32 v0, v0
	flat_store_short v[2:3], v0
.LBB47_4817:
	s_or_b64 exec, exec, s[14:15]
                                        ; implicit-def: $vgpr0
                                        ; implicit-def: $vgpr2_vgpr3
.LBB47_4818:
	s_andn2_saveexec_b64 s[12:13], s[12:13]
	s_cbranch_execz .LBB47_4824
; %bb.4819:
	v_cmp_lt_i16_e32 vcc, 0, v4
	s_and_saveexec_b64 s[14:15], vcc
	s_xor_b64 s[14:15], exec, s[14:15]
	s_cbranch_execz .LBB47_4821
; %bb.4820:
	v_cvt_i32_f32_e32 v0, v0
	flat_store_byte v[2:3], v0
                                        ; implicit-def: $vgpr0
                                        ; implicit-def: $vgpr2_vgpr3
.LBB47_4821:
	s_andn2_saveexec_b64 s[14:15], s[14:15]
	s_cbranch_execz .LBB47_4823
; %bb.4822:
	v_trunc_f32_e32 v0, v0
	s_mov_b32 s16, 0x2f800000
	v_mul_f32_e64 v1, |v0|, s16
	v_floor_f32_e32 v1, v1
	s_mov_b32 s16, 0xcf800000
	v_fma_f32 v1, v1, s16, |v0|
	v_cvt_u32_f32_e32 v1, v1
	v_ashrrev_i32_e32 v0, 31, v0
	v_xor_b32_e32 v1, v1, v0
	v_sub_u32_e32 v0, v1, v0
	flat_store_byte v[2:3], v0
.LBB47_4823:
	s_or_b64 exec, exec, s[14:15]
.LBB47_4824:
	s_or_b64 exec, exec, s[12:13]
.LBB47_4825:
	s_or_b64 exec, exec, s[10:11]
	s_or_b64 s[4:5], s[4:5], exec
.LBB47_4826:
	s_or_b64 exec, exec, s[6:7]
	s_and_saveexec_b64 s[6:7], s[4:5]
	s_xor_b64 s[4:5], exec, s[6:7]
	s_or_b64 exec, exec, s[4:5]
	s_and_b64 s[4:5], s[8:9], exec
.LBB47_4827:
	s_andn2_saveexec_b64 s[6:7], s[24:25]
	s_cbranch_execnz .LBB47_4952
.LBB47_4828:
	s_or_b64 exec, exec, s[6:7]
	s_and_b64 s[4:5], s[4:5], exec
	s_andn2_saveexec_b64 s[6:7], s[22:23]
	s_cbranch_execz .LBB47_3652
.LBB47_4829:
	s_or_b64 s[4:5], s[4:5], exec
	s_trap 2
	s_or_b64 exec, exec, s[6:7]
	s_and_saveexec_b64 s[6:7], s[4:5]
	s_cbranch_execnz .LBB47_3653
	s_branch .LBB47_3654
.LBB47_4830:
	v_mov_b32_e32 v1, 25
	v_cmp_gt_i16_sdwa s[16:17], v11, v1 src0_sel:BYTE_0 src1_sel:DWORD
	s_mov_b64 s[14:15], s[6:7]
	s_and_saveexec_b64 s[18:19], s[16:17]
	s_xor_b64 s[16:17], exec, s[18:19]
	s_cbranch_execz .LBB47_4866
; %bb.4831:
	v_mov_b32_e32 v1, 28
	v_cmp_gt_i16_sdwa s[14:15], v11, v1 src0_sel:BYTE_0 src1_sel:DWORD
	s_mov_b64 s[18:19], s[6:7]
	s_and_saveexec_b64 s[20:21], s[14:15]
	s_xor_b64 s[14:15], exec, s[20:21]
	s_cbranch_execz .LBB47_4849
; %bb.4832:
	;; [unrolled: 7-line block ×3, first 2 shown]
	v_mov_b32_e32 v1, 45
	v_cmp_gt_i16_sdwa s[4:5], v11, v1 src0_sel:BYTE_0 src1_sel:DWORD
	s_mov_b64 s[20:21], 0
	s_mov_b64 s[26:27], s[6:7]
	s_and_saveexec_b64 s[28:29], s[4:5]
	s_xor_b64 s[4:5], exec, s[28:29]
	s_cbranch_execz .LBB47_4837
; %bb.4834:
	v_mov_b32_e32 v1, 46
	v_cmp_eq_u16_sdwa vcc, v11, v1 src0_sel:BYTE_0 src1_sel:DWORD
	s_mov_b64 s[28:29], -1
	s_and_saveexec_b64 s[26:27], vcc
	s_cbranch_execz .LBB47_4836
; %bb.4835:
	v_bfe_u32 v1, v98, 16, 1
	s_movk_i32 s28, 0x7fff
	v_add3_u32 v1, v98, v1, s28
	v_lshrrev_b32_e32 v1, 16, v1
	v_mov_b32_e32 v4, 0x7fc0
	v_cmp_o_f32_e32 vcc, v98, v98
	v_cndmask_b32_e32 v1, v4, v1, vcc
	s_mov_b64 s[20:21], exec
	flat_store_dword v[2:3], v1
	s_xor_b64 s[28:29], exec, -1
.LBB47_4836:
	s_or_b64 exec, exec, s[26:27]
	s_andn2_b64 s[26:27], s[6:7], exec
	s_and_b64 s[28:29], s[28:29], exec
	s_or_b64 s[26:27], s[26:27], s[28:29]
	s_and_b64 s[20:21], s[20:21], exec
                                        ; implicit-def: $vgpr2_vgpr3
                                        ; implicit-def: $vgpr98
.LBB47_4837:
	s_andn2_saveexec_b64 s[28:29], s[4:5]
	s_cbranch_execz .LBB47_4843
; %bb.4838:
	v_mov_b32_e32 v1, 44
	v_cmp_eq_u16_sdwa s[34:35], v11, v1 src0_sel:BYTE_0 src1_sel:DWORD
	s_mov_b64 vcc, -1
	s_mov_b64 s[4:5], s[20:21]
	s_and_saveexec_b64 s[30:31], s[34:35]
	s_cbranch_execz .LBB47_4842
; %bb.4839:
	v_bfe_u32 v1, v98, 23, 8
	s_movk_i32 s4, 0xff
	v_cmp_ne_u32_e32 vcc, s4, v1
	v_mov_b32_e32 v4, 0xff
	s_and_saveexec_b64 s[34:35], vcc
; %bb.4840:
	s_mov_b32 s4, 0x3fffff
	v_and_b32_e32 v5, 0x400000, v98
	v_and_or_b32 v1, v98, s4, v1
	v_cmp_ne_u32_e32 vcc, 0, v5
	v_cmp_ne_u32_e64 s[4:5], 0, v1
	s_and_b64 s[4:5], vcc, s[4:5]
	v_lshrrev_b32_e32 v4, 23, v98
	v_cndmask_b32_e64 v1, 0, 1, s[4:5]
	v_add_u32_e32 v4, v4, v1
; %bb.4841:
	s_or_b64 exec, exec, s[34:35]
	s_xor_b64 vcc, exec, -1
	s_or_b64 s[4:5], s[20:21], exec
	flat_store_byte v[2:3], v4
.LBB47_4842:
	s_or_b64 exec, exec, s[30:31]
	s_andn2_b64 s[26:27], s[26:27], exec
	s_and_b64 vcc, vcc, exec
	s_andn2_b64 s[20:21], s[20:21], exec
	s_and_b64 s[4:5], s[4:5], exec
	s_or_b64 s[26:27], s[26:27], vcc
	s_or_b64 s[20:21], s[20:21], s[4:5]
.LBB47_4843:
	s_or_b64 exec, exec, s[28:29]
	s_andn2_b64 s[4:5], s[6:7], exec
	s_and_b64 s[26:27], s[26:27], exec
	s_or_b64 s[26:27], s[4:5], s[26:27]
	s_and_b64 s[4:5], s[20:21], exec
                                        ; implicit-def: $vgpr98
                                        ; implicit-def: $vgpr2_vgpr3
.LBB47_4844:
	s_andn2_saveexec_b64 s[18:19], s[18:19]
	s_cbranch_execz .LBB47_4848
; %bb.4845:
	v_mov_b32_e32 v1, 29
	v_cmp_eq_u16_sdwa s[30:31], v11, v1 src0_sel:BYTE_0 src1_sel:DWORD
	s_mov_b64 vcc, -1
	s_mov_b64 s[28:29], s[4:5]
	s_and_saveexec_b64 s[20:21], s[30:31]
	s_cbranch_execz .LBB47_4847
; %bb.4846:
	v_trunc_f32_e32 v1, v98
	v_mul_f32_e32 v4, 0x2f800000, v1
	v_floor_f32_e32 v4, v4
	v_fmac_f32_e32 v1, 0xcf800000, v4
	v_cvt_u32_f32_e32 v5, v4
	v_cvt_u32_f32_e32 v4, v1
	s_xor_b64 vcc, exec, -1
	s_or_b64 s[28:29], s[4:5], exec
	flat_store_dwordx2 v[2:3], v[4:5]
.LBB47_4847:
	s_or_b64 exec, exec, s[20:21]
	s_andn2_b64 s[20:21], s[26:27], exec
	s_and_b64 s[26:27], vcc, exec
	s_or_b64 s[26:27], s[20:21], s[26:27]
	s_andn2_b64 s[4:5], s[4:5], exec
	s_and_b64 s[20:21], s[28:29], exec
	s_or_b64 s[4:5], s[4:5], s[20:21]
.LBB47_4848:
	s_or_b64 exec, exec, s[18:19]
	s_andn2_b64 s[18:19], s[6:7], exec
	s_and_b64 s[20:21], s[26:27], exec
	s_or_b64 s[18:19], s[18:19], s[20:21]
	s_and_b64 s[4:5], s[4:5], exec
                                        ; implicit-def: $vgpr2_vgpr3
                                        ; implicit-def: $vgpr98
.LBB47_4849:
	s_andn2_saveexec_b64 s[14:15], s[14:15]
	s_cbranch_execz .LBB47_4865
; %bb.4850:
	v_mov_b32_e32 v1, 26
	v_cmp_gt_i16_sdwa s[20:21], v11, v1 src0_sel:BYTE_0 src1_sel:DWORD
	s_and_saveexec_b64 s[26:27], s[20:21]
	s_xor_b64 s[20:21], exec, s[26:27]
	s_cbranch_execz .LBB47_4856
; %bb.4851:
	v_cvt_u32_f32_e32 v1, v98
	v_mov_b32_e32 v4, 27
	v_cmp_gt_i16_sdwa s[26:27], v11, v4 src0_sel:BYTE_0 src1_sel:DWORD
	s_and_saveexec_b64 s[28:29], s[26:27]
	s_xor_b64 s[26:27], exec, s[28:29]
	s_cbranch_execz .LBB47_4853
; %bb.4852:
	flat_store_dword v[2:3], v1
                                        ; implicit-def: $vgpr2_vgpr3
                                        ; implicit-def: $vgpr1
.LBB47_4853:
	s_andn2_saveexec_b64 s[26:27], s[26:27]
	s_cbranch_execz .LBB47_4855
; %bb.4854:
	flat_store_short v[2:3], v1
.LBB47_4855:
	s_or_b64 exec, exec, s[26:27]
                                        ; implicit-def: $vgpr2_vgpr3
                                        ; implicit-def: $vgpr98
.LBB47_4856:
	s_andn2_saveexec_b64 s[20:21], s[20:21]
	s_cbranch_execz .LBB47_4864
; %bb.4857:
	v_and_b32_e32 v1, 0x7fffffff, v98
	s_mov_b32 s26, 0x43800000
	v_cmp_gt_u32_e32 vcc, s26, v1
	v_mov_b32_e32 v4, 0x80
	s_and_saveexec_b64 s[26:27], vcc
	s_cbranch_execz .LBB47_4863
; %bb.4858:
	s_mov_b32 s28, 0x3bffffff
	v_cmp_lt_u32_e32 vcc, s28, v1
	s_mov_b64 s[28:29], 0
                                        ; implicit-def: $vgpr1
	s_and_saveexec_b64 s[30:31], vcc
	s_xor_b64 vcc, exec, s[30:31]
	s_cbranch_execnz .LBB47_5567
; %bb.4859:
	s_or_saveexec_b64 s[30:31], vcc
                                        ; implicit-def: $sgpr34
	s_xor_b64 exec, exec, s[30:31]
	s_cbranch_execnz .LBB47_5568
.LBB47_4860:
	s_or_b64 exec, exec, s[30:31]
	v_mov_b32_e32 v4, s34
	s_and_saveexec_b64 vcc, s[28:29]
.LBB47_4861:
	v_lshrrev_b32_e32 v4, 24, v98
	s_movk_i32 s28, 0x80
	v_and_or_b32 v4, v4, s28, v1
.LBB47_4862:
	s_or_b64 exec, exec, vcc
.LBB47_4863:
	s_or_b64 exec, exec, s[26:27]
	flat_store_byte v[2:3], v4
.LBB47_4864:
	s_or_b64 exec, exec, s[20:21]
	s_or_b64 s[4:5], s[4:5], exec
.LBB47_4865:
	s_or_b64 exec, exec, s[14:15]
	s_andn2_b64 s[14:15], s[6:7], exec
	s_and_b64 s[18:19], s[18:19], exec
	s_or_b64 s[14:15], s[14:15], s[18:19]
	s_and_b64 s[4:5], s[4:5], exec
                                        ; implicit-def: $vgpr98
                                        ; implicit-def: $vgpr2_vgpr3
.LBB47_4866:
	s_andn2_saveexec_b64 s[16:17], s[16:17]
	s_cbranch_execz .LBB47_4910
; %bb.4867:
	v_mov_b32_e32 v1, 22
	v_cmp_gt_i16_sdwa s[18:19], v11, v1 src0_sel:BYTE_0 src1_sel:DWORD
	s_mov_b64 s[20:21], s[4:5]
	s_and_saveexec_b64 s[26:27], s[18:19]
	s_xor_b64 s[18:19], exec, s[26:27]
	s_cbranch_execz .LBB47_4899
; %bb.4868:
	v_mov_b32_e32 v1, 23
	v_cmp_gt_i16_sdwa s[20:21], v11, v1 src0_sel:BYTE_0 src1_sel:DWORD
	s_and_saveexec_b64 s[26:27], s[20:21]
	s_xor_b64 s[20:21], exec, s[26:27]
	s_cbranch_execz .LBB47_4888
; %bb.4869:
	v_mov_b32_e32 v1, 24
	v_cmp_gt_i16_sdwa s[26:27], v11, v1 src0_sel:BYTE_0 src1_sel:DWORD
	s_and_saveexec_b64 s[28:29], s[26:27]
	s_xor_b64 s[26:27], exec, s[28:29]
	s_cbranch_execz .LBB47_4877
; %bb.4870:
	v_and_b32_e32 v1, 0x7fffffff, v98
	s_mov_b32 s28, 0x47800000
	v_cmp_gt_u32_e32 vcc, s28, v1
	v_mov_b32_e32 v4, 0x80
	s_and_saveexec_b64 s[28:29], vcc
	s_cbranch_execz .LBB47_4876
; %bb.4871:
	s_mov_b32 vcc_lo, 0x37ffffff
	v_cmp_lt_u32_e32 vcc, vcc_lo, v1
	s_mov_b64 s[30:31], 0
                                        ; implicit-def: $vgpr1
	s_and_saveexec_b64 s[34:35], vcc
	s_xor_b64 vcc, exec, s[34:35]
	s_cbranch_execnz .LBB47_5691
; %bb.4872:
	s_or_saveexec_b64 s[34:35], vcc
                                        ; implicit-def: $sgpr36
	s_xor_b64 exec, exec, s[34:35]
	s_cbranch_execnz .LBB47_5692
.LBB47_4873:
	s_or_b64 exec, exec, s[34:35]
	v_mov_b32_e32 v4, s36
	s_and_saveexec_b64 vcc, s[30:31]
.LBB47_4874:
	v_lshrrev_b32_e32 v4, 24, v98
	s_movk_i32 s30, 0x80
	v_and_or_b32 v4, v4, s30, v1
.LBB47_4875:
	s_or_b64 exec, exec, vcc
.LBB47_4876:
	s_or_b64 exec, exec, s[28:29]
	flat_store_byte v[2:3], v4
                                        ; implicit-def: $vgpr98
                                        ; implicit-def: $vgpr2_vgpr3
.LBB47_4877:
	s_andn2_saveexec_b64 s[26:27], s[26:27]
	s_cbranch_execz .LBB47_4887
; %bb.4878:
	v_and_b32_e32 v4, 0x7fffffff, v98
	s_mov_b32 s28, 0x43f00000
	v_cmp_gt_u32_e32 vcc, s28, v4
                                        ; implicit-def: $vgpr1
	s_and_saveexec_b64 s[28:29], vcc
	s_xor_b64 s[28:29], exec, s[28:29]
	s_cbranch_execz .LBB47_4884
; %bb.4879:
	s_mov_b32 vcc_lo, 0x3c7fffff
	v_cmp_lt_u32_e32 vcc, vcc_lo, v4
                                        ; implicit-def: $vgpr1
	s_and_saveexec_b64 s[30:31], vcc
	s_xor_b64 s[30:31], exec, s[30:31]
; %bb.4880:
	v_bfe_u32 v1, v98, 20, 1
	s_mov_b32 vcc_lo, 0x407ffff
	v_add3_u32 v1, v98, v1, vcc_lo
	v_lshrrev_b32_e32 v4, 20, v1
	v_and_b32_e32 v1, 0xff00000, v1
	s_mov_b32 vcc_lo, 0x7f00000
	v_mov_b32_e32 v5, 0x7e
	v_cmp_ne_u32_e32 vcc, vcc_lo, v1
	v_cndmask_b32_e32 v1, v5, v4, vcc
; %bb.4881:
	s_andn2_saveexec_b64 vcc, s[30:31]
; %bb.4882:
	s_mov_b32 s30, 0x46800000
	v_add_f32_e64 v1, |v98|, s30
; %bb.4883:
	s_or_b64 exec, exec, vcc
                                        ; implicit-def: $vgpr4
.LBB47_4884:
	s_andn2_saveexec_b64 s[28:29], s[28:29]
; %bb.4885:
	s_mov_b32 vcc_lo, 0x7f800000
	v_mov_b32_e32 v1, 0x7e
	v_mov_b32_e32 v5, 0x7f
	v_cmp_lt_u32_e32 vcc, vcc_lo, v4
	v_cndmask_b32_e32 v1, v1, v5, vcc
; %bb.4886:
	s_or_b64 exec, exec, s[28:29]
	v_lshrrev_b32_e32 v4, 24, v98
	s_movk_i32 s28, 0x80
	v_and_or_b32 v1, v4, s28, v1
	flat_store_byte v[2:3], v1
.LBB47_4887:
	s_or_b64 exec, exec, s[26:27]
                                        ; implicit-def: $vgpr98
                                        ; implicit-def: $vgpr2_vgpr3
.LBB47_4888:
	s_andn2_saveexec_b64 s[20:21], s[20:21]
	s_cbranch_execz .LBB47_4898
; %bb.4889:
	v_and_b32_e32 v4, 0x7fffffff, v98
	s_mov_b32 s26, 0x47800000
	v_cmp_gt_u32_e32 vcc, s26, v4
                                        ; implicit-def: $vgpr1
	s_and_saveexec_b64 s[26:27], vcc
	s_xor_b64 s[26:27], exec, s[26:27]
	s_cbranch_execz .LBB47_4895
; %bb.4890:
	s_mov_b32 s28, 0x387fffff
	v_cmp_lt_u32_e32 vcc, s28, v4
                                        ; implicit-def: $vgpr1
	s_and_saveexec_b64 s[28:29], vcc
	s_xor_b64 s[28:29], exec, s[28:29]
; %bb.4891:
	v_bfe_u32 v1, v98, 21, 1
	s_mov_b32 vcc_lo, 0x80fffff
	v_add3_u32 v1, v98, v1, vcc_lo
	v_lshrrev_b32_e32 v1, 21, v1
; %bb.4892:
	s_andn2_saveexec_b64 s[28:29], s[28:29]
; %bb.4893:
	s_mov_b32 s30, 0x43000000
	v_add_f32_e64 v1, |v98|, s30
; %bb.4894:
	s_or_b64 exec, exec, s[28:29]
                                        ; implicit-def: $vgpr4
.LBB47_4895:
	s_andn2_saveexec_b64 s[26:27], s[26:27]
; %bb.4896:
	s_mov_b32 s28, 0x7f800000
	v_mov_b32_e32 v1, 0x7c
	v_mov_b32_e32 v5, 0x7f
	v_cmp_lt_u32_e32 vcc, s28, v4
	v_cndmask_b32_e32 v1, v1, v5, vcc
; %bb.4897:
	s_or_b64 exec, exec, s[26:27]
	v_lshrrev_b32_e32 v4, 24, v98
	s_movk_i32 s26, 0x80
	v_and_or_b32 v1, v4, s26, v1
	flat_store_byte v[2:3], v1
.LBB47_4898:
	s_or_b64 exec, exec, s[20:21]
	s_or_b64 s[20:21], s[4:5], exec
                                        ; implicit-def: $vgpr98
                                        ; implicit-def: $vgpr2_vgpr3
.LBB47_4899:
	s_or_saveexec_b64 s[18:19], s[18:19]
	s_mov_b64 s[28:29], s[14:15]
	s_xor_b64 exec, exec, s[18:19]
	s_cbranch_execz .LBB47_4909
; %bb.4900:
	v_mov_b32_e32 v1, 14
	v_cmp_gt_i16_sdwa vcc, v11, v1 src0_sel:BYTE_0 src1_sel:DWORD
	s_mov_b64 s[26:27], s[20:21]
	s_mov_b64 s[28:29], s[14:15]
	s_and_saveexec_b64 s[30:31], vcc
	s_xor_b64 s[30:31], exec, s[30:31]
	s_cbranch_execz .LBB47_4904
; %bb.4901:
	v_mov_b32_e32 v1, 15
	v_cmp_eq_u16_sdwa s[34:35], v11, v1 src0_sel:BYTE_0 src1_sel:DWORD
	s_mov_b64 s[28:29], -1
	s_mov_b64 vcc, s[20:21]
	s_and_saveexec_b64 s[26:27], s[34:35]
	s_cbranch_execz .LBB47_4903
; %bb.4902:
	v_bfe_u32 v1, v98, 16, 1
	s_movk_i32 s28, 0x7fff
	v_add3_u32 v1, v98, v1, s28
	v_lshrrev_b32_e32 v1, 16, v1
	v_mov_b32_e32 v4, 0x7fc0
	v_cmp_o_f32_e32 vcc, v98, v98
	v_cndmask_b32_e32 v1, v4, v1, vcc
	flat_store_short v[2:3], v1
	s_xor_b64 s[28:29], exec, -1
	s_or_b64 vcc, s[20:21], exec
.LBB47_4903:
	s_or_b64 exec, exec, s[26:27]
	s_andn2_b64 s[26:27], s[14:15], exec
	s_and_b64 s[28:29], s[28:29], exec
	s_or_b64 s[28:29], s[26:27], s[28:29]
	s_andn2_b64 s[26:27], s[20:21], exec
	s_and_b64 vcc, vcc, exec
	s_or_b64 s[26:27], s[26:27], vcc
                                        ; implicit-def: $vgpr98
                                        ; implicit-def: $vgpr2_vgpr3
.LBB47_4904:
	s_andn2_saveexec_b64 s[30:31], s[30:31]
	s_cbranch_execz .LBB47_4908
; %bb.4905:
	v_mov_b32_e32 v1, 11
	v_cmp_eq_u16_sdwa s[38:39], v11, v1 src0_sel:BYTE_0 src1_sel:DWORD
	s_mov_b64 s[34:35], -1
	s_mov_b64 vcc, s[26:27]
	s_and_saveexec_b64 s[36:37], s[38:39]
	s_cbranch_execz .LBB47_4907
; %bb.4906:
	v_cmp_neq_f32_e32 vcc, 0, v98
	v_cndmask_b32_e64 v1, 0, 1, vcc
	flat_store_byte v[2:3], v1
	s_xor_b64 s[34:35], exec, -1
	s_or_b64 vcc, s[26:27], exec
.LBB47_4907:
	s_or_b64 exec, exec, s[36:37]
	s_andn2_b64 s[28:29], s[28:29], exec
	s_and_b64 s[34:35], s[34:35], exec
	s_andn2_b64 s[26:27], s[26:27], exec
	s_and_b64 vcc, vcc, exec
	s_or_b64 s[28:29], s[28:29], s[34:35]
	s_or_b64 s[26:27], s[26:27], vcc
.LBB47_4908:
	s_or_b64 exec, exec, s[30:31]
	s_andn2_b64 vcc, s[14:15], exec
	s_and_b64 s[28:29], s[28:29], exec
	s_andn2_b64 s[20:21], s[20:21], exec
	s_and_b64 s[26:27], s[26:27], exec
	s_or_b64 s[28:29], vcc, s[28:29]
	s_or_b64 s[20:21], s[20:21], s[26:27]
.LBB47_4909:
	s_or_b64 exec, exec, s[18:19]
	s_andn2_b64 s[14:15], s[14:15], exec
	s_and_b64 s[18:19], s[28:29], exec
	s_or_b64 s[14:15], s[14:15], s[18:19]
	s_andn2_b64 s[4:5], s[4:5], exec
	s_and_b64 s[18:19], s[20:21], exec
	s_or_b64 s[4:5], s[4:5], s[18:19]
.LBB47_4910:
	s_or_b64 exec, exec, s[16:17]
	s_andn2_b64 s[16:17], s[6:7], exec
	s_and_b64 s[14:15], s[14:15], exec
	s_or_b64 s[14:15], s[16:17], s[14:15]
	s_and_b64 s[4:5], s[4:5], exec
                                        ; implicit-def: $vgpr98
                                        ; implicit-def: $vgpr2_vgpr3
	s_andn2_saveexec_b64 s[10:11], s[10:11]
	s_cbranch_execz .LBB47_3853
.LBB47_4911:
	v_mov_b32_e32 v1, 4
	v_cmp_gt_i16_sdwa s[16:17], v11, v1 src0_sel:BYTE_0 src1_sel:DWORD
	s_and_saveexec_b64 s[18:19], s[16:17]
	s_xor_b64 s[16:17], exec, s[18:19]
	s_cbranch_execz .LBB47_4933
; %bb.4912:
	v_mov_b32_e32 v1, 7
	v_cmp_gt_i16_sdwa s[18:19], v11, v1 src0_sel:BYTE_0 src1_sel:DWORD
	s_and_saveexec_b64 s[20:21], s[18:19]
	s_xor_b64 s[18:19], exec, s[20:21]
	s_cbranch_execz .LBB47_4922
; %bb.4913:
	;; [unrolled: 6-line block ×4, first 2 shown]
	v_mov_b32_e32 v118, 0
	v_cvt_f64_f32_e32 v[116:117], v98
	v_mov_b32_e32 v119, v118
	flat_store_dwordx4 v[2:3], v[116:119]
                                        ; implicit-def: $vgpr98
                                        ; implicit-def: $vgpr2_vgpr3
.LBB47_4916:
	s_andn2_saveexec_b64 s[26:27], s[26:27]
	s_cbranch_execz .LBB47_4918
; %bb.4917:
	v_mov_b32_e32 v99, 0
	flat_store_dwordx2 v[2:3], v[98:99]
.LBB47_4918:
	s_or_b64 exec, exec, s[26:27]
                                        ; implicit-def: $vgpr98
                                        ; implicit-def: $vgpr2_vgpr3
.LBB47_4919:
	s_andn2_saveexec_b64 s[20:21], s[20:21]
	s_cbranch_execz .LBB47_4921
; %bb.4920:
	v_cvt_f16_f32_e32 v1, v98
	flat_store_dword v[2:3], v1
.LBB47_4921:
	s_or_b64 exec, exec, s[20:21]
                                        ; implicit-def: $vgpr98
                                        ; implicit-def: $vgpr2_vgpr3
.LBB47_4922:
	s_andn2_saveexec_b64 s[18:19], s[18:19]
	s_cbranch_execz .LBB47_4932
; %bb.4923:
	v_mov_b32_e32 v1, 5
	v_cmp_gt_i16_sdwa s[20:21], v11, v1 src0_sel:BYTE_0 src1_sel:DWORD
	s_and_saveexec_b64 s[26:27], s[20:21]
	s_xor_b64 s[20:21], exec, s[26:27]
	s_cbranch_execz .LBB47_4929
; %bb.4924:
	v_mov_b32_e32 v1, 6
	v_cmp_gt_i16_sdwa s[26:27], v11, v1 src0_sel:BYTE_0 src1_sel:DWORD
	s_and_saveexec_b64 s[28:29], s[26:27]
	s_xor_b64 s[26:27], exec, s[28:29]
	s_cbranch_execz .LBB47_4926
; %bb.4925:
	v_cvt_f64_f32_e32 v[4:5], v98
	flat_store_dwordx2 v[2:3], v[4:5]
                                        ; implicit-def: $vgpr2_vgpr3
                                        ; implicit-def: $vgpr98
.LBB47_4926:
	s_andn2_saveexec_b64 s[26:27], s[26:27]
	s_cbranch_execz .LBB47_4928
; %bb.4927:
	flat_store_dword v[2:3], v98
.LBB47_4928:
	s_or_b64 exec, exec, s[26:27]
                                        ; implicit-def: $vgpr98
                                        ; implicit-def: $vgpr2_vgpr3
.LBB47_4929:
	s_andn2_saveexec_b64 s[20:21], s[20:21]
	s_cbranch_execz .LBB47_4931
; %bb.4930:
	v_cvt_f16_f32_e32 v1, v98
	flat_store_short v[2:3], v1
.LBB47_4931:
	s_or_b64 exec, exec, s[20:21]
.LBB47_4932:
	s_or_b64 exec, exec, s[18:19]
                                        ; implicit-def: $vgpr98
                                        ; implicit-def: $vgpr2_vgpr3
.LBB47_4933:
	s_andn2_saveexec_b64 s[16:17], s[16:17]
	s_cbranch_execz .LBB47_4951
; %bb.4934:
	v_mov_b32_e32 v1, 1
	v_cmp_gt_i16_sdwa s[18:19], v11, v1 src0_sel:BYTE_0 src1_sel:DWORD
	s_and_saveexec_b64 s[20:21], s[18:19]
	s_xor_b64 s[18:19], exec, s[20:21]
	s_cbranch_execz .LBB47_4944
; %bb.4935:
	v_mov_b32_e32 v1, 2
	v_cmp_gt_i16_sdwa s[20:21], v11, v1 src0_sel:BYTE_0 src1_sel:DWORD
	s_and_saveexec_b64 s[26:27], s[20:21]
	s_xor_b64 s[20:21], exec, s[26:27]
	;; [unrolled: 6-line block ×3, first 2 shown]
	s_cbranch_execz .LBB47_4938
; %bb.4937:
	v_trunc_f32_e32 v1, v98
	s_mov_b32 s28, 0x2f800000
	v_mul_f32_e64 v4, |v1|, s28
	v_floor_f32_e32 v4, v4
	s_mov_b32 s28, 0xcf800000
	v_cvt_u32_f32_e32 v5, v4
	v_fma_f32 v4, v4, s28, |v1|
	v_cvt_u32_f32_e32 v4, v4
	v_ashrrev_i32_e32 v1, 31, v1
	v_xor_b32_e32 v5, v5, v1
                                        ; implicit-def: $vgpr98
	v_xor_b32_e32 v4, v4, v1
	v_sub_co_u32_e32 v4, vcc, v4, v1
	v_subb_co_u32_e32 v5, vcc, v5, v1, vcc
	flat_store_dwordx2 v[2:3], v[4:5]
                                        ; implicit-def: $vgpr2_vgpr3
.LBB47_4938:
	s_andn2_saveexec_b64 s[26:27], s[26:27]
	s_cbranch_execz .LBB47_4940
; %bb.4939:
	v_cvt_i32_f32_e32 v1, v98
	flat_store_dword v[2:3], v1
.LBB47_4940:
	s_or_b64 exec, exec, s[26:27]
                                        ; implicit-def: $vgpr98
                                        ; implicit-def: $vgpr2_vgpr3
.LBB47_4941:
	s_andn2_saveexec_b64 s[20:21], s[20:21]
	s_cbranch_execz .LBB47_4943
; %bb.4942:
	v_cvt_i32_f32_e32 v1, v98
	flat_store_short v[2:3], v1
.LBB47_4943:
	s_or_b64 exec, exec, s[20:21]
                                        ; implicit-def: $vgpr98
                                        ; implicit-def: $vgpr2_vgpr3
.LBB47_4944:
	s_andn2_saveexec_b64 s[18:19], s[18:19]
	s_cbranch_execz .LBB47_4950
; %bb.4945:
	v_mov_b32_e32 v1, 0
	v_cmp_gt_i16_sdwa s[20:21], v11, v1 src0_sel:BYTE_0 src1_sel:DWORD
	s_and_saveexec_b64 s[26:27], s[20:21]
	s_xor_b64 s[20:21], exec, s[26:27]
	s_cbranch_execz .LBB47_4947
; %bb.4946:
	v_cvt_i32_f32_e32 v1, v98
                                        ; implicit-def: $vgpr98
	flat_store_byte v[2:3], v1
                                        ; implicit-def: $vgpr2_vgpr3
.LBB47_4947:
	s_andn2_saveexec_b64 s[20:21], s[20:21]
	s_cbranch_execz .LBB47_4949
; %bb.4948:
	v_trunc_f32_e32 v1, v98
	s_mov_b32 s26, 0x2f800000
	v_mul_f32_e64 v4, |v1|, s26
	v_floor_f32_e32 v4, v4
	s_mov_b32 s26, 0xcf800000
	v_fma_f32 v4, v4, s26, |v1|
	v_cvt_u32_f32_e32 v4, v4
	v_ashrrev_i32_e32 v1, 31, v1
	v_xor_b32_e32 v4, v4, v1
	v_sub_u32_e32 v1, v4, v1
	flat_store_byte v[2:3], v1
.LBB47_4949:
	s_or_b64 exec, exec, s[20:21]
.LBB47_4950:
	s_or_b64 exec, exec, s[18:19]
.LBB47_4951:
	s_or_b64 exec, exec, s[16:17]
	s_or_b64 s[4:5], s[4:5], exec
	s_or_b64 exec, exec, s[10:11]
	s_mov_b64 s[16:17], 0
	s_and_saveexec_b64 s[10:11], s[4:5]
	s_cbranch_execnz .LBB47_3854
	s_branch .LBB47_3855
.LBB47_4952:
	s_or_b64 s[4:5], s[4:5], exec
	s_trap 2
	s_branch .LBB47_4828
.LBB47_4953:
	v_mov_b32_e32 v1, 25
	v_cmp_gt_i16_sdwa s[20:21], v11, v1 src0_sel:BYTE_0 src1_sel:DWORD
	s_mov_b64 s[18:19], s[10:11]
	s_and_saveexec_b64 s[26:27], s[20:21]
	s_xor_b64 s[20:21], exec, s[26:27]
	s_cbranch_execz .LBB47_4989
; %bb.4954:
	v_mov_b32_e32 v1, 28
	v_cmp_gt_i16_sdwa s[18:19], v11, v1 src0_sel:BYTE_0 src1_sel:DWORD
	s_mov_b64 s[26:27], s[10:11]
	s_and_saveexec_b64 s[28:29], s[18:19]
	s_xor_b64 s[18:19], exec, s[28:29]
	s_cbranch_execz .LBB47_4972
; %bb.4955:
	v_mov_b32_e32 v1, 43
	v_cmp_gt_i16_sdwa s[26:27], v11, v1 src0_sel:BYTE_0 src1_sel:DWORD
	s_mov_b64 vcc, s[10:11]
	s_and_saveexec_b64 s[28:29], s[26:27]
	s_xor_b64 s[26:27], exec, s[28:29]
	s_cbranch_execz .LBB47_4967
; %bb.4956:
	v_mov_b32_e32 v1, 45
	v_cmp_gt_i16_sdwa s[4:5], v11, v1 src0_sel:BYTE_0 src1_sel:DWORD
	s_mov_b64 s[28:29], 0
	s_mov_b64 s[30:31], s[10:11]
	s_and_saveexec_b64 vcc, s[4:5]
	s_xor_b64 s[4:5], exec, vcc
	s_cbranch_execz .LBB47_4960
; %bb.4957:
	v_mov_b32_e32 v1, 46
	v_cmp_eq_u16_sdwa s[34:35], v11, v1 src0_sel:BYTE_0 src1_sel:DWORD
	s_mov_b64 vcc, -1
	s_and_saveexec_b64 s[30:31], s[34:35]
	s_cbranch_execz .LBB47_4959
; %bb.4958:
	v_bfe_u32 v1, v96, 16, 1
	s_movk_i32 vcc_lo, 0x7fff
	v_add3_u32 v1, v96, v1, vcc_lo
	v_lshrrev_b32_e32 v1, 16, v1
	v_mov_b32_e32 v4, 0x7fc0
	v_cmp_o_f32_e32 vcc, v96, v96
	v_cndmask_b32_e32 v1, v4, v1, vcc
	s_mov_b64 s[28:29], exec
	flat_store_dword v[2:3], v1
	s_xor_b64 vcc, exec, -1
.LBB47_4959:
	s_or_b64 exec, exec, s[30:31]
	s_andn2_b64 s[30:31], s[10:11], exec
	s_and_b64 vcc, vcc, exec
	s_or_b64 s[30:31], s[30:31], vcc
	s_and_b64 s[28:29], s[28:29], exec
                                        ; implicit-def: $vgpr2_vgpr3
                                        ; implicit-def: $vgpr96
.LBB47_4960:
	s_andn2_saveexec_b64 s[34:35], s[4:5]
	s_cbranch_execz .LBB47_4966
; %bb.4961:
	v_mov_b32_e32 v1, 44
	v_cmp_eq_u16_sdwa s[38:39], v11, v1 src0_sel:BYTE_0 src1_sel:DWORD
	s_mov_b64 vcc, -1
	s_mov_b64 s[4:5], s[28:29]
	s_and_saveexec_b64 s[36:37], s[38:39]
	s_cbranch_execz .LBB47_4965
; %bb.4962:
	v_bfe_u32 v1, v96, 23, 8
	s_movk_i32 s4, 0xff
	v_cmp_ne_u32_e32 vcc, s4, v1
	v_mov_b32_e32 v4, 0xff
	s_and_saveexec_b64 s[38:39], vcc
; %bb.4963:
	s_mov_b32 s4, 0x3fffff
	v_and_b32_e32 v5, 0x400000, v96
	v_and_or_b32 v1, v96, s4, v1
	v_cmp_ne_u32_e32 vcc, 0, v5
	v_cmp_ne_u32_e64 s[4:5], 0, v1
	s_and_b64 s[4:5], vcc, s[4:5]
	v_lshrrev_b32_e32 v4, 23, v96
	v_cndmask_b32_e64 v1, 0, 1, s[4:5]
	v_add_u32_e32 v4, v4, v1
; %bb.4964:
	s_or_b64 exec, exec, s[38:39]
	s_xor_b64 vcc, exec, -1
	s_or_b64 s[4:5], s[28:29], exec
	flat_store_byte v[2:3], v4
.LBB47_4965:
	s_or_b64 exec, exec, s[36:37]
	s_andn2_b64 s[30:31], s[30:31], exec
	s_and_b64 vcc, vcc, exec
	s_andn2_b64 s[28:29], s[28:29], exec
	s_and_b64 s[4:5], s[4:5], exec
	s_or_b64 s[30:31], s[30:31], vcc
	s_or_b64 s[28:29], s[28:29], s[4:5]
.LBB47_4966:
	s_or_b64 exec, exec, s[34:35]
	s_andn2_b64 s[4:5], s[10:11], exec
	s_and_b64 vcc, s[30:31], exec
	s_or_b64 vcc, s[4:5], vcc
	s_and_b64 s[4:5], s[28:29], exec
                                        ; implicit-def: $vgpr96
                                        ; implicit-def: $vgpr2_vgpr3
.LBB47_4967:
	s_andn2_saveexec_b64 s[26:27], s[26:27]
	s_cbranch_execz .LBB47_4971
; %bb.4968:
	v_mov_b32_e32 v1, 29
	v_cmp_eq_u16_sdwa s[36:37], v11, v1 src0_sel:BYTE_0 src1_sel:DWORD
	s_mov_b64 s[34:35], -1
	s_mov_b64 s[30:31], s[4:5]
	s_and_saveexec_b64 s[28:29], s[36:37]
	s_cbranch_execz .LBB47_4970
; %bb.4969:
	v_trunc_f32_e32 v1, v96
	v_mul_f32_e32 v4, 0x2f800000, v1
	v_floor_f32_e32 v4, v4
	v_fmac_f32_e32 v1, 0xcf800000, v4
	v_cvt_u32_f32_e32 v5, v4
	v_cvt_u32_f32_e32 v4, v1
	s_xor_b64 s[34:35], exec, -1
	s_or_b64 s[30:31], s[4:5], exec
	flat_store_dwordx2 v[2:3], v[4:5]
.LBB47_4970:
	s_or_b64 exec, exec, s[28:29]
	s_andn2_b64 s[28:29], vcc, exec
	s_and_b64 vcc, s[34:35], exec
	s_or_b64 vcc, s[28:29], vcc
	s_andn2_b64 s[4:5], s[4:5], exec
	s_and_b64 s[28:29], s[30:31], exec
	s_or_b64 s[4:5], s[4:5], s[28:29]
.LBB47_4971:
	s_or_b64 exec, exec, s[26:27]
	s_andn2_b64 s[26:27], s[10:11], exec
	s_and_b64 s[28:29], vcc, exec
	s_or_b64 s[26:27], s[26:27], s[28:29]
	s_and_b64 s[4:5], s[4:5], exec
                                        ; implicit-def: $vgpr2_vgpr3
                                        ; implicit-def: $vgpr96
.LBB47_4972:
	s_andn2_saveexec_b64 s[18:19], s[18:19]
	s_cbranch_execz .LBB47_4988
; %bb.4973:
	v_mov_b32_e32 v1, 26
	v_cmp_gt_i16_sdwa s[28:29], v11, v1 src0_sel:BYTE_0 src1_sel:DWORD
	s_and_saveexec_b64 vcc, s[28:29]
	s_xor_b64 s[28:29], exec, vcc
	s_cbranch_execz .LBB47_4979
; %bb.4974:
	v_cvt_u32_f32_e32 v1, v96
	v_mov_b32_e32 v4, 27
	v_cmp_gt_i16_sdwa vcc, v11, v4 src0_sel:BYTE_0 src1_sel:DWORD
	s_and_saveexec_b64 s[30:31], vcc
	s_xor_b64 vcc, exec, s[30:31]
	s_cbranch_execz .LBB47_4976
; %bb.4975:
	flat_store_dword v[2:3], v1
                                        ; implicit-def: $vgpr2_vgpr3
                                        ; implicit-def: $vgpr1
.LBB47_4976:
	s_andn2_saveexec_b64 vcc, vcc
	s_cbranch_execz .LBB47_4978
; %bb.4977:
	flat_store_short v[2:3], v1
.LBB47_4978:
	s_or_b64 exec, exec, vcc
                                        ; implicit-def: $vgpr2_vgpr3
                                        ; implicit-def: $vgpr96
.LBB47_4979:
	s_andn2_saveexec_b64 s[28:29], s[28:29]
	s_cbranch_execz .LBB47_4987
; %bb.4980:
	v_and_b32_e32 v1, 0x7fffffff, v96
	s_mov_b32 vcc_lo, 0x43800000
	v_cmp_gt_u32_e32 vcc, vcc_lo, v1
	v_mov_b32_e32 v4, 0x80
	s_and_saveexec_b64 s[30:31], vcc
	s_cbranch_execz .LBB47_4986
; %bb.4981:
	s_mov_b32 vcc_lo, 0x3bffffff
	v_cmp_lt_u32_e32 vcc, vcc_lo, v1
	s_mov_b64 s[34:35], 0
                                        ; implicit-def: $vgpr1
	s_and_saveexec_b64 s[36:37], vcc
	s_xor_b64 vcc, exec, s[36:37]
	s_cbranch_execnz .LBB47_5693
; %bb.4982:
	s_or_saveexec_b64 s[36:37], vcc
                                        ; implicit-def: $sgpr38
	s_xor_b64 exec, exec, s[36:37]
	s_cbranch_execnz .LBB47_5694
.LBB47_4983:
	s_or_b64 exec, exec, s[36:37]
	v_mov_b32_e32 v4, s38
	s_and_saveexec_b64 vcc, s[34:35]
.LBB47_4984:
	v_lshrrev_b32_e32 v4, 24, v96
	s_movk_i32 s34, 0x80
	v_and_or_b32 v4, v4, s34, v1
.LBB47_4985:
	s_or_b64 exec, exec, vcc
.LBB47_4986:
	s_or_b64 exec, exec, s[30:31]
	flat_store_byte v[2:3], v4
.LBB47_4987:
	s_or_b64 exec, exec, s[28:29]
	s_or_b64 s[4:5], s[4:5], exec
.LBB47_4988:
	s_or_b64 exec, exec, s[18:19]
	s_andn2_b64 s[18:19], s[10:11], exec
	s_and_b64 s[26:27], s[26:27], exec
	s_or_b64 s[18:19], s[18:19], s[26:27]
	s_and_b64 s[4:5], s[4:5], exec
                                        ; implicit-def: $vgpr96
                                        ; implicit-def: $vgpr2_vgpr3
.LBB47_4989:
	s_andn2_saveexec_b64 s[20:21], s[20:21]
	s_cbranch_execz .LBB47_5033
; %bb.4990:
	v_mov_b32_e32 v1, 22
	v_cmp_gt_i16_sdwa s[26:27], v11, v1 src0_sel:BYTE_0 src1_sel:DWORD
	s_mov_b64 s[28:29], s[4:5]
	s_and_saveexec_b64 vcc, s[26:27]
	s_xor_b64 s[26:27], exec, vcc
	s_cbranch_execz .LBB47_5022
; %bb.4991:
	v_mov_b32_e32 v1, 23
	v_cmp_gt_i16_sdwa s[28:29], v11, v1 src0_sel:BYTE_0 src1_sel:DWORD
	s_and_saveexec_b64 vcc, s[28:29]
	s_xor_b64 s[28:29], exec, vcc
	s_cbranch_execz .LBB47_5011
; %bb.4992:
	v_mov_b32_e32 v1, 24
	v_cmp_gt_i16_sdwa vcc, v11, v1 src0_sel:BYTE_0 src1_sel:DWORD
	s_and_saveexec_b64 s[30:31], vcc
	s_xor_b64 s[30:31], exec, s[30:31]
	s_cbranch_execz .LBB47_5000
; %bb.4993:
	v_and_b32_e32 v1, 0x7fffffff, v96
	s_mov_b32 vcc_lo, 0x47800000
	v_cmp_gt_u32_e32 vcc, vcc_lo, v1
	v_mov_b32_e32 v4, 0x80
	s_and_saveexec_b64 s[34:35], vcc
	s_cbranch_execz .LBB47_4999
; %bb.4994:
	s_mov_b32 vcc_lo, 0x37ffffff
	v_cmp_lt_u32_e32 vcc, vcc_lo, v1
	s_mov_b64 s[36:37], 0
                                        ; implicit-def: $vgpr1
	s_and_saveexec_b64 s[38:39], vcc
	s_xor_b64 vcc, exec, s[38:39]
	s_cbranch_execnz .LBB47_5817
; %bb.4995:
	s_or_saveexec_b64 s[38:39], vcc
                                        ; implicit-def: $sgpr40
	s_xor_b64 exec, exec, s[38:39]
	s_cbranch_execnz .LBB47_5818
.LBB47_4996:
	s_or_b64 exec, exec, s[38:39]
	v_mov_b32_e32 v4, s40
	s_and_saveexec_b64 vcc, s[36:37]
.LBB47_4997:
	v_lshrrev_b32_e32 v4, 24, v96
	s_movk_i32 s36, 0x80
	v_and_or_b32 v4, v4, s36, v1
.LBB47_4998:
	s_or_b64 exec, exec, vcc
.LBB47_4999:
	s_or_b64 exec, exec, s[34:35]
	flat_store_byte v[2:3], v4
                                        ; implicit-def: $vgpr96
                                        ; implicit-def: $vgpr2_vgpr3
.LBB47_5000:
	s_andn2_saveexec_b64 s[30:31], s[30:31]
	s_cbranch_execz .LBB47_5010
; %bb.5001:
	v_and_b32_e32 v4, 0x7fffffff, v96
	s_mov_b32 vcc_lo, 0x43f00000
	v_cmp_gt_u32_e32 vcc, vcc_lo, v4
                                        ; implicit-def: $vgpr1
	s_and_saveexec_b64 s[34:35], vcc
	s_xor_b64 s[34:35], exec, s[34:35]
	s_cbranch_execz .LBB47_5007
; %bb.5002:
	s_mov_b32 vcc_lo, 0x3c7fffff
	v_cmp_lt_u32_e32 vcc, vcc_lo, v4
                                        ; implicit-def: $vgpr1
	s_and_saveexec_b64 s[36:37], vcc
	s_xor_b64 s[36:37], exec, s[36:37]
; %bb.5003:
	v_bfe_u32 v1, v96, 20, 1
	s_mov_b32 vcc_lo, 0x407ffff
	v_add3_u32 v1, v96, v1, vcc_lo
	v_lshrrev_b32_e32 v4, 20, v1
	v_and_b32_e32 v1, 0xff00000, v1
	s_mov_b32 vcc_lo, 0x7f00000
	v_mov_b32_e32 v5, 0x7e
	v_cmp_ne_u32_e32 vcc, vcc_lo, v1
	v_cndmask_b32_e32 v1, v5, v4, vcc
; %bb.5004:
	s_andn2_saveexec_b64 vcc, s[36:37]
; %bb.5005:
	s_mov_b32 s36, 0x46800000
	v_add_f32_e64 v1, |v96|, s36
; %bb.5006:
	s_or_b64 exec, exec, vcc
                                        ; implicit-def: $vgpr4
.LBB47_5007:
	s_andn2_saveexec_b64 s[34:35], s[34:35]
; %bb.5008:
	s_mov_b32 vcc_lo, 0x7f800000
	v_mov_b32_e32 v1, 0x7e
	v_mov_b32_e32 v5, 0x7f
	v_cmp_lt_u32_e32 vcc, vcc_lo, v4
	v_cndmask_b32_e32 v1, v1, v5, vcc
; %bb.5009:
	s_or_b64 exec, exec, s[34:35]
	v_lshrrev_b32_e32 v4, 24, v96
	s_movk_i32 vcc_lo, 0x80
	v_and_or_b32 v1, v4, vcc_lo, v1
	flat_store_byte v[2:3], v1
.LBB47_5010:
	s_or_b64 exec, exec, s[30:31]
                                        ; implicit-def: $vgpr96
                                        ; implicit-def: $vgpr2_vgpr3
.LBB47_5011:
	s_andn2_saveexec_b64 s[28:29], s[28:29]
	s_cbranch_execz .LBB47_5021
; %bb.5012:
	v_and_b32_e32 v4, 0x7fffffff, v96
	s_mov_b32 vcc_lo, 0x47800000
	v_cmp_gt_u32_e32 vcc, vcc_lo, v4
                                        ; implicit-def: $vgpr1
	s_and_saveexec_b64 s[30:31], vcc
	s_xor_b64 s[30:31], exec, s[30:31]
	s_cbranch_execz .LBB47_5018
; %bb.5013:
	s_mov_b32 vcc_lo, 0x387fffff
	v_cmp_lt_u32_e32 vcc, vcc_lo, v4
                                        ; implicit-def: $vgpr1
	s_and_saveexec_b64 s[34:35], vcc
	s_xor_b64 vcc, exec, s[34:35]
; %bb.5014:
	v_bfe_u32 v1, v96, 21, 1
	s_mov_b32 s34, 0x80fffff
	v_add3_u32 v1, v96, v1, s34
	v_lshrrev_b32_e32 v1, 21, v1
; %bb.5015:
	s_andn2_saveexec_b64 vcc, vcc
; %bb.5016:
	s_mov_b32 s34, 0x43000000
	v_add_f32_e64 v1, |v96|, s34
; %bb.5017:
	s_or_b64 exec, exec, vcc
                                        ; implicit-def: $vgpr4
.LBB47_5018:
	s_andn2_saveexec_b64 s[30:31], s[30:31]
; %bb.5019:
	s_mov_b32 vcc_lo, 0x7f800000
	v_mov_b32_e32 v1, 0x7c
	v_mov_b32_e32 v5, 0x7f
	v_cmp_lt_u32_e32 vcc, vcc_lo, v4
	v_cndmask_b32_e32 v1, v1, v5, vcc
; %bb.5020:
	s_or_b64 exec, exec, s[30:31]
	v_lshrrev_b32_e32 v4, 24, v96
	s_movk_i32 vcc_lo, 0x80
	v_and_or_b32 v1, v4, vcc_lo, v1
	flat_store_byte v[2:3], v1
.LBB47_5021:
	s_or_b64 exec, exec, s[28:29]
	s_or_b64 s[28:29], s[4:5], exec
                                        ; implicit-def: $vgpr96
                                        ; implicit-def: $vgpr2_vgpr3
.LBB47_5022:
	s_or_saveexec_b64 s[26:27], s[26:27]
	s_mov_b64 vcc, s[18:19]
	s_xor_b64 exec, exec, s[26:27]
	s_cbranch_execz .LBB47_5032
; %bb.5023:
	v_mov_b32_e32 v1, 14
	v_cmp_gt_i16_sdwa vcc, v11, v1 src0_sel:BYTE_0 src1_sel:DWORD
	s_mov_b64 s[30:31], s[28:29]
	s_mov_b64 s[34:35], s[18:19]
	s_and_saveexec_b64 s[36:37], vcc
	s_xor_b64 s[36:37], exec, s[36:37]
	s_cbranch_execz .LBB47_5027
; %bb.5024:
	v_mov_b32_e32 v1, 15
	v_cmp_eq_u16_sdwa s[38:39], v11, v1 src0_sel:BYTE_0 src1_sel:DWORD
	s_mov_b64 s[34:35], -1
	s_mov_b64 vcc, s[28:29]
	s_and_saveexec_b64 s[30:31], s[38:39]
	s_cbranch_execz .LBB47_5026
; %bb.5025:
	v_bfe_u32 v1, v96, 16, 1
	s_movk_i32 vcc_lo, 0x7fff
	v_add3_u32 v1, v96, v1, vcc_lo
	v_lshrrev_b32_e32 v1, 16, v1
	v_mov_b32_e32 v4, 0x7fc0
	v_cmp_o_f32_e32 vcc, v96, v96
	v_cndmask_b32_e32 v1, v4, v1, vcc
	flat_store_short v[2:3], v1
	s_xor_b64 s[34:35], exec, -1
	s_or_b64 vcc, s[28:29], exec
.LBB47_5026:
	s_or_b64 exec, exec, s[30:31]
	s_andn2_b64 s[30:31], s[18:19], exec
	s_and_b64 s[34:35], s[34:35], exec
	s_or_b64 s[34:35], s[30:31], s[34:35]
	s_andn2_b64 s[30:31], s[28:29], exec
	s_and_b64 vcc, vcc, exec
	s_or_b64 s[30:31], s[30:31], vcc
                                        ; implicit-def: $vgpr96
                                        ; implicit-def: $vgpr2_vgpr3
.LBB47_5027:
	s_andn2_saveexec_b64 s[36:37], s[36:37]
	s_cbranch_execz .LBB47_5031
; %bb.5028:
	v_mov_b32_e32 v1, 11
	v_cmp_eq_u16_sdwa s[42:43], v11, v1 src0_sel:BYTE_0 src1_sel:DWORD
	s_mov_b64 s[38:39], -1
	s_mov_b64 vcc, s[30:31]
	s_and_saveexec_b64 s[40:41], s[42:43]
	s_cbranch_execz .LBB47_5030
; %bb.5029:
	v_cmp_neq_f32_e32 vcc, 0, v96
	v_cndmask_b32_e64 v1, 0, 1, vcc
	flat_store_byte v[2:3], v1
	s_xor_b64 s[38:39], exec, -1
	s_or_b64 vcc, s[30:31], exec
.LBB47_5030:
	s_or_b64 exec, exec, s[40:41]
	s_andn2_b64 s[34:35], s[34:35], exec
	s_and_b64 s[38:39], s[38:39], exec
	s_andn2_b64 s[30:31], s[30:31], exec
	s_and_b64 vcc, vcc, exec
	s_or_b64 s[34:35], s[34:35], s[38:39]
	s_or_b64 s[30:31], s[30:31], vcc
.LBB47_5031:
	s_or_b64 exec, exec, s[36:37]
	s_andn2_b64 vcc, s[18:19], exec
	s_and_b64 s[34:35], s[34:35], exec
	s_andn2_b64 s[28:29], s[28:29], exec
	s_and_b64 s[30:31], s[30:31], exec
	s_or_b64 vcc, vcc, s[34:35]
	s_or_b64 s[28:29], s[28:29], s[30:31]
.LBB47_5032:
	s_or_b64 exec, exec, s[26:27]
	s_andn2_b64 s[18:19], s[18:19], exec
	s_and_b64 s[26:27], vcc, exec
	s_or_b64 s[18:19], s[18:19], s[26:27]
	s_andn2_b64 s[4:5], s[4:5], exec
	s_and_b64 s[26:27], s[28:29], exec
	s_or_b64 s[4:5], s[4:5], s[26:27]
.LBB47_5033:
	s_or_b64 exec, exec, s[20:21]
	s_andn2_b64 s[20:21], s[10:11], exec
	s_and_b64 s[18:19], s[18:19], exec
	s_or_b64 s[18:19], s[20:21], s[18:19]
	s_and_b64 s[4:5], s[4:5], exec
                                        ; implicit-def: $vgpr96
                                        ; implicit-def: $vgpr2_vgpr3
	s_andn2_saveexec_b64 s[14:15], s[14:15]
	s_cbranch_execz .LBB47_3860
.LBB47_5034:
	v_mov_b32_e32 v1, 4
	v_cmp_gt_i16_sdwa s[20:21], v11, v1 src0_sel:BYTE_0 src1_sel:DWORD
	s_and_saveexec_b64 s[26:27], s[20:21]
	s_xor_b64 s[20:21], exec, s[26:27]
	s_cbranch_execz .LBB47_5056
; %bb.5035:
	v_mov_b32_e32 v1, 7
	v_cmp_gt_i16_sdwa s[26:27], v11, v1 src0_sel:BYTE_0 src1_sel:DWORD
	s_and_saveexec_b64 s[28:29], s[26:27]
	s_xor_b64 s[26:27], exec, s[28:29]
	s_cbranch_execz .LBB47_5045
; %bb.5036:
	v_mov_b32_e32 v1, 8
	v_cmp_gt_i16_sdwa s[28:29], v11, v1 src0_sel:BYTE_0 src1_sel:DWORD
	s_and_saveexec_b64 vcc, s[28:29]
	s_xor_b64 s[28:29], exec, vcc
	s_cbranch_execz .LBB47_5042
; %bb.5037:
	v_mov_b32_e32 v1, 9
	v_cmp_gt_i16_sdwa vcc, v11, v1 src0_sel:BYTE_0 src1_sel:DWORD
	s_and_saveexec_b64 s[30:31], vcc
	s_xor_b64 vcc, exec, s[30:31]
	s_cbranch_execz .LBB47_5039
; %bb.5038:
	v_mov_b32_e32 v98, 0
	v_cvt_f64_f32_e32 v[96:97], v96
	v_mov_b32_e32 v99, v98
	flat_store_dwordx4 v[2:3], v[96:99]
                                        ; implicit-def: $vgpr96
                                        ; implicit-def: $vgpr2_vgpr3
.LBB47_5039:
	s_andn2_saveexec_b64 vcc, vcc
	s_cbranch_execz .LBB47_5041
; %bb.5040:
	v_mov_b32_e32 v97, 0
	flat_store_dwordx2 v[2:3], v[96:97]
.LBB47_5041:
	s_or_b64 exec, exec, vcc
                                        ; implicit-def: $vgpr96
                                        ; implicit-def: $vgpr2_vgpr3
.LBB47_5042:
	s_andn2_saveexec_b64 s[28:29], s[28:29]
	s_cbranch_execz .LBB47_5044
; %bb.5043:
	v_cvt_f16_f32_e32 v1, v96
	flat_store_dword v[2:3], v1
.LBB47_5044:
	s_or_b64 exec, exec, s[28:29]
                                        ; implicit-def: $vgpr96
                                        ; implicit-def: $vgpr2_vgpr3
.LBB47_5045:
	s_andn2_saveexec_b64 s[26:27], s[26:27]
	s_cbranch_execz .LBB47_5055
; %bb.5046:
	v_mov_b32_e32 v1, 5
	v_cmp_gt_i16_sdwa s[28:29], v11, v1 src0_sel:BYTE_0 src1_sel:DWORD
	s_and_saveexec_b64 vcc, s[28:29]
	s_xor_b64 s[28:29], exec, vcc
	s_cbranch_execz .LBB47_5052
; %bb.5047:
	v_mov_b32_e32 v1, 6
	v_cmp_gt_i16_sdwa vcc, v11, v1 src0_sel:BYTE_0 src1_sel:DWORD
	s_and_saveexec_b64 s[30:31], vcc
	s_xor_b64 vcc, exec, s[30:31]
	s_cbranch_execz .LBB47_5049
; %bb.5048:
	v_cvt_f64_f32_e32 v[4:5], v96
	flat_store_dwordx2 v[2:3], v[4:5]
                                        ; implicit-def: $vgpr2_vgpr3
                                        ; implicit-def: $vgpr96
.LBB47_5049:
	s_andn2_saveexec_b64 vcc, vcc
	s_cbranch_execz .LBB47_5051
; %bb.5050:
	flat_store_dword v[2:3], v96
.LBB47_5051:
	s_or_b64 exec, exec, vcc
                                        ; implicit-def: $vgpr96
                                        ; implicit-def: $vgpr2_vgpr3
.LBB47_5052:
	s_andn2_saveexec_b64 s[28:29], s[28:29]
	s_cbranch_execz .LBB47_5054
; %bb.5053:
	v_cvt_f16_f32_e32 v1, v96
	flat_store_short v[2:3], v1
.LBB47_5054:
	s_or_b64 exec, exec, s[28:29]
.LBB47_5055:
	s_or_b64 exec, exec, s[26:27]
                                        ; implicit-def: $vgpr96
                                        ; implicit-def: $vgpr2_vgpr3
.LBB47_5056:
	s_andn2_saveexec_b64 s[20:21], s[20:21]
	s_cbranch_execz .LBB47_5074
; %bb.5057:
	v_mov_b32_e32 v1, 1
	v_cmp_gt_i16_sdwa s[26:27], v11, v1 src0_sel:BYTE_0 src1_sel:DWORD
	s_and_saveexec_b64 s[28:29], s[26:27]
	s_xor_b64 s[26:27], exec, s[28:29]
	s_cbranch_execz .LBB47_5067
; %bb.5058:
	v_mov_b32_e32 v1, 2
	v_cmp_gt_i16_sdwa s[28:29], v11, v1 src0_sel:BYTE_0 src1_sel:DWORD
	s_and_saveexec_b64 vcc, s[28:29]
	s_xor_b64 s[28:29], exec, vcc
	s_cbranch_execz .LBB47_5064
; %bb.5059:
	v_mov_b32_e32 v1, 3
	v_cmp_gt_i16_sdwa vcc, v11, v1 src0_sel:BYTE_0 src1_sel:DWORD
	s_and_saveexec_b64 s[30:31], vcc
	s_xor_b64 s[30:31], exec, s[30:31]
	s_cbranch_execz .LBB47_5061
; %bb.5060:
	v_trunc_f32_e32 v1, v96
	s_mov_b32 s34, 0x2f800000
	v_mul_f32_e64 v4, |v1|, s34
	v_floor_f32_e32 v4, v4
	s_mov_b32 s34, 0xcf800000
	v_cvt_u32_f32_e32 v5, v4
	v_fma_f32 v4, v4, s34, |v1|
	v_cvt_u32_f32_e32 v4, v4
	v_ashrrev_i32_e32 v1, 31, v1
	v_xor_b32_e32 v5, v5, v1
                                        ; implicit-def: $vgpr96
	v_xor_b32_e32 v4, v4, v1
	v_sub_co_u32_e32 v4, vcc, v4, v1
	v_subb_co_u32_e32 v5, vcc, v5, v1, vcc
	flat_store_dwordx2 v[2:3], v[4:5]
                                        ; implicit-def: $vgpr2_vgpr3
.LBB47_5061:
	s_andn2_saveexec_b64 vcc, s[30:31]
	s_cbranch_execz .LBB47_5063
; %bb.5062:
	v_cvt_i32_f32_e32 v1, v96
	flat_store_dword v[2:3], v1
.LBB47_5063:
	s_or_b64 exec, exec, vcc
                                        ; implicit-def: $vgpr96
                                        ; implicit-def: $vgpr2_vgpr3
.LBB47_5064:
	s_andn2_saveexec_b64 s[28:29], s[28:29]
	s_cbranch_execz .LBB47_5066
; %bb.5065:
	v_cvt_i32_f32_e32 v1, v96
	flat_store_short v[2:3], v1
.LBB47_5066:
	s_or_b64 exec, exec, s[28:29]
                                        ; implicit-def: $vgpr96
                                        ; implicit-def: $vgpr2_vgpr3
.LBB47_5067:
	s_andn2_saveexec_b64 s[26:27], s[26:27]
	s_cbranch_execz .LBB47_5073
; %bb.5068:
	v_mov_b32_e32 v1, 0
	v_cmp_gt_i16_sdwa s[28:29], v11, v1 src0_sel:BYTE_0 src1_sel:DWORD
	s_and_saveexec_b64 vcc, s[28:29]
	s_xor_b64 s[28:29], exec, vcc
	s_cbranch_execz .LBB47_5070
; %bb.5069:
	v_cvt_i32_f32_e32 v1, v96
                                        ; implicit-def: $vgpr96
	flat_store_byte v[2:3], v1
                                        ; implicit-def: $vgpr2_vgpr3
.LBB47_5070:
	s_andn2_saveexec_b64 s[28:29], s[28:29]
	s_cbranch_execz .LBB47_5072
; %bb.5071:
	v_trunc_f32_e32 v1, v96
	s_mov_b32 s30, 0x2f800000
	v_mul_f32_e64 v4, |v1|, s30
	v_floor_f32_e32 v4, v4
	s_mov_b32 s30, 0xcf800000
	v_fma_f32 v4, v4, s30, |v1|
	v_cvt_u32_f32_e32 v4, v4
	v_ashrrev_i32_e32 v1, 31, v1
	v_xor_b32_e32 v4, v4, v1
	v_sub_u32_e32 v1, v4, v1
	flat_store_byte v[2:3], v1
.LBB47_5072:
	s_or_b64 exec, exec, s[28:29]
.LBB47_5073:
	s_or_b64 exec, exec, s[26:27]
.LBB47_5074:
	s_or_b64 exec, exec, s[20:21]
	s_or_b64 s[4:5], s[4:5], exec
	s_or_b64 exec, exec, s[14:15]
	s_mov_b64 s[20:21], 0
	s_and_saveexec_b64 s[14:15], s[4:5]
	s_cbranch_execnz .LBB47_3861
	s_branch .LBB47_3862
.LBB47_5075:
	v_mov_b32_e32 v1, 25
	v_cmp_gt_i16_sdwa s[28:29], v11, v1 src0_sel:BYTE_0 src1_sel:DWORD
	s_mov_b64 s[26:27], s[14:15]
	s_and_saveexec_b64 vcc, s[28:29]
	s_xor_b64 s[28:29], exec, vcc
	s_cbranch_execz .LBB47_5111
; %bb.5076:
	v_mov_b32_e32 v1, 28
	v_cmp_gt_i16_sdwa s[26:27], v11, v1 src0_sel:BYTE_0 src1_sel:DWORD
	s_mov_b64 s[30:31], s[14:15]
	s_and_saveexec_b64 vcc, s[26:27]
	s_xor_b64 s[26:27], exec, vcc
	s_cbranch_execz .LBB47_5094
; %bb.5077:
	v_mov_b32_e32 v1, 43
	v_cmp_gt_i16_sdwa s[30:31], v11, v1 src0_sel:BYTE_0 src1_sel:DWORD
	s_mov_b64 vcc, s[14:15]
	s_and_saveexec_b64 s[34:35], s[30:31]
	s_xor_b64 s[30:31], exec, s[34:35]
	s_cbranch_execz .LBB47_5089
; %bb.5078:
	v_mov_b32_e32 v1, 45
	v_cmp_gt_i16_sdwa s[4:5], v11, v1 src0_sel:BYTE_0 src1_sel:DWORD
	s_mov_b64 s[34:35], 0
	s_mov_b64 s[36:37], s[14:15]
	s_and_saveexec_b64 vcc, s[4:5]
	s_xor_b64 s[4:5], exec, vcc
	s_cbranch_execz .LBB47_5082
; %bb.5079:
	v_mov_b32_e32 v1, 46
	v_cmp_eq_u16_sdwa s[38:39], v11, v1 src0_sel:BYTE_0 src1_sel:DWORD
	s_mov_b64 vcc, -1
	s_and_saveexec_b64 s[36:37], s[38:39]
	s_cbranch_execz .LBB47_5081
; %bb.5080:
	v_bfe_u32 v1, v86, 16, 1
	s_movk_i32 vcc_lo, 0x7fff
	v_add3_u32 v1, v86, v1, vcc_lo
	v_lshrrev_b32_e32 v1, 16, v1
	v_mov_b32_e32 v4, 0x7fc0
	v_cmp_o_f32_e32 vcc, v86, v86
	v_cndmask_b32_e32 v1, v4, v1, vcc
	s_mov_b64 s[34:35], exec
	flat_store_dword v[2:3], v1
	s_xor_b64 vcc, exec, -1
.LBB47_5081:
	s_or_b64 exec, exec, s[36:37]
	s_andn2_b64 s[36:37], s[14:15], exec
	s_and_b64 vcc, vcc, exec
	s_or_b64 s[36:37], s[36:37], vcc
	s_and_b64 s[34:35], s[34:35], exec
                                        ; implicit-def: $vgpr2_vgpr3
                                        ; implicit-def: $vgpr86
.LBB47_5082:
	s_andn2_saveexec_b64 s[38:39], s[4:5]
	s_cbranch_execz .LBB47_5088
; %bb.5083:
	v_mov_b32_e32 v1, 44
	v_cmp_eq_u16_sdwa s[42:43], v11, v1 src0_sel:BYTE_0 src1_sel:DWORD
	s_mov_b64 vcc, -1
	s_mov_b64 s[4:5], s[34:35]
	s_and_saveexec_b64 s[40:41], s[42:43]
	s_cbranch_execz .LBB47_5087
; %bb.5084:
	v_bfe_u32 v1, v86, 23, 8
	s_movk_i32 s4, 0xff
	v_cmp_ne_u32_e32 vcc, s4, v1
	v_mov_b32_e32 v4, 0xff
	s_and_saveexec_b64 s[42:43], vcc
; %bb.5085:
	s_mov_b32 s4, 0x3fffff
	v_and_b32_e32 v5, 0x400000, v86
	v_and_or_b32 v1, v86, s4, v1
	v_cmp_ne_u32_e32 vcc, 0, v5
	v_cmp_ne_u32_e64 s[4:5], 0, v1
	s_and_b64 s[4:5], vcc, s[4:5]
	v_lshrrev_b32_e32 v4, 23, v86
	v_cndmask_b32_e64 v1, 0, 1, s[4:5]
	v_add_u32_e32 v4, v4, v1
; %bb.5086:
	s_or_b64 exec, exec, s[42:43]
	s_xor_b64 vcc, exec, -1
	s_or_b64 s[4:5], s[34:35], exec
	flat_store_byte v[2:3], v4
.LBB47_5087:
	s_or_b64 exec, exec, s[40:41]
	s_andn2_b64 s[36:37], s[36:37], exec
	s_and_b64 vcc, vcc, exec
	s_or_b64 s[36:37], s[36:37], vcc
	s_andn2_b64 vcc, s[34:35], exec
	s_and_b64 s[4:5], s[4:5], exec
	s_or_b64 s[34:35], vcc, s[4:5]
.LBB47_5088:
	s_or_b64 exec, exec, s[38:39]
	s_andn2_b64 s[4:5], s[14:15], exec
	s_and_b64 vcc, s[36:37], exec
	s_or_b64 vcc, s[4:5], vcc
	s_and_b64 s[4:5], s[34:35], exec
                                        ; implicit-def: $vgpr86
                                        ; implicit-def: $vgpr2_vgpr3
.LBB47_5089:
	s_andn2_saveexec_b64 s[30:31], s[30:31]
	s_cbranch_execz .LBB47_5093
; %bb.5090:
	v_mov_b32_e32 v1, 29
	v_cmp_eq_u16_sdwa s[40:41], v11, v1 src0_sel:BYTE_0 src1_sel:DWORD
	s_mov_b64 s[38:39], -1
	s_mov_b64 s[36:37], s[4:5]
	s_and_saveexec_b64 s[34:35], s[40:41]
	s_cbranch_execz .LBB47_5092
; %bb.5091:
	v_trunc_f32_e32 v1, v86
	v_mul_f32_e32 v4, 0x2f800000, v1
	v_floor_f32_e32 v4, v4
	v_fmac_f32_e32 v1, 0xcf800000, v4
	v_cvt_u32_f32_e32 v5, v4
	v_cvt_u32_f32_e32 v4, v1
	s_xor_b64 s[38:39], exec, -1
	s_or_b64 s[36:37], s[4:5], exec
	flat_store_dwordx2 v[2:3], v[4:5]
.LBB47_5092:
	s_or_b64 exec, exec, s[34:35]
	s_andn2_b64 vcc, vcc, exec
	s_and_b64 s[34:35], s[38:39], exec
	s_or_b64 vcc, vcc, s[34:35]
	s_andn2_b64 s[4:5], s[4:5], exec
	s_and_b64 s[34:35], s[36:37], exec
	s_or_b64 s[4:5], s[4:5], s[34:35]
.LBB47_5093:
	s_or_b64 exec, exec, s[30:31]
	s_andn2_b64 s[30:31], s[14:15], exec
	s_and_b64 vcc, vcc, exec
	s_or_b64 s[30:31], s[30:31], vcc
	s_and_b64 s[4:5], s[4:5], exec
                                        ; implicit-def: $vgpr2_vgpr3
                                        ; implicit-def: $vgpr86
.LBB47_5094:
	s_andn2_saveexec_b64 s[26:27], s[26:27]
	s_cbranch_execz .LBB47_5110
; %bb.5095:
	v_mov_b32_e32 v1, 26
	v_cmp_gt_i16_sdwa vcc, v11, v1 src0_sel:BYTE_0 src1_sel:DWORD
	s_and_saveexec_b64 s[34:35], vcc
	s_xor_b64 vcc, exec, s[34:35]
	s_cbranch_execz .LBB47_5101
; %bb.5096:
	v_cvt_u32_f32_e32 v1, v86
	v_mov_b32_e32 v4, 27
	v_cmp_gt_i16_sdwa s[34:35], v11, v4 src0_sel:BYTE_0 src1_sel:DWORD
	s_and_saveexec_b64 s[36:37], s[34:35]
	s_xor_b64 s[34:35], exec, s[36:37]
	s_cbranch_execz .LBB47_5098
; %bb.5097:
	flat_store_dword v[2:3], v1
                                        ; implicit-def: $vgpr2_vgpr3
                                        ; implicit-def: $vgpr1
.LBB47_5098:
	s_andn2_saveexec_b64 s[34:35], s[34:35]
	s_cbranch_execz .LBB47_5100
; %bb.5099:
	flat_store_short v[2:3], v1
.LBB47_5100:
	s_or_b64 exec, exec, s[34:35]
                                        ; implicit-def: $vgpr2_vgpr3
                                        ; implicit-def: $vgpr86
.LBB47_5101:
	s_andn2_saveexec_b64 s[34:35], vcc
	s_cbranch_execz .LBB47_5109
; %bb.5102:
	v_and_b32_e32 v1, 0x7fffffff, v86
	s_mov_b32 vcc_lo, 0x43800000
	v_cmp_gt_u32_e32 vcc, vcc_lo, v1
	v_mov_b32_e32 v4, 0x80
	s_and_saveexec_b64 s[36:37], vcc
	s_cbranch_execz .LBB47_5108
; %bb.5103:
	s_mov_b32 vcc_lo, 0x3bffffff
	v_cmp_lt_u32_e32 vcc, vcc_lo, v1
	s_mov_b64 s[38:39], 0
                                        ; implicit-def: $vgpr1
	s_and_saveexec_b64 s[40:41], vcc
	s_xor_b64 vcc, exec, s[40:41]
	s_cbranch_execnz .LBB47_5819
; %bb.5104:
	s_or_saveexec_b64 s[40:41], vcc
                                        ; implicit-def: $sgpr42
	s_xor_b64 exec, exec, s[40:41]
	s_cbranch_execnz .LBB47_5820
.LBB47_5105:
	s_or_b64 exec, exec, s[40:41]
	v_mov_b32_e32 v4, s42
	s_and_saveexec_b64 vcc, s[38:39]
.LBB47_5106:
	v_lshrrev_b32_e32 v4, 24, v86
	s_movk_i32 s38, 0x80
	v_and_or_b32 v4, v4, s38, v1
.LBB47_5107:
	s_or_b64 exec, exec, vcc
.LBB47_5108:
	s_or_b64 exec, exec, s[36:37]
	flat_store_byte v[2:3], v4
.LBB47_5109:
	s_or_b64 exec, exec, s[34:35]
	s_or_b64 s[4:5], s[4:5], exec
.LBB47_5110:
	s_or_b64 exec, exec, s[26:27]
	s_andn2_b64 s[26:27], s[14:15], exec
	s_and_b64 vcc, s[30:31], exec
	s_or_b64 s[26:27], s[26:27], vcc
	s_and_b64 s[4:5], s[4:5], exec
                                        ; implicit-def: $vgpr86
                                        ; implicit-def: $vgpr2_vgpr3
.LBB47_5111:
	s_andn2_saveexec_b64 s[28:29], s[28:29]
	s_cbranch_execz .LBB47_5155
; %bb.5112:
	v_mov_b32_e32 v1, 22
	v_cmp_gt_i16_sdwa vcc, v11, v1 src0_sel:BYTE_0 src1_sel:DWORD
	s_mov_b64 s[34:35], s[4:5]
	s_and_saveexec_b64 s[30:31], vcc
	s_xor_b64 s[30:31], exec, s[30:31]
	s_cbranch_execz .LBB47_5144
; %bb.5113:
	v_mov_b32_e32 v1, 23
	v_cmp_gt_i16_sdwa vcc, v11, v1 src0_sel:BYTE_0 src1_sel:DWORD
	s_and_saveexec_b64 s[34:35], vcc
	s_xor_b64 s[34:35], exec, s[34:35]
	s_cbranch_execz .LBB47_5133
; %bb.5114:
	v_mov_b32_e32 v1, 24
	v_cmp_gt_i16_sdwa vcc, v11, v1 src0_sel:BYTE_0 src1_sel:DWORD
	s_and_saveexec_b64 s[36:37], vcc
	s_xor_b64 s[36:37], exec, s[36:37]
	s_cbranch_execz .LBB47_5122
; %bb.5115:
	v_and_b32_e32 v1, 0x7fffffff, v86
	s_mov_b32 vcc_lo, 0x47800000
	v_cmp_gt_u32_e32 vcc, vcc_lo, v1
	v_mov_b32_e32 v4, 0x80
	s_and_saveexec_b64 s[38:39], vcc
	s_cbranch_execz .LBB47_5121
; %bb.5116:
	s_mov_b32 vcc_lo, 0x37ffffff
	v_cmp_lt_u32_e32 vcc, vcc_lo, v1
	s_mov_b64 s[40:41], 0
                                        ; implicit-def: $vgpr1
	s_and_saveexec_b64 s[42:43], vcc
	s_xor_b64 vcc, exec, s[42:43]
	s_cbranch_execnz .LBB47_5943
; %bb.5117:
	s_or_saveexec_b64 s[42:43], vcc
                                        ; implicit-def: $sgpr44
	s_xor_b64 exec, exec, s[42:43]
	s_cbranch_execnz .LBB47_5944
.LBB47_5118:
	s_or_b64 exec, exec, s[42:43]
	v_mov_b32_e32 v4, s44
	s_and_saveexec_b64 vcc, s[40:41]
.LBB47_5119:
	v_lshrrev_b32_e32 v4, 24, v86
	s_movk_i32 s40, 0x80
	v_and_or_b32 v4, v4, s40, v1
.LBB47_5120:
	s_or_b64 exec, exec, vcc
.LBB47_5121:
	s_or_b64 exec, exec, s[38:39]
	flat_store_byte v[2:3], v4
                                        ; implicit-def: $vgpr86
                                        ; implicit-def: $vgpr2_vgpr3
.LBB47_5122:
	s_andn2_saveexec_b64 s[36:37], s[36:37]
	s_cbranch_execz .LBB47_5132
; %bb.5123:
	v_and_b32_e32 v4, 0x7fffffff, v86
	s_mov_b32 vcc_lo, 0x43f00000
	v_cmp_gt_u32_e32 vcc, vcc_lo, v4
                                        ; implicit-def: $vgpr1
	s_and_saveexec_b64 s[38:39], vcc
	s_xor_b64 s[38:39], exec, s[38:39]
	s_cbranch_execz .LBB47_5129
; %bb.5124:
	s_mov_b32 vcc_lo, 0x3c7fffff
	v_cmp_lt_u32_e32 vcc, vcc_lo, v4
                                        ; implicit-def: $vgpr1
	s_and_saveexec_b64 s[40:41], vcc
	s_xor_b64 s[40:41], exec, s[40:41]
; %bb.5125:
	v_bfe_u32 v1, v86, 20, 1
	s_mov_b32 vcc_lo, 0x407ffff
	v_add3_u32 v1, v86, v1, vcc_lo
	v_lshrrev_b32_e32 v4, 20, v1
	v_and_b32_e32 v1, 0xff00000, v1
	s_mov_b32 vcc_lo, 0x7f00000
	v_mov_b32_e32 v5, 0x7e
	v_cmp_ne_u32_e32 vcc, vcc_lo, v1
	v_cndmask_b32_e32 v1, v5, v4, vcc
; %bb.5126:
	s_andn2_saveexec_b64 vcc, s[40:41]
; %bb.5127:
	s_mov_b32 s40, 0x46800000
	v_add_f32_e64 v1, |v86|, s40
; %bb.5128:
	s_or_b64 exec, exec, vcc
                                        ; implicit-def: $vgpr4
.LBB47_5129:
	s_andn2_saveexec_b64 s[38:39], s[38:39]
; %bb.5130:
	s_mov_b32 vcc_lo, 0x7f800000
	v_mov_b32_e32 v1, 0x7e
	v_mov_b32_e32 v5, 0x7f
	v_cmp_lt_u32_e32 vcc, vcc_lo, v4
	v_cndmask_b32_e32 v1, v1, v5, vcc
; %bb.5131:
	s_or_b64 exec, exec, s[38:39]
	v_lshrrev_b32_e32 v4, 24, v86
	s_movk_i32 vcc_lo, 0x80
	v_and_or_b32 v1, v4, vcc_lo, v1
	flat_store_byte v[2:3], v1
.LBB47_5132:
	s_or_b64 exec, exec, s[36:37]
                                        ; implicit-def: $vgpr86
                                        ; implicit-def: $vgpr2_vgpr3
.LBB47_5133:
	s_andn2_saveexec_b64 s[34:35], s[34:35]
	s_cbranch_execz .LBB47_5143
; %bb.5134:
	v_and_b32_e32 v4, 0x7fffffff, v86
	s_mov_b32 vcc_lo, 0x47800000
	v_cmp_gt_u32_e32 vcc, vcc_lo, v4
                                        ; implicit-def: $vgpr1
	s_and_saveexec_b64 s[36:37], vcc
	s_xor_b64 s[36:37], exec, s[36:37]
	s_cbranch_execz .LBB47_5140
; %bb.5135:
	s_mov_b32 vcc_lo, 0x387fffff
	v_cmp_lt_u32_e32 vcc, vcc_lo, v4
                                        ; implicit-def: $vgpr1
	s_and_saveexec_b64 s[38:39], vcc
	s_xor_b64 vcc, exec, s[38:39]
; %bb.5136:
	v_bfe_u32 v1, v86, 21, 1
	s_mov_b32 s38, 0x80fffff
	v_add3_u32 v1, v86, v1, s38
	v_lshrrev_b32_e32 v1, 21, v1
; %bb.5137:
	s_andn2_saveexec_b64 vcc, vcc
; %bb.5138:
	s_mov_b32 s38, 0x43000000
	v_add_f32_e64 v1, |v86|, s38
; %bb.5139:
	s_or_b64 exec, exec, vcc
                                        ; implicit-def: $vgpr4
.LBB47_5140:
	s_andn2_saveexec_b64 s[36:37], s[36:37]
; %bb.5141:
	s_mov_b32 vcc_lo, 0x7f800000
	v_mov_b32_e32 v1, 0x7c
	v_mov_b32_e32 v5, 0x7f
	v_cmp_lt_u32_e32 vcc, vcc_lo, v4
	v_cndmask_b32_e32 v1, v1, v5, vcc
; %bb.5142:
	s_or_b64 exec, exec, s[36:37]
	v_lshrrev_b32_e32 v4, 24, v86
	s_movk_i32 vcc_lo, 0x80
	v_and_or_b32 v1, v4, vcc_lo, v1
	flat_store_byte v[2:3], v1
.LBB47_5143:
	s_or_b64 exec, exec, s[34:35]
	s_or_b64 s[34:35], s[4:5], exec
                                        ; implicit-def: $vgpr86
                                        ; implicit-def: $vgpr2_vgpr3
.LBB47_5144:
	s_or_saveexec_b64 s[30:31], s[30:31]
	s_mov_b64 vcc, s[26:27]
	s_xor_b64 exec, exec, s[30:31]
	s_cbranch_execz .LBB47_5154
; %bb.5145:
	v_mov_b32_e32 v1, 14
	v_cmp_gt_i16_sdwa vcc, v11, v1 src0_sel:BYTE_0 src1_sel:DWORD
	s_mov_b64 s[36:37], s[34:35]
	s_mov_b64 s[38:39], s[26:27]
	s_and_saveexec_b64 s[40:41], vcc
	s_xor_b64 s[40:41], exec, s[40:41]
	s_cbranch_execz .LBB47_5149
; %bb.5146:
	v_mov_b32_e32 v1, 15
	v_cmp_eq_u16_sdwa s[42:43], v11, v1 src0_sel:BYTE_0 src1_sel:DWORD
	s_mov_b64 s[38:39], -1
	s_mov_b64 vcc, s[34:35]
	s_and_saveexec_b64 s[36:37], s[42:43]
	s_cbranch_execz .LBB47_5148
; %bb.5147:
	v_bfe_u32 v1, v86, 16, 1
	s_movk_i32 vcc_lo, 0x7fff
	v_add3_u32 v1, v86, v1, vcc_lo
	v_lshrrev_b32_e32 v1, 16, v1
	v_mov_b32_e32 v4, 0x7fc0
	v_cmp_o_f32_e32 vcc, v86, v86
	v_cndmask_b32_e32 v1, v4, v1, vcc
	flat_store_short v[2:3], v1
	s_xor_b64 s[38:39], exec, -1
	s_or_b64 vcc, s[34:35], exec
.LBB47_5148:
	s_or_b64 exec, exec, s[36:37]
	s_andn2_b64 s[36:37], s[26:27], exec
	s_and_b64 s[38:39], s[38:39], exec
	s_or_b64 s[38:39], s[36:37], s[38:39]
	s_andn2_b64 s[36:37], s[34:35], exec
	s_and_b64 vcc, vcc, exec
	s_or_b64 s[36:37], s[36:37], vcc
                                        ; implicit-def: $vgpr86
                                        ; implicit-def: $vgpr2_vgpr3
.LBB47_5149:
	s_andn2_saveexec_b64 s[40:41], s[40:41]
	s_cbranch_execz .LBB47_5153
; %bb.5150:
	v_mov_b32_e32 v1, 11
	v_cmp_eq_u16_sdwa s[46:47], v11, v1 src0_sel:BYTE_0 src1_sel:DWORD
	s_mov_b64 s[42:43], -1
	s_mov_b64 vcc, s[36:37]
	s_and_saveexec_b64 s[44:45], s[46:47]
	s_cbranch_execz .LBB47_5152
; %bb.5151:
	v_cmp_neq_f32_e32 vcc, 0, v86
	v_cndmask_b32_e64 v1, 0, 1, vcc
	flat_store_byte v[2:3], v1
	s_xor_b64 s[42:43], exec, -1
	s_or_b64 vcc, s[36:37], exec
.LBB47_5152:
	s_or_b64 exec, exec, s[44:45]
	s_andn2_b64 s[38:39], s[38:39], exec
	s_and_b64 s[42:43], s[42:43], exec
	s_andn2_b64 s[36:37], s[36:37], exec
	s_and_b64 vcc, vcc, exec
	s_or_b64 s[38:39], s[38:39], s[42:43]
	s_or_b64 s[36:37], s[36:37], vcc
.LBB47_5153:
	s_or_b64 exec, exec, s[40:41]
	s_andn2_b64 vcc, s[26:27], exec
	s_and_b64 s[38:39], s[38:39], exec
	s_andn2_b64 s[34:35], s[34:35], exec
	s_and_b64 s[36:37], s[36:37], exec
	s_or_b64 vcc, vcc, s[38:39]
	s_or_b64 s[34:35], s[34:35], s[36:37]
.LBB47_5154:
	s_or_b64 exec, exec, s[30:31]
	s_andn2_b64 s[26:27], s[26:27], exec
	s_and_b64 vcc, vcc, exec
	s_or_b64 s[26:27], s[26:27], vcc
	s_andn2_b64 s[4:5], s[4:5], exec
	s_and_b64 vcc, s[34:35], exec
	s_or_b64 s[4:5], s[4:5], vcc
.LBB47_5155:
	s_or_b64 exec, exec, s[28:29]
	s_andn2_b64 s[28:29], s[14:15], exec
	s_and_b64 s[26:27], s[26:27], exec
	s_or_b64 s[26:27], s[28:29], s[26:27]
	s_and_b64 s[4:5], s[4:5], exec
                                        ; implicit-def: $vgpr86
                                        ; implicit-def: $vgpr2_vgpr3
	s_andn2_saveexec_b64 s[18:19], s[18:19]
	s_cbranch_execz .LBB47_3867
.LBB47_5156:
	v_mov_b32_e32 v1, 4
	v_cmp_gt_i16_sdwa s[28:29], v11, v1 src0_sel:BYTE_0 src1_sel:DWORD
	s_and_saveexec_b64 vcc, s[28:29]
	s_xor_b64 s[28:29], exec, vcc
	s_cbranch_execz .LBB47_5178
; %bb.5157:
	v_mov_b32_e32 v1, 7
	v_cmp_gt_i16_sdwa vcc, v11, v1 src0_sel:BYTE_0 src1_sel:DWORD
	s_and_saveexec_b64 s[30:31], vcc
	s_xor_b64 vcc, exec, s[30:31]
	s_cbranch_execz .LBB47_5167
; %bb.5158:
	v_mov_b32_e32 v1, 8
	v_cmp_gt_i16_sdwa s[30:31], v11, v1 src0_sel:BYTE_0 src1_sel:DWORD
	s_and_saveexec_b64 s[34:35], s[30:31]
	s_xor_b64 s[30:31], exec, s[34:35]
	s_cbranch_execz .LBB47_5164
; %bb.5159:
	v_mov_b32_e32 v1, 9
	v_cmp_gt_i16_sdwa s[34:35], v11, v1 src0_sel:BYTE_0 src1_sel:DWORD
	s_and_saveexec_b64 s[36:37], s[34:35]
	s_xor_b64 s[34:35], exec, s[36:37]
	s_cbranch_execz .LBB47_5161
; %bb.5160:
	v_mov_b32_e32 v98, 0
	v_cvt_f64_f32_e32 v[96:97], v86
	v_mov_b32_e32 v99, v98
	flat_store_dwordx4 v[2:3], v[96:99]
                                        ; implicit-def: $vgpr86
                                        ; implicit-def: $vgpr2_vgpr3
.LBB47_5161:
	s_andn2_saveexec_b64 s[34:35], s[34:35]
	s_cbranch_execz .LBB47_5163
; %bb.5162:
	v_mov_b32_e32 v87, 0
	flat_store_dwordx2 v[2:3], v[86:87]
.LBB47_5163:
	s_or_b64 exec, exec, s[34:35]
                                        ; implicit-def: $vgpr86
                                        ; implicit-def: $vgpr2_vgpr3
.LBB47_5164:
	s_andn2_saveexec_b64 s[30:31], s[30:31]
	s_cbranch_execz .LBB47_5166
; %bb.5165:
	v_cvt_f16_f32_e32 v1, v86
	flat_store_dword v[2:3], v1
.LBB47_5166:
	s_or_b64 exec, exec, s[30:31]
                                        ; implicit-def: $vgpr86
                                        ; implicit-def: $vgpr2_vgpr3
.LBB47_5167:
	s_andn2_saveexec_b64 vcc, vcc
	s_cbranch_execz .LBB47_5177
; %bb.5168:
	v_mov_b32_e32 v1, 5
	v_cmp_gt_i16_sdwa s[30:31], v11, v1 src0_sel:BYTE_0 src1_sel:DWORD
	s_and_saveexec_b64 s[34:35], s[30:31]
	s_xor_b64 s[30:31], exec, s[34:35]
	s_cbranch_execz .LBB47_5174
; %bb.5169:
	v_mov_b32_e32 v1, 6
	v_cmp_gt_i16_sdwa s[34:35], v11, v1 src0_sel:BYTE_0 src1_sel:DWORD
	s_and_saveexec_b64 s[36:37], s[34:35]
	s_xor_b64 s[34:35], exec, s[36:37]
	s_cbranch_execz .LBB47_5171
; %bb.5170:
	v_cvt_f64_f32_e32 v[4:5], v86
	flat_store_dwordx2 v[2:3], v[4:5]
                                        ; implicit-def: $vgpr2_vgpr3
                                        ; implicit-def: $vgpr86
.LBB47_5171:
	s_andn2_saveexec_b64 s[34:35], s[34:35]
	s_cbranch_execz .LBB47_5173
; %bb.5172:
	flat_store_dword v[2:3], v86
.LBB47_5173:
	s_or_b64 exec, exec, s[34:35]
                                        ; implicit-def: $vgpr86
                                        ; implicit-def: $vgpr2_vgpr3
.LBB47_5174:
	s_andn2_saveexec_b64 s[30:31], s[30:31]
	s_cbranch_execz .LBB47_5176
; %bb.5175:
	v_cvt_f16_f32_e32 v1, v86
	flat_store_short v[2:3], v1
.LBB47_5176:
	s_or_b64 exec, exec, s[30:31]
.LBB47_5177:
	s_or_b64 exec, exec, vcc
                                        ; implicit-def: $vgpr86
                                        ; implicit-def: $vgpr2_vgpr3
.LBB47_5178:
	s_andn2_saveexec_b64 s[28:29], s[28:29]
	s_cbranch_execz .LBB47_5196
; %bb.5179:
	v_mov_b32_e32 v1, 1
	v_cmp_gt_i16_sdwa vcc, v11, v1 src0_sel:BYTE_0 src1_sel:DWORD
	s_and_saveexec_b64 s[30:31], vcc
	s_xor_b64 s[30:31], exec, s[30:31]
	s_cbranch_execz .LBB47_5189
; %bb.5180:
	v_mov_b32_e32 v1, 2
	v_cmp_gt_i16_sdwa vcc, v11, v1 src0_sel:BYTE_0 src1_sel:DWORD
	s_and_saveexec_b64 s[34:35], vcc
	s_xor_b64 s[34:35], exec, s[34:35]
	;; [unrolled: 6-line block ×3, first 2 shown]
	s_cbranch_execz .LBB47_5183
; %bb.5182:
	v_trunc_f32_e32 v1, v86
	s_mov_b32 s38, 0x2f800000
	v_mul_f32_e64 v4, |v1|, s38
	v_floor_f32_e32 v4, v4
	s_mov_b32 s38, 0xcf800000
	v_cvt_u32_f32_e32 v5, v4
	v_fma_f32 v4, v4, s38, |v1|
	v_cvt_u32_f32_e32 v4, v4
	v_ashrrev_i32_e32 v1, 31, v1
	v_xor_b32_e32 v5, v5, v1
                                        ; implicit-def: $vgpr86
	v_xor_b32_e32 v4, v4, v1
	v_sub_co_u32_e32 v4, vcc, v4, v1
	v_subb_co_u32_e32 v5, vcc, v5, v1, vcc
	flat_store_dwordx2 v[2:3], v[4:5]
                                        ; implicit-def: $vgpr2_vgpr3
.LBB47_5183:
	s_andn2_saveexec_b64 vcc, s[36:37]
	s_cbranch_execz .LBB47_5185
; %bb.5184:
	v_cvt_i32_f32_e32 v1, v86
	flat_store_dword v[2:3], v1
.LBB47_5185:
	s_or_b64 exec, exec, vcc
                                        ; implicit-def: $vgpr86
                                        ; implicit-def: $vgpr2_vgpr3
.LBB47_5186:
	s_andn2_saveexec_b64 vcc, s[34:35]
	s_cbranch_execz .LBB47_5188
; %bb.5187:
	v_cvt_i32_f32_e32 v1, v86
	flat_store_short v[2:3], v1
.LBB47_5188:
	s_or_b64 exec, exec, vcc
                                        ; implicit-def: $vgpr86
                                        ; implicit-def: $vgpr2_vgpr3
.LBB47_5189:
	s_andn2_saveexec_b64 vcc, s[30:31]
	s_cbranch_execz .LBB47_5195
; %bb.5190:
	v_mov_b32_e32 v1, 0
	v_cmp_gt_i16_sdwa s[30:31], v11, v1 src0_sel:BYTE_0 src1_sel:DWORD
	s_and_saveexec_b64 s[34:35], s[30:31]
	s_xor_b64 s[30:31], exec, s[34:35]
	s_cbranch_execz .LBB47_5192
; %bb.5191:
	v_cvt_i32_f32_e32 v1, v86
                                        ; implicit-def: $vgpr86
	flat_store_byte v[2:3], v1
                                        ; implicit-def: $vgpr2_vgpr3
.LBB47_5192:
	s_andn2_saveexec_b64 s[30:31], s[30:31]
	s_cbranch_execz .LBB47_5194
; %bb.5193:
	v_trunc_f32_e32 v1, v86
	s_mov_b32 s34, 0x2f800000
	v_mul_f32_e64 v4, |v1|, s34
	v_floor_f32_e32 v4, v4
	s_mov_b32 s34, 0xcf800000
	v_fma_f32 v4, v4, s34, |v1|
	v_cvt_u32_f32_e32 v4, v4
	v_ashrrev_i32_e32 v1, 31, v1
	v_xor_b32_e32 v4, v4, v1
	v_sub_u32_e32 v1, v4, v1
	flat_store_byte v[2:3], v1
.LBB47_5194:
	s_or_b64 exec, exec, s[30:31]
.LBB47_5195:
	s_or_b64 exec, exec, vcc
.LBB47_5196:
	s_or_b64 exec, exec, s[28:29]
	s_or_b64 s[4:5], s[4:5], exec
	s_or_b64 exec, exec, s[18:19]
	s_mov_b64 s[28:29], 0
	s_and_saveexec_b64 s[18:19], s[4:5]
	s_cbranch_execnz .LBB47_3868
	s_branch .LBB47_3869
.LBB47_5197:
	v_mov_b32_e32 v1, 25
	v_cmp_gt_i16_sdwa vcc, v11, v1 src0_sel:BYTE_0 src1_sel:DWORD
	s_mov_b64 s[30:31], s[18:19]
	s_and_saveexec_b64 s[34:35], vcc
	s_xor_b64 s[34:35], exec, s[34:35]
	s_cbranch_execz .LBB47_5233
; %bb.5198:
	v_mov_b32_e32 v1, 28
	v_cmp_gt_i16_sdwa vcc, v11, v1 src0_sel:BYTE_0 src1_sel:DWORD
	s_mov_b64 s[36:37], s[18:19]
	s_and_saveexec_b64 s[30:31], vcc
	s_xor_b64 s[30:31], exec, s[30:31]
	s_cbranch_execz .LBB47_5216
; %bb.5199:
	v_mov_b32_e32 v1, 43
	v_cmp_gt_i16_sdwa s[36:37], v11, v1 src0_sel:BYTE_0 src1_sel:DWORD
	s_mov_b64 vcc, s[18:19]
	s_and_saveexec_b64 s[38:39], s[36:37]
	s_xor_b64 s[36:37], exec, s[38:39]
	s_cbranch_execz .LBB47_5211
; %bb.5200:
	v_mov_b32_e32 v1, 45
	v_cmp_gt_i16_sdwa s[4:5], v11, v1 src0_sel:BYTE_0 src1_sel:DWORD
	s_mov_b64 s[38:39], 0
	s_mov_b64 s[40:41], s[18:19]
	s_and_saveexec_b64 vcc, s[4:5]
	s_xor_b64 s[4:5], exec, vcc
	s_cbranch_execz .LBB47_5204
; %bb.5201:
	v_mov_b32_e32 v1, 46
	v_cmp_eq_u16_sdwa s[42:43], v11, v1 src0_sel:BYTE_0 src1_sel:DWORD
	s_mov_b64 vcc, -1
	s_and_saveexec_b64 s[40:41], s[42:43]
	s_cbranch_execz .LBB47_5203
; %bb.5202:
	v_bfe_u32 v1, v84, 16, 1
	s_movk_i32 vcc_lo, 0x7fff
	v_add3_u32 v1, v84, v1, vcc_lo
	v_lshrrev_b32_e32 v1, 16, v1
	v_mov_b32_e32 v4, 0x7fc0
	v_cmp_o_f32_e32 vcc, v84, v84
	v_cndmask_b32_e32 v1, v4, v1, vcc
	s_mov_b64 s[38:39], exec
	flat_store_dword v[2:3], v1
	s_xor_b64 vcc, exec, -1
.LBB47_5203:
	s_or_b64 exec, exec, s[40:41]
	s_andn2_b64 s[40:41], s[18:19], exec
	s_and_b64 vcc, vcc, exec
	s_or_b64 s[40:41], s[40:41], vcc
	s_and_b64 s[38:39], s[38:39], exec
                                        ; implicit-def: $vgpr2_vgpr3
                                        ; implicit-def: $vgpr84
.LBB47_5204:
	s_andn2_saveexec_b64 s[42:43], s[4:5]
	s_cbranch_execz .LBB47_5210
; %bb.5205:
	v_mov_b32_e32 v1, 44
	v_cmp_eq_u16_sdwa s[46:47], v11, v1 src0_sel:BYTE_0 src1_sel:DWORD
	s_mov_b64 vcc, -1
	s_mov_b64 s[4:5], s[38:39]
	s_and_saveexec_b64 s[44:45], s[46:47]
	s_cbranch_execz .LBB47_5209
; %bb.5206:
	v_bfe_u32 v1, v84, 23, 8
	s_movk_i32 s4, 0xff
	v_cmp_ne_u32_e32 vcc, s4, v1
	v_mov_b32_e32 v4, 0xff
	s_and_saveexec_b64 s[46:47], vcc
; %bb.5207:
	s_mov_b32 s4, 0x3fffff
	v_and_b32_e32 v5, 0x400000, v84
	v_and_or_b32 v1, v84, s4, v1
	v_cmp_ne_u32_e32 vcc, 0, v5
	v_cmp_ne_u32_e64 s[4:5], 0, v1
	s_and_b64 s[4:5], vcc, s[4:5]
	v_lshrrev_b32_e32 v4, 23, v84
	v_cndmask_b32_e64 v1, 0, 1, s[4:5]
	v_add_u32_e32 v4, v4, v1
; %bb.5208:
	s_or_b64 exec, exec, s[46:47]
	s_xor_b64 vcc, exec, -1
	s_or_b64 s[4:5], s[38:39], exec
	flat_store_byte v[2:3], v4
.LBB47_5209:
	s_or_b64 exec, exec, s[44:45]
	s_andn2_b64 s[40:41], s[40:41], exec
	s_and_b64 vcc, vcc, exec
	s_or_b64 s[40:41], s[40:41], vcc
	s_andn2_b64 vcc, s[38:39], exec
	s_and_b64 s[4:5], s[4:5], exec
	s_or_b64 s[38:39], vcc, s[4:5]
.LBB47_5210:
	s_or_b64 exec, exec, s[42:43]
	s_andn2_b64 s[4:5], s[18:19], exec
	s_and_b64 vcc, s[40:41], exec
	s_or_b64 vcc, s[4:5], vcc
	s_and_b64 s[4:5], s[38:39], exec
                                        ; implicit-def: $vgpr84
                                        ; implicit-def: $vgpr2_vgpr3
.LBB47_5211:
	s_andn2_saveexec_b64 s[36:37], s[36:37]
	s_cbranch_execz .LBB47_5215
; %bb.5212:
	v_mov_b32_e32 v1, 29
	v_cmp_eq_u16_sdwa s[44:45], v11, v1 src0_sel:BYTE_0 src1_sel:DWORD
	s_mov_b64 s[42:43], -1
	s_mov_b64 s[40:41], s[4:5]
	s_and_saveexec_b64 s[38:39], s[44:45]
	s_cbranch_execz .LBB47_5214
; %bb.5213:
	v_trunc_f32_e32 v1, v84
	v_mul_f32_e32 v4, 0x2f800000, v1
	v_floor_f32_e32 v4, v4
	v_fmac_f32_e32 v1, 0xcf800000, v4
	v_cvt_u32_f32_e32 v5, v4
	v_cvt_u32_f32_e32 v4, v1
	s_xor_b64 s[42:43], exec, -1
	s_or_b64 s[40:41], s[4:5], exec
	flat_store_dwordx2 v[2:3], v[4:5]
.LBB47_5214:
	s_or_b64 exec, exec, s[38:39]
	s_andn2_b64 vcc, vcc, exec
	s_and_b64 s[38:39], s[42:43], exec
	s_or_b64 vcc, vcc, s[38:39]
	s_andn2_b64 s[4:5], s[4:5], exec
	s_and_b64 s[38:39], s[40:41], exec
	s_or_b64 s[4:5], s[4:5], s[38:39]
.LBB47_5215:
	s_or_b64 exec, exec, s[36:37]
	s_andn2_b64 s[36:37], s[18:19], exec
	s_and_b64 vcc, vcc, exec
	s_or_b64 s[36:37], s[36:37], vcc
	s_and_b64 s[4:5], s[4:5], exec
                                        ; implicit-def: $vgpr2_vgpr3
                                        ; implicit-def: $vgpr84
.LBB47_5216:
	s_andn2_saveexec_b64 s[30:31], s[30:31]
	s_cbranch_execz .LBB47_5232
; %bb.5217:
	v_mov_b32_e32 v1, 26
	v_cmp_gt_i16_sdwa vcc, v11, v1 src0_sel:BYTE_0 src1_sel:DWORD
	s_and_saveexec_b64 s[38:39], vcc
	s_xor_b64 vcc, exec, s[38:39]
	s_cbranch_execz .LBB47_5223
; %bb.5218:
	v_cvt_u32_f32_e32 v1, v84
	v_mov_b32_e32 v4, 27
	v_cmp_gt_i16_sdwa s[38:39], v11, v4 src0_sel:BYTE_0 src1_sel:DWORD
	s_and_saveexec_b64 s[40:41], s[38:39]
	s_xor_b64 s[38:39], exec, s[40:41]
	s_cbranch_execz .LBB47_5220
; %bb.5219:
	flat_store_dword v[2:3], v1
                                        ; implicit-def: $vgpr2_vgpr3
                                        ; implicit-def: $vgpr1
.LBB47_5220:
	s_andn2_saveexec_b64 s[38:39], s[38:39]
	s_cbranch_execz .LBB47_5222
; %bb.5221:
	flat_store_short v[2:3], v1
.LBB47_5222:
	s_or_b64 exec, exec, s[38:39]
                                        ; implicit-def: $vgpr2_vgpr3
                                        ; implicit-def: $vgpr84
.LBB47_5223:
	s_andn2_saveexec_b64 s[38:39], vcc
	s_cbranch_execz .LBB47_5231
; %bb.5224:
	v_and_b32_e32 v1, 0x7fffffff, v84
	s_mov_b32 vcc_lo, 0x43800000
	v_cmp_gt_u32_e32 vcc, vcc_lo, v1
	v_mov_b32_e32 v4, 0x80
	s_and_saveexec_b64 s[40:41], vcc
	s_cbranch_execz .LBB47_5230
; %bb.5225:
	s_mov_b32 vcc_lo, 0x3bffffff
	v_cmp_lt_u32_e32 vcc, vcc_lo, v1
	s_mov_b64 s[42:43], 0
                                        ; implicit-def: $vgpr1
	s_and_saveexec_b64 s[44:45], vcc
	s_xor_b64 vcc, exec, s[44:45]
	s_cbranch_execnz .LBB47_5945
; %bb.5226:
	s_or_saveexec_b64 s[44:45], vcc
                                        ; implicit-def: $sgpr46
	s_xor_b64 exec, exec, s[44:45]
	s_cbranch_execnz .LBB47_5946
.LBB47_5227:
	s_or_b64 exec, exec, s[44:45]
	v_mov_b32_e32 v4, s46
	s_and_saveexec_b64 vcc, s[42:43]
.LBB47_5228:
	v_lshrrev_b32_e32 v4, 24, v84
	s_movk_i32 s42, 0x80
	v_and_or_b32 v4, v4, s42, v1
.LBB47_5229:
	s_or_b64 exec, exec, vcc
.LBB47_5230:
	s_or_b64 exec, exec, s[40:41]
	flat_store_byte v[2:3], v4
.LBB47_5231:
	s_or_b64 exec, exec, s[38:39]
	s_or_b64 s[4:5], s[4:5], exec
.LBB47_5232:
	s_or_b64 exec, exec, s[30:31]
	s_andn2_b64 vcc, s[18:19], exec
	s_and_b64 s[30:31], s[36:37], exec
	s_or_b64 s[30:31], vcc, s[30:31]
	s_and_b64 s[4:5], s[4:5], exec
                                        ; implicit-def: $vgpr84
                                        ; implicit-def: $vgpr2_vgpr3
.LBB47_5233:
	s_andn2_saveexec_b64 s[34:35], s[34:35]
	s_cbranch_execz .LBB47_5277
; %bb.5234:
	v_mov_b32_e32 v1, 22
	v_cmp_gt_i16_sdwa vcc, v11, v1 src0_sel:BYTE_0 src1_sel:DWORD
	s_mov_b64 s[38:39], s[4:5]
	s_and_saveexec_b64 s[36:37], vcc
	s_xor_b64 s[36:37], exec, s[36:37]
	s_cbranch_execz .LBB47_5266
; %bb.5235:
	v_mov_b32_e32 v1, 23
	v_cmp_gt_i16_sdwa vcc, v11, v1 src0_sel:BYTE_0 src1_sel:DWORD
	s_and_saveexec_b64 s[38:39], vcc
	s_xor_b64 s[38:39], exec, s[38:39]
	s_cbranch_execz .LBB47_5255
; %bb.5236:
	v_mov_b32_e32 v1, 24
	v_cmp_gt_i16_sdwa vcc, v11, v1 src0_sel:BYTE_0 src1_sel:DWORD
	s_and_saveexec_b64 s[40:41], vcc
	s_xor_b64 s[40:41], exec, s[40:41]
	s_cbranch_execz .LBB47_5244
; %bb.5237:
	v_and_b32_e32 v1, 0x7fffffff, v84
	s_mov_b32 vcc_lo, 0x47800000
	v_cmp_gt_u32_e32 vcc, vcc_lo, v1
	v_mov_b32_e32 v4, 0x80
	s_and_saveexec_b64 s[42:43], vcc
	s_cbranch_execz .LBB47_5243
; %bb.5238:
	s_mov_b32 vcc_lo, 0x37ffffff
	v_cmp_lt_u32_e32 vcc, vcc_lo, v1
	s_mov_b64 s[44:45], 0
                                        ; implicit-def: $vgpr1
	s_and_saveexec_b64 s[46:47], vcc
	s_xor_b64 vcc, exec, s[46:47]
	s_cbranch_execnz .LBB47_6069
; %bb.5239:
	s_or_saveexec_b64 s[46:47], vcc
                                        ; implicit-def: $sgpr48
	s_xor_b64 exec, exec, s[46:47]
	s_cbranch_execnz .LBB47_6070
.LBB47_5240:
	s_or_b64 exec, exec, s[46:47]
	v_mov_b32_e32 v4, s48
	s_and_saveexec_b64 vcc, s[44:45]
.LBB47_5241:
	v_lshrrev_b32_e32 v4, 24, v84
	s_movk_i32 s44, 0x80
	v_and_or_b32 v4, v4, s44, v1
.LBB47_5242:
	s_or_b64 exec, exec, vcc
.LBB47_5243:
	s_or_b64 exec, exec, s[42:43]
	flat_store_byte v[2:3], v4
                                        ; implicit-def: $vgpr84
                                        ; implicit-def: $vgpr2_vgpr3
.LBB47_5244:
	s_andn2_saveexec_b64 s[40:41], s[40:41]
	s_cbranch_execz .LBB47_5254
; %bb.5245:
	v_and_b32_e32 v4, 0x7fffffff, v84
	s_mov_b32 vcc_lo, 0x43f00000
	v_cmp_gt_u32_e32 vcc, vcc_lo, v4
                                        ; implicit-def: $vgpr1
	s_and_saveexec_b64 s[42:43], vcc
	s_xor_b64 s[42:43], exec, s[42:43]
	s_cbranch_execz .LBB47_5251
; %bb.5246:
	s_mov_b32 vcc_lo, 0x3c7fffff
	v_cmp_lt_u32_e32 vcc, vcc_lo, v4
                                        ; implicit-def: $vgpr1
	s_and_saveexec_b64 s[44:45], vcc
	s_xor_b64 s[44:45], exec, s[44:45]
; %bb.5247:
	v_bfe_u32 v1, v84, 20, 1
	s_mov_b32 vcc_lo, 0x407ffff
	v_add3_u32 v1, v84, v1, vcc_lo
	v_lshrrev_b32_e32 v4, 20, v1
	v_and_b32_e32 v1, 0xff00000, v1
	s_mov_b32 vcc_lo, 0x7f00000
	v_mov_b32_e32 v5, 0x7e
	v_cmp_ne_u32_e32 vcc, vcc_lo, v1
	v_cndmask_b32_e32 v1, v5, v4, vcc
; %bb.5248:
	s_andn2_saveexec_b64 vcc, s[44:45]
; %bb.5249:
	s_mov_b32 s44, 0x46800000
	v_add_f32_e64 v1, |v84|, s44
; %bb.5250:
	s_or_b64 exec, exec, vcc
                                        ; implicit-def: $vgpr4
.LBB47_5251:
	s_andn2_saveexec_b64 s[42:43], s[42:43]
; %bb.5252:
	s_mov_b32 vcc_lo, 0x7f800000
	v_mov_b32_e32 v1, 0x7e
	v_mov_b32_e32 v5, 0x7f
	v_cmp_lt_u32_e32 vcc, vcc_lo, v4
	v_cndmask_b32_e32 v1, v1, v5, vcc
; %bb.5253:
	s_or_b64 exec, exec, s[42:43]
	v_lshrrev_b32_e32 v4, 24, v84
	s_movk_i32 vcc_lo, 0x80
	v_and_or_b32 v1, v4, vcc_lo, v1
	flat_store_byte v[2:3], v1
.LBB47_5254:
	s_or_b64 exec, exec, s[40:41]
                                        ; implicit-def: $vgpr84
                                        ; implicit-def: $vgpr2_vgpr3
.LBB47_5255:
	s_andn2_saveexec_b64 s[38:39], s[38:39]
	s_cbranch_execz .LBB47_5265
; %bb.5256:
	v_and_b32_e32 v4, 0x7fffffff, v84
	s_mov_b32 vcc_lo, 0x47800000
	v_cmp_gt_u32_e32 vcc, vcc_lo, v4
                                        ; implicit-def: $vgpr1
	s_and_saveexec_b64 s[40:41], vcc
	s_xor_b64 s[40:41], exec, s[40:41]
	s_cbranch_execz .LBB47_5262
; %bb.5257:
	s_mov_b32 vcc_lo, 0x387fffff
	v_cmp_lt_u32_e32 vcc, vcc_lo, v4
                                        ; implicit-def: $vgpr1
	s_and_saveexec_b64 s[42:43], vcc
	s_xor_b64 vcc, exec, s[42:43]
; %bb.5258:
	v_bfe_u32 v1, v84, 21, 1
	s_mov_b32 s42, 0x80fffff
	v_add3_u32 v1, v84, v1, s42
	v_lshrrev_b32_e32 v1, 21, v1
; %bb.5259:
	s_andn2_saveexec_b64 vcc, vcc
; %bb.5260:
	s_mov_b32 s42, 0x43000000
	v_add_f32_e64 v1, |v84|, s42
; %bb.5261:
	s_or_b64 exec, exec, vcc
                                        ; implicit-def: $vgpr4
.LBB47_5262:
	s_andn2_saveexec_b64 s[40:41], s[40:41]
; %bb.5263:
	s_mov_b32 vcc_lo, 0x7f800000
	v_mov_b32_e32 v1, 0x7c
	v_mov_b32_e32 v5, 0x7f
	v_cmp_lt_u32_e32 vcc, vcc_lo, v4
	v_cndmask_b32_e32 v1, v1, v5, vcc
; %bb.5264:
	s_or_b64 exec, exec, s[40:41]
	v_lshrrev_b32_e32 v4, 24, v84
	s_movk_i32 vcc_lo, 0x80
	v_and_or_b32 v1, v4, vcc_lo, v1
	flat_store_byte v[2:3], v1
.LBB47_5265:
	s_or_b64 exec, exec, s[38:39]
	s_or_b64 s[38:39], s[4:5], exec
                                        ; implicit-def: $vgpr84
                                        ; implicit-def: $vgpr2_vgpr3
.LBB47_5266:
	s_or_saveexec_b64 s[36:37], s[36:37]
	s_mov_b64 vcc, s[30:31]
	s_xor_b64 exec, exec, s[36:37]
	s_cbranch_execz .LBB47_5276
; %bb.5267:
	v_mov_b32_e32 v1, 14
	v_cmp_gt_i16_sdwa vcc, v11, v1 src0_sel:BYTE_0 src1_sel:DWORD
	s_mov_b64 s[40:41], s[38:39]
	s_mov_b64 s[42:43], s[30:31]
	s_and_saveexec_b64 s[44:45], vcc
	s_xor_b64 s[44:45], exec, s[44:45]
	s_cbranch_execz .LBB47_5271
; %bb.5268:
	v_mov_b32_e32 v1, 15
	v_cmp_eq_u16_sdwa s[46:47], v11, v1 src0_sel:BYTE_0 src1_sel:DWORD
	s_mov_b64 s[42:43], -1
	s_mov_b64 vcc, s[38:39]
	s_and_saveexec_b64 s[40:41], s[46:47]
	s_cbranch_execz .LBB47_5270
; %bb.5269:
	v_bfe_u32 v1, v84, 16, 1
	s_movk_i32 vcc_lo, 0x7fff
	v_add3_u32 v1, v84, v1, vcc_lo
	v_lshrrev_b32_e32 v1, 16, v1
	v_mov_b32_e32 v4, 0x7fc0
	v_cmp_o_f32_e32 vcc, v84, v84
	v_cndmask_b32_e32 v1, v4, v1, vcc
	flat_store_short v[2:3], v1
	s_xor_b64 s[42:43], exec, -1
	s_or_b64 vcc, s[38:39], exec
.LBB47_5270:
	s_or_b64 exec, exec, s[40:41]
	s_andn2_b64 s[40:41], s[30:31], exec
	s_and_b64 s[42:43], s[42:43], exec
	s_or_b64 s[42:43], s[40:41], s[42:43]
	s_andn2_b64 s[40:41], s[38:39], exec
	s_and_b64 vcc, vcc, exec
	s_or_b64 s[40:41], s[40:41], vcc
                                        ; implicit-def: $vgpr84
                                        ; implicit-def: $vgpr2_vgpr3
.LBB47_5271:
	s_andn2_saveexec_b64 s[44:45], s[44:45]
	s_cbranch_execz .LBB47_5275
; %bb.5272:
	v_mov_b32_e32 v1, 11
	v_cmp_eq_u16_sdwa s[50:51], v11, v1 src0_sel:BYTE_0 src1_sel:DWORD
	s_mov_b64 s[46:47], -1
	s_mov_b64 vcc, s[40:41]
	s_and_saveexec_b64 s[48:49], s[50:51]
	s_cbranch_execz .LBB47_5274
; %bb.5273:
	v_cmp_neq_f32_e32 vcc, 0, v84
	v_cndmask_b32_e64 v1, 0, 1, vcc
	flat_store_byte v[2:3], v1
	s_xor_b64 s[46:47], exec, -1
	s_or_b64 vcc, s[40:41], exec
.LBB47_5274:
	s_or_b64 exec, exec, s[48:49]
	s_andn2_b64 s[42:43], s[42:43], exec
	s_and_b64 s[46:47], s[46:47], exec
	s_andn2_b64 s[40:41], s[40:41], exec
	s_and_b64 vcc, vcc, exec
	s_or_b64 s[42:43], s[42:43], s[46:47]
	s_or_b64 s[40:41], s[40:41], vcc
.LBB47_5275:
	s_or_b64 exec, exec, s[44:45]
	s_andn2_b64 vcc, s[30:31], exec
	s_and_b64 s[42:43], s[42:43], exec
	s_andn2_b64 s[38:39], s[38:39], exec
	s_and_b64 s[40:41], s[40:41], exec
	s_or_b64 vcc, vcc, s[42:43]
	s_or_b64 s[38:39], s[38:39], s[40:41]
.LBB47_5276:
	s_or_b64 exec, exec, s[36:37]
	s_andn2_b64 s[30:31], s[30:31], exec
	s_and_b64 vcc, vcc, exec
	s_or_b64 s[30:31], s[30:31], vcc
	s_andn2_b64 s[4:5], s[4:5], exec
	s_and_b64 vcc, s[38:39], exec
	s_or_b64 s[4:5], s[4:5], vcc
.LBB47_5277:
	s_or_b64 exec, exec, s[34:35]
	s_andn2_b64 vcc, s[18:19], exec
	s_and_b64 s[30:31], s[30:31], exec
	s_or_b64 s[30:31], vcc, s[30:31]
	s_and_b64 s[4:5], s[4:5], exec
                                        ; implicit-def: $vgpr84
                                        ; implicit-def: $vgpr2_vgpr3
	s_andn2_saveexec_b64 s[26:27], s[26:27]
	s_cbranch_execz .LBB47_3874
.LBB47_5278:
	v_mov_b32_e32 v1, 4
	v_cmp_gt_i16_sdwa vcc, v11, v1 src0_sel:BYTE_0 src1_sel:DWORD
	s_and_saveexec_b64 s[34:35], vcc
	s_xor_b64 vcc, exec, s[34:35]
	s_cbranch_execz .LBB47_5300
; %bb.5279:
	v_mov_b32_e32 v1, 7
	v_cmp_gt_i16_sdwa s[34:35], v11, v1 src0_sel:BYTE_0 src1_sel:DWORD
	s_and_saveexec_b64 s[36:37], s[34:35]
	s_xor_b64 s[34:35], exec, s[36:37]
	s_cbranch_execz .LBB47_5289
; %bb.5280:
	v_mov_b32_e32 v1, 8
	v_cmp_gt_i16_sdwa s[36:37], v11, v1 src0_sel:BYTE_0 src1_sel:DWORD
	s_and_saveexec_b64 s[38:39], s[36:37]
	s_xor_b64 s[36:37], exec, s[38:39]
	;; [unrolled: 6-line block ×3, first 2 shown]
	s_cbranch_execz .LBB47_5283
; %bb.5282:
	v_mov_b32_e32 v86, 0
	v_cvt_f64_f32_e32 v[84:85], v84
	v_mov_b32_e32 v87, v86
	flat_store_dwordx4 v[2:3], v[84:87]
                                        ; implicit-def: $vgpr84
                                        ; implicit-def: $vgpr2_vgpr3
.LBB47_5283:
	s_andn2_saveexec_b64 s[38:39], s[38:39]
	s_cbranch_execz .LBB47_5285
; %bb.5284:
	v_mov_b32_e32 v85, 0
	flat_store_dwordx2 v[2:3], v[84:85]
.LBB47_5285:
	s_or_b64 exec, exec, s[38:39]
                                        ; implicit-def: $vgpr84
                                        ; implicit-def: $vgpr2_vgpr3
.LBB47_5286:
	s_andn2_saveexec_b64 s[36:37], s[36:37]
	s_cbranch_execz .LBB47_5288
; %bb.5287:
	v_cvt_f16_f32_e32 v1, v84
	flat_store_dword v[2:3], v1
.LBB47_5288:
	s_or_b64 exec, exec, s[36:37]
                                        ; implicit-def: $vgpr84
                                        ; implicit-def: $vgpr2_vgpr3
.LBB47_5289:
	s_andn2_saveexec_b64 s[34:35], s[34:35]
	s_cbranch_execz .LBB47_5299
; %bb.5290:
	v_mov_b32_e32 v1, 5
	v_cmp_gt_i16_sdwa s[36:37], v11, v1 src0_sel:BYTE_0 src1_sel:DWORD
	s_and_saveexec_b64 s[38:39], s[36:37]
	s_xor_b64 s[36:37], exec, s[38:39]
	s_cbranch_execz .LBB47_5296
; %bb.5291:
	v_mov_b32_e32 v1, 6
	v_cmp_gt_i16_sdwa s[38:39], v11, v1 src0_sel:BYTE_0 src1_sel:DWORD
	s_and_saveexec_b64 s[40:41], s[38:39]
	s_xor_b64 s[38:39], exec, s[40:41]
	s_cbranch_execz .LBB47_5293
; %bb.5292:
	v_cvt_f64_f32_e32 v[4:5], v84
	flat_store_dwordx2 v[2:3], v[4:5]
                                        ; implicit-def: $vgpr2_vgpr3
                                        ; implicit-def: $vgpr84
.LBB47_5293:
	s_andn2_saveexec_b64 s[38:39], s[38:39]
	s_cbranch_execz .LBB47_5295
; %bb.5294:
	flat_store_dword v[2:3], v84
.LBB47_5295:
	s_or_b64 exec, exec, s[38:39]
                                        ; implicit-def: $vgpr84
                                        ; implicit-def: $vgpr2_vgpr3
.LBB47_5296:
	s_andn2_saveexec_b64 s[36:37], s[36:37]
	s_cbranch_execz .LBB47_5298
; %bb.5297:
	v_cvt_f16_f32_e32 v1, v84
	flat_store_short v[2:3], v1
.LBB47_5298:
	s_or_b64 exec, exec, s[36:37]
.LBB47_5299:
	s_or_b64 exec, exec, s[34:35]
                                        ; implicit-def: $vgpr84
                                        ; implicit-def: $vgpr2_vgpr3
.LBB47_5300:
	s_andn2_saveexec_b64 s[34:35], vcc
	s_cbranch_execz .LBB47_5318
; %bb.5301:
	v_mov_b32_e32 v1, 1
	v_cmp_gt_i16_sdwa vcc, v11, v1 src0_sel:BYTE_0 src1_sel:DWORD
	s_and_saveexec_b64 s[36:37], vcc
	s_xor_b64 s[36:37], exec, s[36:37]
	s_cbranch_execz .LBB47_5311
; %bb.5302:
	v_mov_b32_e32 v1, 2
	v_cmp_gt_i16_sdwa vcc, v11, v1 src0_sel:BYTE_0 src1_sel:DWORD
	s_and_saveexec_b64 s[38:39], vcc
	s_xor_b64 s[38:39], exec, s[38:39]
	;; [unrolled: 6-line block ×3, first 2 shown]
	s_cbranch_execz .LBB47_5305
; %bb.5304:
	v_trunc_f32_e32 v1, v84
	s_mov_b32 s42, 0x2f800000
	v_mul_f32_e64 v4, |v1|, s42
	v_floor_f32_e32 v4, v4
	s_mov_b32 s42, 0xcf800000
	v_cvt_u32_f32_e32 v5, v4
	v_fma_f32 v4, v4, s42, |v1|
	v_cvt_u32_f32_e32 v4, v4
	v_ashrrev_i32_e32 v1, 31, v1
	v_xor_b32_e32 v5, v5, v1
                                        ; implicit-def: $vgpr84
	v_xor_b32_e32 v4, v4, v1
	v_sub_co_u32_e32 v4, vcc, v4, v1
	v_subb_co_u32_e32 v5, vcc, v5, v1, vcc
	flat_store_dwordx2 v[2:3], v[4:5]
                                        ; implicit-def: $vgpr2_vgpr3
.LBB47_5305:
	s_andn2_saveexec_b64 vcc, s[40:41]
	s_cbranch_execz .LBB47_5307
; %bb.5306:
	v_cvt_i32_f32_e32 v1, v84
	flat_store_dword v[2:3], v1
.LBB47_5307:
	s_or_b64 exec, exec, vcc
                                        ; implicit-def: $vgpr84
                                        ; implicit-def: $vgpr2_vgpr3
.LBB47_5308:
	s_andn2_saveexec_b64 vcc, s[38:39]
	s_cbranch_execz .LBB47_5310
; %bb.5309:
	v_cvt_i32_f32_e32 v1, v84
	flat_store_short v[2:3], v1
.LBB47_5310:
	s_or_b64 exec, exec, vcc
                                        ; implicit-def: $vgpr84
                                        ; implicit-def: $vgpr2_vgpr3
.LBB47_5311:
	s_andn2_saveexec_b64 vcc, s[36:37]
	s_cbranch_execz .LBB47_5317
; %bb.5312:
	v_mov_b32_e32 v1, 0
	v_cmp_gt_i16_sdwa s[36:37], v11, v1 src0_sel:BYTE_0 src1_sel:DWORD
	s_and_saveexec_b64 s[38:39], s[36:37]
	s_xor_b64 s[36:37], exec, s[38:39]
	s_cbranch_execz .LBB47_5314
; %bb.5313:
	v_cvt_i32_f32_e32 v1, v84
                                        ; implicit-def: $vgpr84
	flat_store_byte v[2:3], v1
                                        ; implicit-def: $vgpr2_vgpr3
.LBB47_5314:
	s_andn2_saveexec_b64 s[36:37], s[36:37]
	s_cbranch_execz .LBB47_5316
; %bb.5315:
	v_trunc_f32_e32 v1, v84
	s_mov_b32 s38, 0x2f800000
	v_mul_f32_e64 v4, |v1|, s38
	v_floor_f32_e32 v4, v4
	s_mov_b32 s38, 0xcf800000
	v_fma_f32 v4, v4, s38, |v1|
	v_cvt_u32_f32_e32 v4, v4
	v_ashrrev_i32_e32 v1, 31, v1
	v_xor_b32_e32 v4, v4, v1
	v_sub_u32_e32 v1, v4, v1
	flat_store_byte v[2:3], v1
.LBB47_5316:
	s_or_b64 exec, exec, s[36:37]
.LBB47_5317:
	s_or_b64 exec, exec, vcc
.LBB47_5318:
	s_or_b64 exec, exec, s[34:35]
	s_or_b64 s[4:5], s[4:5], exec
	s_or_b64 exec, exec, s[26:27]
	s_mov_b64 vcc, 0
	s_and_saveexec_b64 s[26:27], s[4:5]
	s_cbranch_execnz .LBB47_3875
	s_branch .LBB47_3876
.LBB47_5319:
	v_bfe_u32 v1, v100, 20, 1
	s_mov_b32 vcc_lo, 0x487ffff
	v_add3_u32 v1, v100, v1, vcc_lo
	s_mov_b64 s[26:27], exec
	v_lshrrev_b32_e32 v1, 20, v1
	s_or_saveexec_b64 s[28:29], s[28:29]
                                        ; implicit-def: $sgpr30
	s_xor_b64 exec, exec, s[28:29]
	s_cbranch_execz .LBB47_3752
.LBB47_5320:
	s_mov_b32 s30, 0x46000000
	v_add_f32_e64 v1, |v100|, s30
	v_and_b32_e32 v1, 0xff, v1
	v_cmp_ne_u32_e32 vcc, 0, v1
	s_andn2_b64 s[26:27], s[26:27], exec
	s_and_b64 vcc, vcc, exec
	s_mov_b32 s30, 0
	s_or_b64 s[26:27], s[26:27], vcc
	s_or_b64 exec, exec, s[28:29]
	v_mov_b32_e32 v4, s30
	s_and_saveexec_b64 s[28:29], s[26:27]
	s_cbranch_execnz .LBB47_3753
	s_branch .LBB47_3754
.LBB47_5321:
	v_mov_b32_e32 v1, 25
	v_cmp_gt_i16_sdwa vcc, v11, v1 src0_sel:BYTE_0 src1_sel:DWORD
	s_mov_b64 s[36:37], s[26:27]
	s_and_saveexec_b64 s[38:39], vcc
	s_xor_b64 s[38:39], exec, s[38:39]
	s_cbranch_execz .LBB47_5357
; %bb.5322:
	v_mov_b32_e32 v1, 28
	v_cmp_gt_i16_sdwa vcc, v11, v1 src0_sel:BYTE_0 src1_sel:DWORD
	s_mov_b64 s[40:41], s[26:27]
	s_and_saveexec_b64 s[36:37], vcc
	s_xor_b64 s[36:37], exec, s[36:37]
	s_cbranch_execz .LBB47_5340
; %bb.5323:
	v_mov_b32_e32 v1, 43
	v_cmp_gt_i16_sdwa s[40:41], v11, v1 src0_sel:BYTE_0 src1_sel:DWORD
	s_mov_b64 vcc, s[26:27]
	s_and_saveexec_b64 s[42:43], s[40:41]
	s_xor_b64 s[40:41], exec, s[42:43]
	s_cbranch_execz .LBB47_5335
; %bb.5324:
	v_mov_b32_e32 v1, 45
	v_cmp_gt_i16_sdwa s[4:5], v11, v1 src0_sel:BYTE_0 src1_sel:DWORD
	s_mov_b64 s[42:43], 0
	s_mov_b64 s[44:45], s[26:27]
	s_and_saveexec_b64 vcc, s[4:5]
	s_xor_b64 s[4:5], exec, vcc
	s_cbranch_execz .LBB47_5328
; %bb.5325:
	v_mov_b32_e32 v1, 46
	v_cmp_eq_u16_sdwa s[46:47], v11, v1 src0_sel:BYTE_0 src1_sel:DWORD
	s_mov_b64 vcc, -1
	s_and_saveexec_b64 s[44:45], s[46:47]
	s_cbranch_execz .LBB47_5327
; %bb.5326:
	v_bfe_u32 v1, v82, 16, 1
	s_movk_i32 vcc_lo, 0x7fff
	v_add3_u32 v1, v82, v1, vcc_lo
	v_lshrrev_b32_e32 v1, 16, v1
	v_mov_b32_e32 v4, 0x7fc0
	v_cmp_o_f32_e32 vcc, v82, v82
	v_cndmask_b32_e32 v1, v4, v1, vcc
	s_mov_b64 s[42:43], exec
	flat_store_dword v[2:3], v1
	s_xor_b64 vcc, exec, -1
.LBB47_5327:
	s_or_b64 exec, exec, s[44:45]
	s_andn2_b64 s[44:45], s[26:27], exec
	s_and_b64 vcc, vcc, exec
	s_or_b64 s[44:45], s[44:45], vcc
	s_and_b64 s[42:43], s[42:43], exec
                                        ; implicit-def: $vgpr2_vgpr3
                                        ; implicit-def: $vgpr82
.LBB47_5328:
	s_andn2_saveexec_b64 s[46:47], s[4:5]
	s_cbranch_execz .LBB47_5334
; %bb.5329:
	v_mov_b32_e32 v1, 44
	v_cmp_eq_u16_sdwa s[50:51], v11, v1 src0_sel:BYTE_0 src1_sel:DWORD
	s_mov_b64 vcc, -1
	s_mov_b64 s[4:5], s[42:43]
	s_and_saveexec_b64 s[48:49], s[50:51]
	s_cbranch_execz .LBB47_5333
; %bb.5330:
	v_bfe_u32 v1, v82, 23, 8
	s_movk_i32 s4, 0xff
	v_cmp_ne_u32_e32 vcc, s4, v1
	v_mov_b32_e32 v4, 0xff
	s_and_saveexec_b64 s[50:51], vcc
; %bb.5331:
	s_mov_b32 s4, 0x3fffff
	v_and_b32_e32 v5, 0x400000, v82
	v_and_or_b32 v1, v82, s4, v1
	v_cmp_ne_u32_e32 vcc, 0, v5
	v_cmp_ne_u32_e64 s[4:5], 0, v1
	s_and_b64 s[4:5], vcc, s[4:5]
	v_lshrrev_b32_e32 v4, 23, v82
	v_cndmask_b32_e64 v1, 0, 1, s[4:5]
	v_add_u32_e32 v4, v4, v1
; %bb.5332:
	s_or_b64 exec, exec, s[50:51]
	s_xor_b64 vcc, exec, -1
	s_or_b64 s[4:5], s[42:43], exec
	flat_store_byte v[2:3], v4
.LBB47_5333:
	s_or_b64 exec, exec, s[48:49]
	s_andn2_b64 s[44:45], s[44:45], exec
	s_and_b64 vcc, vcc, exec
	s_or_b64 s[44:45], s[44:45], vcc
	s_andn2_b64 vcc, s[42:43], exec
	s_and_b64 s[4:5], s[4:5], exec
	s_or_b64 s[42:43], vcc, s[4:5]
.LBB47_5334:
	s_or_b64 exec, exec, s[46:47]
	s_andn2_b64 s[4:5], s[26:27], exec
	s_and_b64 vcc, s[44:45], exec
	s_or_b64 vcc, s[4:5], vcc
	s_and_b64 s[4:5], s[42:43], exec
                                        ; implicit-def: $vgpr82
                                        ; implicit-def: $vgpr2_vgpr3
.LBB47_5335:
	s_andn2_saveexec_b64 s[40:41], s[40:41]
	s_cbranch_execz .LBB47_5339
; %bb.5336:
	v_mov_b32_e32 v1, 29
	v_cmp_eq_u16_sdwa s[48:49], v11, v1 src0_sel:BYTE_0 src1_sel:DWORD
	s_mov_b64 s[46:47], -1
	s_mov_b64 s[44:45], s[4:5]
	s_and_saveexec_b64 s[42:43], s[48:49]
	s_cbranch_execz .LBB47_5338
; %bb.5337:
	v_trunc_f32_e32 v1, v82
	v_mul_f32_e32 v4, 0x2f800000, v1
	v_floor_f32_e32 v4, v4
	v_fmac_f32_e32 v1, 0xcf800000, v4
	v_cvt_u32_f32_e32 v5, v4
	v_cvt_u32_f32_e32 v4, v1
	s_xor_b64 s[46:47], exec, -1
	s_or_b64 s[44:45], s[4:5], exec
	flat_store_dwordx2 v[2:3], v[4:5]
.LBB47_5338:
	s_or_b64 exec, exec, s[42:43]
	s_andn2_b64 vcc, vcc, exec
	s_and_b64 s[42:43], s[46:47], exec
	s_or_b64 vcc, vcc, s[42:43]
	s_andn2_b64 s[4:5], s[4:5], exec
	s_and_b64 s[42:43], s[44:45], exec
	s_or_b64 s[4:5], s[4:5], s[42:43]
.LBB47_5339:
	s_or_b64 exec, exec, s[40:41]
	s_andn2_b64 s[40:41], s[26:27], exec
	s_and_b64 vcc, vcc, exec
	s_or_b64 s[40:41], s[40:41], vcc
	s_and_b64 s[4:5], s[4:5], exec
                                        ; implicit-def: $vgpr2_vgpr3
                                        ; implicit-def: $vgpr82
.LBB47_5340:
	s_andn2_saveexec_b64 s[36:37], s[36:37]
	s_cbranch_execz .LBB47_5356
; %bb.5341:
	v_mov_b32_e32 v1, 26
	v_cmp_gt_i16_sdwa vcc, v11, v1 src0_sel:BYTE_0 src1_sel:DWORD
	s_and_saveexec_b64 s[42:43], vcc
	s_xor_b64 vcc, exec, s[42:43]
	s_cbranch_execz .LBB47_5347
; %bb.5342:
	v_cvt_u32_f32_e32 v1, v82
	v_mov_b32_e32 v4, 27
	v_cmp_gt_i16_sdwa s[42:43], v11, v4 src0_sel:BYTE_0 src1_sel:DWORD
	s_and_saveexec_b64 s[44:45], s[42:43]
	s_xor_b64 s[42:43], exec, s[44:45]
	s_cbranch_execz .LBB47_5344
; %bb.5343:
	flat_store_dword v[2:3], v1
                                        ; implicit-def: $vgpr2_vgpr3
                                        ; implicit-def: $vgpr1
.LBB47_5344:
	s_andn2_saveexec_b64 s[42:43], s[42:43]
	s_cbranch_execz .LBB47_5346
; %bb.5345:
	flat_store_short v[2:3], v1
.LBB47_5346:
	s_or_b64 exec, exec, s[42:43]
                                        ; implicit-def: $vgpr2_vgpr3
                                        ; implicit-def: $vgpr82
.LBB47_5347:
	s_andn2_saveexec_b64 s[42:43], vcc
	s_cbranch_execz .LBB47_5355
; %bb.5348:
	v_and_b32_e32 v1, 0x7fffffff, v82
	s_mov_b32 vcc_lo, 0x43800000
	v_cmp_gt_u32_e32 vcc, vcc_lo, v1
	v_mov_b32_e32 v4, 0x80
	s_and_saveexec_b64 s[44:45], vcc
	s_cbranch_execz .LBB47_5354
; %bb.5349:
	s_mov_b32 vcc_lo, 0x3bffffff
	v_cmp_lt_u32_e32 vcc, vcc_lo, v1
	s_mov_b64 s[46:47], 0
                                        ; implicit-def: $vgpr1
	s_and_saveexec_b64 s[48:49], vcc
	s_xor_b64 vcc, exec, s[48:49]
	s_cbranch_execnz .LBB47_6071
; %bb.5350:
	s_or_saveexec_b64 s[48:49], vcc
                                        ; implicit-def: $sgpr50
	s_xor_b64 exec, exec, s[48:49]
	s_cbranch_execnz .LBB47_6072
.LBB47_5351:
	s_or_b64 exec, exec, s[48:49]
	v_mov_b32_e32 v4, s50
	s_and_saveexec_b64 vcc, s[46:47]
.LBB47_5352:
	v_lshrrev_b32_e32 v4, 24, v82
	s_movk_i32 s46, 0x80
	v_and_or_b32 v4, v4, s46, v1
.LBB47_5353:
	s_or_b64 exec, exec, vcc
.LBB47_5354:
	s_or_b64 exec, exec, s[44:45]
	flat_store_byte v[2:3], v4
.LBB47_5355:
	s_or_b64 exec, exec, s[42:43]
	s_or_b64 s[4:5], s[4:5], exec
.LBB47_5356:
	s_or_b64 exec, exec, s[36:37]
	s_andn2_b64 vcc, s[26:27], exec
	s_and_b64 s[36:37], s[40:41], exec
	s_or_b64 s[36:37], vcc, s[36:37]
	s_and_b64 s[4:5], s[4:5], exec
                                        ; implicit-def: $vgpr82
                                        ; implicit-def: $vgpr2_vgpr3
.LBB47_5357:
	s_andn2_saveexec_b64 s[38:39], s[38:39]
	s_cbranch_execz .LBB47_5401
; %bb.5358:
	v_mov_b32_e32 v1, 22
	v_cmp_gt_i16_sdwa vcc, v11, v1 src0_sel:BYTE_0 src1_sel:DWORD
	s_mov_b64 s[42:43], s[4:5]
	s_and_saveexec_b64 s[40:41], vcc
	s_xor_b64 s[40:41], exec, s[40:41]
	s_cbranch_execz .LBB47_5390
; %bb.5359:
	v_mov_b32_e32 v1, 23
	v_cmp_gt_i16_sdwa vcc, v11, v1 src0_sel:BYTE_0 src1_sel:DWORD
	s_and_saveexec_b64 s[42:43], vcc
	s_xor_b64 s[42:43], exec, s[42:43]
	s_cbranch_execz .LBB47_5379
; %bb.5360:
	v_mov_b32_e32 v1, 24
	v_cmp_gt_i16_sdwa vcc, v11, v1 src0_sel:BYTE_0 src1_sel:DWORD
	s_and_saveexec_b64 s[44:45], vcc
	s_xor_b64 s[44:45], exec, s[44:45]
	s_cbranch_execz .LBB47_5368
; %bb.5361:
	v_and_b32_e32 v1, 0x7fffffff, v82
	s_mov_b32 vcc_lo, 0x47800000
	v_cmp_gt_u32_e32 vcc, vcc_lo, v1
	v_mov_b32_e32 v4, 0x80
	s_and_saveexec_b64 s[46:47], vcc
	s_cbranch_execz .LBB47_5367
; %bb.5362:
	s_mov_b32 vcc_lo, 0x37ffffff
	v_cmp_lt_u32_e32 vcc, vcc_lo, v1
	s_mov_b64 s[48:49], 0
                                        ; implicit-def: $vgpr1
	s_and_saveexec_b64 s[50:51], vcc
	s_xor_b64 vcc, exec, s[50:51]
	s_cbranch_execnz .LBB47_6195
; %bb.5363:
	s_or_saveexec_b64 s[50:51], vcc
                                        ; implicit-def: $sgpr52
	s_xor_b64 exec, exec, s[50:51]
	s_cbranch_execnz .LBB47_6196
.LBB47_5364:
	s_or_b64 exec, exec, s[50:51]
	v_mov_b32_e32 v4, s52
	s_and_saveexec_b64 vcc, s[48:49]
.LBB47_5365:
	v_lshrrev_b32_e32 v4, 24, v82
	s_movk_i32 s48, 0x80
	v_and_or_b32 v4, v4, s48, v1
.LBB47_5366:
	s_or_b64 exec, exec, vcc
.LBB47_5367:
	s_or_b64 exec, exec, s[46:47]
	flat_store_byte v[2:3], v4
                                        ; implicit-def: $vgpr82
                                        ; implicit-def: $vgpr2_vgpr3
.LBB47_5368:
	s_andn2_saveexec_b64 s[44:45], s[44:45]
	s_cbranch_execz .LBB47_5378
; %bb.5369:
	v_and_b32_e32 v4, 0x7fffffff, v82
	s_mov_b32 vcc_lo, 0x43f00000
	v_cmp_gt_u32_e32 vcc, vcc_lo, v4
                                        ; implicit-def: $vgpr1
	s_and_saveexec_b64 s[46:47], vcc
	s_xor_b64 s[46:47], exec, s[46:47]
	s_cbranch_execz .LBB47_5375
; %bb.5370:
	s_mov_b32 vcc_lo, 0x3c7fffff
	v_cmp_lt_u32_e32 vcc, vcc_lo, v4
                                        ; implicit-def: $vgpr1
	s_and_saveexec_b64 s[48:49], vcc
	s_xor_b64 s[48:49], exec, s[48:49]
; %bb.5371:
	v_bfe_u32 v1, v82, 20, 1
	s_mov_b32 vcc_lo, 0x407ffff
	v_add3_u32 v1, v82, v1, vcc_lo
	v_lshrrev_b32_e32 v4, 20, v1
	v_and_b32_e32 v1, 0xff00000, v1
	s_mov_b32 vcc_lo, 0x7f00000
	v_mov_b32_e32 v5, 0x7e
	v_cmp_ne_u32_e32 vcc, vcc_lo, v1
	v_cndmask_b32_e32 v1, v5, v4, vcc
; %bb.5372:
	s_andn2_saveexec_b64 vcc, s[48:49]
; %bb.5373:
	s_mov_b32 s48, 0x46800000
	v_add_f32_e64 v1, |v82|, s48
; %bb.5374:
	s_or_b64 exec, exec, vcc
                                        ; implicit-def: $vgpr4
.LBB47_5375:
	s_andn2_saveexec_b64 s[46:47], s[46:47]
; %bb.5376:
	s_mov_b32 vcc_lo, 0x7f800000
	v_mov_b32_e32 v1, 0x7e
	v_mov_b32_e32 v5, 0x7f
	v_cmp_lt_u32_e32 vcc, vcc_lo, v4
	v_cndmask_b32_e32 v1, v1, v5, vcc
; %bb.5377:
	s_or_b64 exec, exec, s[46:47]
	v_lshrrev_b32_e32 v4, 24, v82
	s_movk_i32 vcc_lo, 0x80
	v_and_or_b32 v1, v4, vcc_lo, v1
	flat_store_byte v[2:3], v1
.LBB47_5378:
	s_or_b64 exec, exec, s[44:45]
                                        ; implicit-def: $vgpr82
                                        ; implicit-def: $vgpr2_vgpr3
.LBB47_5379:
	s_andn2_saveexec_b64 s[42:43], s[42:43]
	s_cbranch_execz .LBB47_5389
; %bb.5380:
	v_and_b32_e32 v4, 0x7fffffff, v82
	s_mov_b32 vcc_lo, 0x47800000
	v_cmp_gt_u32_e32 vcc, vcc_lo, v4
                                        ; implicit-def: $vgpr1
	s_and_saveexec_b64 s[44:45], vcc
	s_xor_b64 s[44:45], exec, s[44:45]
	s_cbranch_execz .LBB47_5386
; %bb.5381:
	s_mov_b32 vcc_lo, 0x387fffff
	v_cmp_lt_u32_e32 vcc, vcc_lo, v4
                                        ; implicit-def: $vgpr1
	s_and_saveexec_b64 s[46:47], vcc
	s_xor_b64 vcc, exec, s[46:47]
; %bb.5382:
	v_bfe_u32 v1, v82, 21, 1
	s_mov_b32 s46, 0x80fffff
	v_add3_u32 v1, v82, v1, s46
	v_lshrrev_b32_e32 v1, 21, v1
; %bb.5383:
	s_andn2_saveexec_b64 vcc, vcc
; %bb.5384:
	s_mov_b32 s46, 0x43000000
	v_add_f32_e64 v1, |v82|, s46
; %bb.5385:
	s_or_b64 exec, exec, vcc
                                        ; implicit-def: $vgpr4
.LBB47_5386:
	s_andn2_saveexec_b64 s[44:45], s[44:45]
; %bb.5387:
	s_mov_b32 vcc_lo, 0x7f800000
	v_mov_b32_e32 v1, 0x7c
	v_mov_b32_e32 v5, 0x7f
	v_cmp_lt_u32_e32 vcc, vcc_lo, v4
	v_cndmask_b32_e32 v1, v1, v5, vcc
; %bb.5388:
	s_or_b64 exec, exec, s[44:45]
	v_lshrrev_b32_e32 v4, 24, v82
	s_movk_i32 vcc_lo, 0x80
	v_and_or_b32 v1, v4, vcc_lo, v1
	flat_store_byte v[2:3], v1
.LBB47_5389:
	s_or_b64 exec, exec, s[42:43]
	s_or_b64 s[42:43], s[4:5], exec
                                        ; implicit-def: $vgpr82
                                        ; implicit-def: $vgpr2_vgpr3
.LBB47_5390:
	s_or_saveexec_b64 s[40:41], s[40:41]
	s_mov_b64 vcc, s[36:37]
	s_xor_b64 exec, exec, s[40:41]
	s_cbranch_execz .LBB47_5400
; %bb.5391:
	v_mov_b32_e32 v1, 14
	v_cmp_gt_i16_sdwa vcc, v11, v1 src0_sel:BYTE_0 src1_sel:DWORD
	s_mov_b64 s[44:45], s[42:43]
	s_mov_b64 s[46:47], s[36:37]
	s_and_saveexec_b64 s[48:49], vcc
	s_xor_b64 s[48:49], exec, s[48:49]
	s_cbranch_execz .LBB47_5395
; %bb.5392:
	v_mov_b32_e32 v1, 15
	v_cmp_eq_u16_sdwa s[50:51], v11, v1 src0_sel:BYTE_0 src1_sel:DWORD
	s_mov_b64 s[46:47], -1
	s_mov_b64 vcc, s[42:43]
	s_and_saveexec_b64 s[44:45], s[50:51]
	s_cbranch_execz .LBB47_5394
; %bb.5393:
	v_bfe_u32 v1, v82, 16, 1
	s_movk_i32 vcc_lo, 0x7fff
	v_add3_u32 v1, v82, v1, vcc_lo
	v_lshrrev_b32_e32 v1, 16, v1
	v_mov_b32_e32 v4, 0x7fc0
	v_cmp_o_f32_e32 vcc, v82, v82
	v_cndmask_b32_e32 v1, v4, v1, vcc
	flat_store_short v[2:3], v1
	s_xor_b64 s[46:47], exec, -1
	s_or_b64 vcc, s[42:43], exec
.LBB47_5394:
	s_or_b64 exec, exec, s[44:45]
	s_andn2_b64 s[44:45], s[36:37], exec
	s_and_b64 s[46:47], s[46:47], exec
	s_or_b64 s[46:47], s[44:45], s[46:47]
	s_andn2_b64 s[44:45], s[42:43], exec
	s_and_b64 vcc, vcc, exec
	s_or_b64 s[44:45], s[44:45], vcc
                                        ; implicit-def: $vgpr82
                                        ; implicit-def: $vgpr2_vgpr3
.LBB47_5395:
	s_andn2_saveexec_b64 s[48:49], s[48:49]
	s_cbranch_execz .LBB47_5399
; %bb.5396:
	v_mov_b32_e32 v1, 11
	v_cmp_eq_u16_sdwa s[54:55], v11, v1 src0_sel:BYTE_0 src1_sel:DWORD
	s_mov_b64 s[50:51], -1
	s_mov_b64 vcc, s[44:45]
	s_and_saveexec_b64 s[52:53], s[54:55]
	s_cbranch_execz .LBB47_5398
; %bb.5397:
	v_cmp_neq_f32_e32 vcc, 0, v82
	v_cndmask_b32_e64 v1, 0, 1, vcc
	flat_store_byte v[2:3], v1
	s_xor_b64 s[50:51], exec, -1
	s_or_b64 vcc, s[44:45], exec
.LBB47_5398:
	s_or_b64 exec, exec, s[52:53]
	s_andn2_b64 s[46:47], s[46:47], exec
	s_and_b64 s[50:51], s[50:51], exec
	s_andn2_b64 s[44:45], s[44:45], exec
	s_and_b64 vcc, vcc, exec
	s_or_b64 s[46:47], s[46:47], s[50:51]
	s_or_b64 s[44:45], s[44:45], vcc
.LBB47_5399:
	s_or_b64 exec, exec, s[48:49]
	s_andn2_b64 vcc, s[36:37], exec
	s_and_b64 s[46:47], s[46:47], exec
	s_andn2_b64 s[42:43], s[42:43], exec
	s_and_b64 s[44:45], s[44:45], exec
	s_or_b64 vcc, vcc, s[46:47]
	s_or_b64 s[42:43], s[42:43], s[44:45]
.LBB47_5400:
	s_or_b64 exec, exec, s[40:41]
	s_andn2_b64 s[36:37], s[36:37], exec
	s_and_b64 vcc, vcc, exec
	s_or_b64 s[36:37], s[36:37], vcc
	s_andn2_b64 s[4:5], s[4:5], exec
	s_and_b64 vcc, s[42:43], exec
	s_or_b64 s[4:5], s[4:5], vcc
.LBB47_5401:
	s_or_b64 exec, exec, s[38:39]
	s_andn2_b64 vcc, s[26:27], exec
	s_and_b64 s[36:37], s[36:37], exec
	s_or_b64 s[36:37], vcc, s[36:37]
	s_and_b64 s[4:5], s[4:5], exec
                                        ; implicit-def: $vgpr82
                                        ; implicit-def: $vgpr2_vgpr3
	s_andn2_saveexec_b64 s[34:35], s[34:35]
	s_cbranch_execz .LBB47_3881
.LBB47_5402:
	v_mov_b32_e32 v1, 4
	v_cmp_gt_i16_sdwa vcc, v11, v1 src0_sel:BYTE_0 src1_sel:DWORD
	s_and_saveexec_b64 s[38:39], vcc
	s_xor_b64 vcc, exec, s[38:39]
	s_cbranch_execz .LBB47_5424
; %bb.5403:
	v_mov_b32_e32 v1, 7
	v_cmp_gt_i16_sdwa s[38:39], v11, v1 src0_sel:BYTE_0 src1_sel:DWORD
	s_and_saveexec_b64 s[40:41], s[38:39]
	s_xor_b64 s[38:39], exec, s[40:41]
	s_cbranch_execz .LBB47_5413
; %bb.5404:
	v_mov_b32_e32 v1, 8
	v_cmp_gt_i16_sdwa s[40:41], v11, v1 src0_sel:BYTE_0 src1_sel:DWORD
	s_and_saveexec_b64 s[42:43], s[40:41]
	s_xor_b64 s[40:41], exec, s[42:43]
	;; [unrolled: 6-line block ×3, first 2 shown]
	s_cbranch_execz .LBB47_5407
; %bb.5406:
	v_mov_b32_e32 v84, 0
	v_cvt_f64_f32_e32 v[82:83], v82
	v_mov_b32_e32 v85, v84
	flat_store_dwordx4 v[2:3], v[82:85]
                                        ; implicit-def: $vgpr82
                                        ; implicit-def: $vgpr2_vgpr3
.LBB47_5407:
	s_andn2_saveexec_b64 s[42:43], s[42:43]
	s_cbranch_execz .LBB47_5409
; %bb.5408:
	v_mov_b32_e32 v83, 0
	flat_store_dwordx2 v[2:3], v[82:83]
.LBB47_5409:
	s_or_b64 exec, exec, s[42:43]
                                        ; implicit-def: $vgpr82
                                        ; implicit-def: $vgpr2_vgpr3
.LBB47_5410:
	s_andn2_saveexec_b64 s[40:41], s[40:41]
	s_cbranch_execz .LBB47_5412
; %bb.5411:
	v_cvt_f16_f32_e32 v1, v82
	flat_store_dword v[2:3], v1
.LBB47_5412:
	s_or_b64 exec, exec, s[40:41]
                                        ; implicit-def: $vgpr82
                                        ; implicit-def: $vgpr2_vgpr3
.LBB47_5413:
	s_andn2_saveexec_b64 s[38:39], s[38:39]
	s_cbranch_execz .LBB47_5423
; %bb.5414:
	v_mov_b32_e32 v1, 5
	v_cmp_gt_i16_sdwa s[40:41], v11, v1 src0_sel:BYTE_0 src1_sel:DWORD
	s_and_saveexec_b64 s[42:43], s[40:41]
	s_xor_b64 s[40:41], exec, s[42:43]
	s_cbranch_execz .LBB47_5420
; %bb.5415:
	v_mov_b32_e32 v1, 6
	v_cmp_gt_i16_sdwa s[42:43], v11, v1 src0_sel:BYTE_0 src1_sel:DWORD
	s_and_saveexec_b64 s[44:45], s[42:43]
	s_xor_b64 s[42:43], exec, s[44:45]
	s_cbranch_execz .LBB47_5417
; %bb.5416:
	v_cvt_f64_f32_e32 v[4:5], v82
	flat_store_dwordx2 v[2:3], v[4:5]
                                        ; implicit-def: $vgpr2_vgpr3
                                        ; implicit-def: $vgpr82
.LBB47_5417:
	s_andn2_saveexec_b64 s[42:43], s[42:43]
	s_cbranch_execz .LBB47_5419
; %bb.5418:
	flat_store_dword v[2:3], v82
.LBB47_5419:
	s_or_b64 exec, exec, s[42:43]
                                        ; implicit-def: $vgpr82
                                        ; implicit-def: $vgpr2_vgpr3
.LBB47_5420:
	s_andn2_saveexec_b64 s[40:41], s[40:41]
	s_cbranch_execz .LBB47_5422
; %bb.5421:
	v_cvt_f16_f32_e32 v1, v82
	flat_store_short v[2:3], v1
.LBB47_5422:
	s_or_b64 exec, exec, s[40:41]
.LBB47_5423:
	s_or_b64 exec, exec, s[38:39]
                                        ; implicit-def: $vgpr82
                                        ; implicit-def: $vgpr2_vgpr3
.LBB47_5424:
	s_andn2_saveexec_b64 s[38:39], vcc
	s_cbranch_execz .LBB47_5442
; %bb.5425:
	v_mov_b32_e32 v1, 1
	v_cmp_gt_i16_sdwa vcc, v11, v1 src0_sel:BYTE_0 src1_sel:DWORD
	s_and_saveexec_b64 s[40:41], vcc
	s_xor_b64 s[40:41], exec, s[40:41]
	s_cbranch_execz .LBB47_5435
; %bb.5426:
	v_mov_b32_e32 v1, 2
	v_cmp_gt_i16_sdwa vcc, v11, v1 src0_sel:BYTE_0 src1_sel:DWORD
	s_and_saveexec_b64 s[42:43], vcc
	s_xor_b64 s[42:43], exec, s[42:43]
	s_cbranch_execz .LBB47_5432
; %bb.5427:
	v_mov_b32_e32 v1, 3
	v_cmp_gt_i16_sdwa vcc, v11, v1 src0_sel:BYTE_0 src1_sel:DWORD
	s_and_saveexec_b64 s[44:45], vcc
	s_xor_b64 s[44:45], exec, s[44:45]
	s_cbranch_execz .LBB47_5429
; %bb.5428:
	v_trunc_f32_e32 v1, v82
	s_mov_b32 s46, 0x2f800000
	v_mul_f32_e64 v4, |v1|, s46
	v_floor_f32_e32 v4, v4
	s_mov_b32 s46, 0xcf800000
	v_cvt_u32_f32_e32 v5, v4
	v_fma_f32 v4, v4, s46, |v1|
	v_cvt_u32_f32_e32 v4, v4
	v_ashrrev_i32_e32 v1, 31, v1
	v_xor_b32_e32 v5, v5, v1
                                        ; implicit-def: $vgpr82
	v_xor_b32_e32 v4, v4, v1
	v_sub_co_u32_e32 v4, vcc, v4, v1
	v_subb_co_u32_e32 v5, vcc, v5, v1, vcc
	flat_store_dwordx2 v[2:3], v[4:5]
                                        ; implicit-def: $vgpr2_vgpr3
.LBB47_5429:
	s_andn2_saveexec_b64 vcc, s[44:45]
	s_cbranch_execz .LBB47_5431
; %bb.5430:
	v_cvt_i32_f32_e32 v1, v82
	flat_store_dword v[2:3], v1
.LBB47_5431:
	s_or_b64 exec, exec, vcc
                                        ; implicit-def: $vgpr82
                                        ; implicit-def: $vgpr2_vgpr3
.LBB47_5432:
	s_andn2_saveexec_b64 vcc, s[42:43]
	s_cbranch_execz .LBB47_5434
; %bb.5433:
	v_cvt_i32_f32_e32 v1, v82
	flat_store_short v[2:3], v1
.LBB47_5434:
	s_or_b64 exec, exec, vcc
                                        ; implicit-def: $vgpr82
                                        ; implicit-def: $vgpr2_vgpr3
.LBB47_5435:
	s_andn2_saveexec_b64 vcc, s[40:41]
	s_cbranch_execz .LBB47_5441
; %bb.5436:
	v_mov_b32_e32 v1, 0
	v_cmp_gt_i16_sdwa s[40:41], v11, v1 src0_sel:BYTE_0 src1_sel:DWORD
	s_and_saveexec_b64 s[42:43], s[40:41]
	s_xor_b64 s[40:41], exec, s[42:43]
	s_cbranch_execz .LBB47_5438
; %bb.5437:
	v_cvt_i32_f32_e32 v1, v82
                                        ; implicit-def: $vgpr82
	flat_store_byte v[2:3], v1
                                        ; implicit-def: $vgpr2_vgpr3
.LBB47_5438:
	s_andn2_saveexec_b64 s[40:41], s[40:41]
	s_cbranch_execz .LBB47_5440
; %bb.5439:
	v_trunc_f32_e32 v1, v82
	s_mov_b32 s42, 0x2f800000
	v_mul_f32_e64 v4, |v1|, s42
	v_floor_f32_e32 v4, v4
	s_mov_b32 s42, 0xcf800000
	v_fma_f32 v4, v4, s42, |v1|
	v_cvt_u32_f32_e32 v4, v4
	v_ashrrev_i32_e32 v1, 31, v1
	v_xor_b32_e32 v4, v4, v1
	v_sub_u32_e32 v1, v4, v1
	flat_store_byte v[2:3], v1
.LBB47_5440:
	s_or_b64 exec, exec, s[40:41]
.LBB47_5441:
	s_or_b64 exec, exec, vcc
.LBB47_5442:
	s_or_b64 exec, exec, s[38:39]
	s_or_b64 s[4:5], s[4:5], exec
	s_or_b64 exec, exec, s[34:35]
	s_mov_b64 vcc, 0
	s_and_saveexec_b64 s[34:35], s[4:5]
	s_cbranch_execnz .LBB47_3882
	s_branch .LBB47_3883
.LBB47_5443:
	v_bfe_u32 v1, v100, 21, 1
	s_mov_b32 s30, 0x88fffff
	v_add3_u32 v1, v100, v1, s30
	s_mov_b64 s[28:29], exec
	v_lshrrev_b32_e32 v1, 21, v1
	s_or_saveexec_b64 s[30:31], vcc
                                        ; implicit-def: $sgpr34
	s_xor_b64 exec, exec, s[30:31]
	s_cbranch_execz .LBB47_3765
.LBB47_5444:
	s_mov_b32 s34, 0x42800000
	v_add_f32_e64 v1, |v100|, s34
	v_and_b32_e32 v1, 0xff, v1
	v_cmp_ne_u32_e32 vcc, 0, v1
	s_andn2_b64 s[28:29], s[28:29], exec
	s_and_b64 vcc, vcc, exec
	s_mov_b32 s34, 0
	s_or_b64 s[28:29], s[28:29], vcc
	s_or_b64 exec, exec, s[30:31]
	v_mov_b32_e32 v4, s34
	s_and_saveexec_b64 vcc, s[28:29]
	s_cbranch_execnz .LBB47_3766
	s_branch .LBB47_3767
.LBB47_5445:
	v_mov_b32_e32 v1, 25
	v_cmp_gt_i16_sdwa vcc, v11, v1 src0_sel:BYTE_0 src1_sel:DWORD
	s_mov_b64 s[40:41], s[4:5]
	s_and_saveexec_b64 s[42:43], vcc
	s_xor_b64 s[42:43], exec, s[42:43]
	s_cbranch_execz .LBB47_5481
; %bb.5446:
	v_mov_b32_e32 v1, 28
	v_cmp_gt_i16_sdwa vcc, v11, v1 src0_sel:BYTE_0 src1_sel:DWORD
	s_mov_b64 s[44:45], 0
	s_mov_b64 s[40:41], s[4:5]
	s_and_saveexec_b64 s[38:39], vcc
	s_xor_b64 s[38:39], exec, s[38:39]
	s_cbranch_execz .LBB47_5464
; %bb.5447:
	v_mov_b32_e32 v1, 43
	v_cmp_gt_i16_sdwa s[40:41], v11, v1 src0_sel:BYTE_0 src1_sel:DWORD
	s_mov_b64 vcc, 0
	s_mov_b64 s[46:47], s[4:5]
	s_and_saveexec_b64 s[44:45], s[40:41]
	s_xor_b64 s[40:41], exec, s[44:45]
	s_cbranch_execz .LBB47_5459
; %bb.5448:
	v_mov_b32_e32 v1, 45
	v_cmp_gt_i16_sdwa vcc, v11, v1 src0_sel:BYTE_0 src1_sel:DWORD
	s_mov_b64 s[44:45], 0
	s_mov_b64 s[46:47], s[4:5]
	s_and_saveexec_b64 s[48:49], vcc
	s_xor_b64 s[48:49], exec, s[48:49]
	s_cbranch_execz .LBB47_5452
; %bb.5449:
	v_mov_b32_e32 v1, 46
	v_cmp_eq_u16_sdwa s[50:51], v11, v1 src0_sel:BYTE_0 src1_sel:DWORD
	s_mov_b64 vcc, -1
	s_and_saveexec_b64 s[46:47], s[50:51]
	s_cbranch_execz .LBB47_5451
; %bb.5450:
	v_bfe_u32 v1, v80, 16, 1
	s_movk_i32 vcc_lo, 0x7fff
	v_add3_u32 v1, v80, v1, vcc_lo
	v_lshrrev_b32_e32 v1, 16, v1
	v_mov_b32_e32 v4, 0x7fc0
	v_cmp_o_f32_e32 vcc, v80, v80
	v_cndmask_b32_e32 v1, v4, v1, vcc
	s_mov_b64 s[44:45], exec
	flat_store_dword v[2:3], v1
	s_xor_b64 vcc, exec, -1
.LBB47_5451:
	s_or_b64 exec, exec, s[46:47]
	s_andn2_b64 s[46:47], s[4:5], exec
	s_and_b64 vcc, vcc, exec
	s_or_b64 s[46:47], s[46:47], vcc
	s_and_b64 s[44:45], s[44:45], exec
                                        ; implicit-def: $vgpr2_vgpr3
                                        ; implicit-def: $vgpr80
.LBB47_5452:
	s_andn2_saveexec_b64 s[48:49], s[48:49]
	s_cbranch_execz .LBB47_5458
; %bb.5453:
	v_mov_b32_e32 v1, 44
	v_cmp_eq_u16_sdwa s[52:53], v11, v1 src0_sel:BYTE_0 src1_sel:DWORD
	s_mov_b64 s[54:55], -1
	s_mov_b64 vcc, s[44:45]
	s_and_saveexec_b64 s[50:51], s[52:53]
	s_cbranch_execz .LBB47_5457
; %bb.5454:
	s_mov_b64 s[52:53], s[4:5]
	v_bfe_u32 v1, v80, 23, 8
	s_movk_i32 s4, 0xff
	v_cmp_ne_u32_e32 vcc, s4, v1
	v_mov_b32_e32 v4, 0xff
	s_and_saveexec_b64 s[54:55], vcc
; %bb.5455:
	s_mov_b32 s4, 0x3fffff
	v_and_b32_e32 v5, 0x400000, v80
	v_and_or_b32 v1, v80, s4, v1
	v_cmp_ne_u32_e32 vcc, 0, v5
	v_cmp_ne_u32_e64 s[4:5], 0, v1
	s_and_b64 s[4:5], vcc, s[4:5]
	v_lshrrev_b32_e32 v4, 23, v80
	v_cndmask_b32_e64 v1, 0, 1, s[4:5]
	v_add_u32_e32 v4, v4, v1
; %bb.5456:
	s_or_b64 exec, exec, s[54:55]
	s_xor_b64 s[54:55], exec, -1
	s_or_b64 vcc, s[44:45], exec
	s_mov_b64 s[4:5], s[52:53]
	flat_store_byte v[2:3], v4
.LBB47_5457:
	s_or_b64 exec, exec, s[50:51]
	s_andn2_b64 s[46:47], s[46:47], exec
	s_and_b64 s[50:51], s[54:55], exec
	s_andn2_b64 s[44:45], s[44:45], exec
	s_and_b64 vcc, vcc, exec
	s_or_b64 s[46:47], s[46:47], s[50:51]
	s_or_b64 s[44:45], s[44:45], vcc
.LBB47_5458:
	s_or_b64 exec, exec, s[48:49]
	s_andn2_b64 vcc, s[4:5], exec
	s_and_b64 s[46:47], s[46:47], exec
	s_or_b64 s[46:47], vcc, s[46:47]
	s_and_b64 vcc, s[44:45], exec
                                        ; implicit-def: $vgpr80
                                        ; implicit-def: $vgpr2_vgpr3
.LBB47_5459:
	s_andn2_saveexec_b64 s[40:41], s[40:41]
	s_cbranch_execz .LBB47_5463
; %bb.5460:
	v_mov_b32_e32 v1, 29
	v_cmp_eq_u16_sdwa s[52:53], v11, v1 src0_sel:BYTE_0 src1_sel:DWORD
	s_mov_b64 s[50:51], -1
	s_mov_b64 s[48:49], vcc
	s_and_saveexec_b64 s[44:45], s[52:53]
	s_cbranch_execz .LBB47_5462
; %bb.5461:
	v_trunc_f32_e32 v1, v80
	v_mul_f32_e32 v4, 0x2f800000, v1
	v_floor_f32_e32 v4, v4
	v_fmac_f32_e32 v1, 0xcf800000, v4
	v_cvt_u32_f32_e32 v5, v4
	v_cvt_u32_f32_e32 v4, v1
	s_xor_b64 s[50:51], exec, -1
	s_or_b64 s[48:49], vcc, exec
	flat_store_dwordx2 v[2:3], v[4:5]
.LBB47_5462:
	s_or_b64 exec, exec, s[44:45]
	s_andn2_b64 s[44:45], s[46:47], exec
	s_and_b64 s[46:47], s[50:51], exec
	s_or_b64 s[46:47], s[44:45], s[46:47]
	s_andn2_b64 vcc, vcc, exec
	s_and_b64 s[44:45], s[48:49], exec
	s_or_b64 vcc, vcc, s[44:45]
.LBB47_5463:
	s_or_b64 exec, exec, s[40:41]
	s_andn2_b64 s[40:41], s[4:5], exec
	s_and_b64 s[44:45], s[46:47], exec
	s_or_b64 s[40:41], s[40:41], s[44:45]
	s_and_b64 s[44:45], vcc, exec
                                        ; implicit-def: $vgpr2_vgpr3
                                        ; implicit-def: $vgpr80
.LBB47_5464:
	s_andn2_saveexec_b64 s[38:39], s[38:39]
	s_cbranch_execz .LBB47_5480
; %bb.5465:
	v_mov_b32_e32 v1, 26
	v_cmp_gt_i16_sdwa vcc, v11, v1 src0_sel:BYTE_0 src1_sel:DWORD
	s_and_saveexec_b64 s[46:47], vcc
	s_xor_b64 vcc, exec, s[46:47]
	s_cbranch_execz .LBB47_5471
; %bb.5466:
	v_cvt_u32_f32_e32 v1, v80
	v_mov_b32_e32 v4, 27
	v_cmp_gt_i16_sdwa s[46:47], v11, v4 src0_sel:BYTE_0 src1_sel:DWORD
	s_and_saveexec_b64 s[48:49], s[46:47]
	s_xor_b64 s[46:47], exec, s[48:49]
	s_cbranch_execz .LBB47_5468
; %bb.5467:
	flat_store_dword v[2:3], v1
                                        ; implicit-def: $vgpr2_vgpr3
                                        ; implicit-def: $vgpr1
.LBB47_5468:
	s_andn2_saveexec_b64 s[46:47], s[46:47]
	s_cbranch_execz .LBB47_5470
; %bb.5469:
	flat_store_short v[2:3], v1
.LBB47_5470:
	s_or_b64 exec, exec, s[46:47]
                                        ; implicit-def: $vgpr2_vgpr3
                                        ; implicit-def: $vgpr80
.LBB47_5471:
	s_andn2_saveexec_b64 s[46:47], vcc
	s_cbranch_execz .LBB47_5479
; %bb.5472:
	v_and_b32_e32 v1, 0x7fffffff, v80
	s_mov_b32 vcc_lo, 0x43800000
	v_cmp_gt_u32_e32 vcc, vcc_lo, v1
	v_mov_b32_e32 v4, 0x80
	s_and_saveexec_b64 s[48:49], vcc
	s_cbranch_execz .LBB47_5478
; %bb.5473:
	s_mov_b32 vcc_lo, 0x3bffffff
	v_cmp_lt_u32_e32 vcc, vcc_lo, v1
	s_mov_b64 s[50:51], 0
                                        ; implicit-def: $vgpr1
	s_and_saveexec_b64 s[52:53], vcc
	s_xor_b64 vcc, exec, s[52:53]
	s_cbranch_execnz .LBB47_6197
; %bb.5474:
	s_or_saveexec_b64 s[52:53], vcc
                                        ; implicit-def: $sgpr54
	s_xor_b64 exec, exec, s[52:53]
	s_cbranch_execnz .LBB47_6198
.LBB47_5475:
	s_or_b64 exec, exec, s[52:53]
	v_mov_b32_e32 v4, s54
	s_and_saveexec_b64 vcc, s[50:51]
.LBB47_5476:
	v_lshrrev_b32_e32 v4, 24, v80
	s_movk_i32 s50, 0x80
	v_and_or_b32 v4, v4, s50, v1
.LBB47_5477:
	s_or_b64 exec, exec, vcc
.LBB47_5478:
	s_or_b64 exec, exec, s[48:49]
	flat_store_byte v[2:3], v4
.LBB47_5479:
	s_or_b64 exec, exec, s[46:47]
	s_or_b64 s[44:45], s[44:45], exec
.LBB47_5480:
	s_or_b64 exec, exec, s[38:39]
	s_andn2_b64 vcc, s[4:5], exec
	s_and_b64 s[38:39], s[40:41], exec
	s_or_b64 s[40:41], vcc, s[38:39]
	s_and_b64 s[38:39], s[44:45], exec
                                        ; implicit-def: $vgpr80
                                        ; implicit-def: $vgpr2_vgpr3
.LBB47_5481:
	s_andn2_saveexec_b64 s[42:43], s[42:43]
	s_cbranch_execz .LBB47_5525
; %bb.5482:
	v_mov_b32_e32 v1, 22
	v_cmp_gt_i16_sdwa vcc, v11, v1 src0_sel:BYTE_0 src1_sel:DWORD
	s_mov_b64 s[46:47], s[38:39]
	s_and_saveexec_b64 s[44:45], vcc
	s_xor_b64 s[44:45], exec, s[44:45]
	s_cbranch_execz .LBB47_5514
; %bb.5483:
	v_mov_b32_e32 v1, 23
	v_cmp_gt_i16_sdwa vcc, v11, v1 src0_sel:BYTE_0 src1_sel:DWORD
	s_and_saveexec_b64 s[46:47], vcc
	s_xor_b64 s[46:47], exec, s[46:47]
	s_cbranch_execz .LBB47_5503
; %bb.5484:
	v_mov_b32_e32 v1, 24
	v_cmp_gt_i16_sdwa vcc, v11, v1 src0_sel:BYTE_0 src1_sel:DWORD
	s_and_saveexec_b64 s[48:49], vcc
	s_xor_b64 s[48:49], exec, s[48:49]
	s_cbranch_execz .LBB47_5492
; %bb.5485:
	v_and_b32_e32 v1, 0x7fffffff, v80
	s_mov_b32 vcc_lo, 0x47800000
	v_cmp_gt_u32_e32 vcc, vcc_lo, v1
	v_mov_b32_e32 v4, 0x80
	s_and_saveexec_b64 s[50:51], vcc
	s_cbranch_execz .LBB47_5491
; %bb.5486:
	s_mov_b32 vcc_lo, 0x37ffffff
	v_cmp_lt_u32_e32 vcc, vcc_lo, v1
	s_mov_b64 s[52:53], 0
                                        ; implicit-def: $vgpr1
	s_and_saveexec_b64 s[54:55], vcc
	s_xor_b64 vcc, exec, s[54:55]
	s_cbranch_execnz .LBB47_6321
; %bb.5487:
	s_or_saveexec_b64 s[54:55], vcc
                                        ; implicit-def: $sgpr56
	s_xor_b64 exec, exec, s[54:55]
	s_cbranch_execnz .LBB47_6322
.LBB47_5488:
	s_or_b64 exec, exec, s[54:55]
	v_mov_b32_e32 v4, s56
	s_and_saveexec_b64 vcc, s[52:53]
.LBB47_5489:
	v_lshrrev_b32_e32 v4, 24, v80
	s_movk_i32 s52, 0x80
	v_and_or_b32 v4, v4, s52, v1
.LBB47_5490:
	s_or_b64 exec, exec, vcc
.LBB47_5491:
	s_or_b64 exec, exec, s[50:51]
	flat_store_byte v[2:3], v4
                                        ; implicit-def: $vgpr80
                                        ; implicit-def: $vgpr2_vgpr3
.LBB47_5492:
	s_andn2_saveexec_b64 s[48:49], s[48:49]
	s_cbranch_execz .LBB47_5502
; %bb.5493:
	v_and_b32_e32 v4, 0x7fffffff, v80
	s_mov_b32 vcc_lo, 0x43f00000
	v_cmp_gt_u32_e32 vcc, vcc_lo, v4
                                        ; implicit-def: $vgpr1
	s_and_saveexec_b64 s[50:51], vcc
	s_xor_b64 s[50:51], exec, s[50:51]
	s_cbranch_execz .LBB47_5499
; %bb.5494:
	s_mov_b32 vcc_lo, 0x3c7fffff
	v_cmp_lt_u32_e32 vcc, vcc_lo, v4
                                        ; implicit-def: $vgpr1
	s_and_saveexec_b64 s[52:53], vcc
	s_xor_b64 s[52:53], exec, s[52:53]
; %bb.5495:
	v_bfe_u32 v1, v80, 20, 1
	s_mov_b32 vcc_lo, 0x407ffff
	v_add3_u32 v1, v80, v1, vcc_lo
	v_lshrrev_b32_e32 v4, 20, v1
	v_and_b32_e32 v1, 0xff00000, v1
	s_mov_b32 vcc_lo, 0x7f00000
	v_mov_b32_e32 v5, 0x7e
	v_cmp_ne_u32_e32 vcc, vcc_lo, v1
	v_cndmask_b32_e32 v1, v5, v4, vcc
; %bb.5496:
	s_andn2_saveexec_b64 vcc, s[52:53]
; %bb.5497:
	s_mov_b32 s52, 0x46800000
	v_add_f32_e64 v1, |v80|, s52
; %bb.5498:
	s_or_b64 exec, exec, vcc
                                        ; implicit-def: $vgpr4
.LBB47_5499:
	s_andn2_saveexec_b64 s[50:51], s[50:51]
; %bb.5500:
	s_mov_b32 vcc_lo, 0x7f800000
	v_mov_b32_e32 v1, 0x7e
	v_mov_b32_e32 v5, 0x7f
	v_cmp_lt_u32_e32 vcc, vcc_lo, v4
	v_cndmask_b32_e32 v1, v1, v5, vcc
; %bb.5501:
	s_or_b64 exec, exec, s[50:51]
	v_lshrrev_b32_e32 v4, 24, v80
	s_movk_i32 vcc_lo, 0x80
	v_and_or_b32 v1, v4, vcc_lo, v1
	flat_store_byte v[2:3], v1
.LBB47_5502:
	s_or_b64 exec, exec, s[48:49]
                                        ; implicit-def: $vgpr80
                                        ; implicit-def: $vgpr2_vgpr3
.LBB47_5503:
	s_andn2_saveexec_b64 s[46:47], s[46:47]
	s_cbranch_execz .LBB47_5513
; %bb.5504:
	v_and_b32_e32 v4, 0x7fffffff, v80
	s_mov_b32 vcc_lo, 0x47800000
	v_cmp_gt_u32_e32 vcc, vcc_lo, v4
                                        ; implicit-def: $vgpr1
	s_and_saveexec_b64 s[48:49], vcc
	s_xor_b64 s[48:49], exec, s[48:49]
	s_cbranch_execz .LBB47_5510
; %bb.5505:
	s_mov_b32 vcc_lo, 0x387fffff
	v_cmp_lt_u32_e32 vcc, vcc_lo, v4
                                        ; implicit-def: $vgpr1
	s_and_saveexec_b64 s[50:51], vcc
	s_xor_b64 vcc, exec, s[50:51]
; %bb.5506:
	v_bfe_u32 v1, v80, 21, 1
	s_mov_b32 s50, 0x80fffff
	v_add3_u32 v1, v80, v1, s50
	v_lshrrev_b32_e32 v1, 21, v1
; %bb.5507:
	s_andn2_saveexec_b64 vcc, vcc
; %bb.5508:
	s_mov_b32 s50, 0x43000000
	v_add_f32_e64 v1, |v80|, s50
; %bb.5509:
	s_or_b64 exec, exec, vcc
                                        ; implicit-def: $vgpr4
.LBB47_5510:
	s_andn2_saveexec_b64 s[48:49], s[48:49]
; %bb.5511:
	s_mov_b32 vcc_lo, 0x7f800000
	v_mov_b32_e32 v1, 0x7c
	v_mov_b32_e32 v5, 0x7f
	v_cmp_lt_u32_e32 vcc, vcc_lo, v4
	v_cndmask_b32_e32 v1, v1, v5, vcc
; %bb.5512:
	s_or_b64 exec, exec, s[48:49]
	v_lshrrev_b32_e32 v4, 24, v80
	s_movk_i32 vcc_lo, 0x80
	v_and_or_b32 v1, v4, vcc_lo, v1
	flat_store_byte v[2:3], v1
.LBB47_5513:
	s_or_b64 exec, exec, s[46:47]
	s_or_b64 s[46:47], s[38:39], exec
                                        ; implicit-def: $vgpr80
                                        ; implicit-def: $vgpr2_vgpr3
.LBB47_5514:
	s_or_saveexec_b64 s[44:45], s[44:45]
	s_mov_b64 vcc, s[40:41]
	s_xor_b64 exec, exec, s[44:45]
	s_cbranch_execz .LBB47_5524
; %bb.5515:
	v_mov_b32_e32 v1, 14
	v_cmp_gt_i16_sdwa vcc, v11, v1 src0_sel:BYTE_0 src1_sel:DWORD
	s_mov_b64 s[48:49], s[46:47]
	s_mov_b64 s[50:51], s[40:41]
	s_and_saveexec_b64 s[52:53], vcc
	s_xor_b64 s[52:53], exec, s[52:53]
	s_cbranch_execz .LBB47_5519
; %bb.5516:
	v_mov_b32_e32 v1, 15
	v_cmp_eq_u16_sdwa s[54:55], v11, v1 src0_sel:BYTE_0 src1_sel:DWORD
	s_mov_b64 s[50:51], -1
	s_mov_b64 vcc, s[46:47]
	s_and_saveexec_b64 s[48:49], s[54:55]
	s_cbranch_execz .LBB47_5518
; %bb.5517:
	v_bfe_u32 v1, v80, 16, 1
	s_movk_i32 vcc_lo, 0x7fff
	v_add3_u32 v1, v80, v1, vcc_lo
	v_lshrrev_b32_e32 v1, 16, v1
	v_mov_b32_e32 v4, 0x7fc0
	v_cmp_o_f32_e32 vcc, v80, v80
	v_cndmask_b32_e32 v1, v4, v1, vcc
	flat_store_short v[2:3], v1
	s_xor_b64 s[50:51], exec, -1
	s_or_b64 vcc, s[46:47], exec
.LBB47_5518:
	s_or_b64 exec, exec, s[48:49]
	s_andn2_b64 s[48:49], s[40:41], exec
	s_and_b64 s[50:51], s[50:51], exec
	s_or_b64 s[50:51], s[48:49], s[50:51]
	s_andn2_b64 s[48:49], s[46:47], exec
	s_and_b64 vcc, vcc, exec
	s_or_b64 s[48:49], s[48:49], vcc
                                        ; implicit-def: $vgpr80
                                        ; implicit-def: $vgpr2_vgpr3
.LBB47_5519:
	s_andn2_saveexec_b64 s[52:53], s[52:53]
	s_cbranch_execz .LBB47_5523
; %bb.5520:
	v_mov_b32_e32 v1, 11
	v_cmp_eq_u16_sdwa s[58:59], v11, v1 src0_sel:BYTE_0 src1_sel:DWORD
	s_mov_b64 s[54:55], -1
	s_mov_b64 vcc, s[48:49]
	s_and_saveexec_b64 s[56:57], s[58:59]
	s_cbranch_execz .LBB47_5522
; %bb.5521:
	v_cmp_neq_f32_e32 vcc, 0, v80
	v_cndmask_b32_e64 v1, 0, 1, vcc
	flat_store_byte v[2:3], v1
	s_xor_b64 s[54:55], exec, -1
	s_or_b64 vcc, s[48:49], exec
.LBB47_5522:
	s_or_b64 exec, exec, s[56:57]
	s_andn2_b64 s[50:51], s[50:51], exec
	s_and_b64 s[54:55], s[54:55], exec
	s_andn2_b64 s[48:49], s[48:49], exec
	s_and_b64 vcc, vcc, exec
	s_or_b64 s[50:51], s[50:51], s[54:55]
	s_or_b64 s[48:49], s[48:49], vcc
.LBB47_5523:
	s_or_b64 exec, exec, s[52:53]
	s_andn2_b64 vcc, s[40:41], exec
	s_and_b64 s[50:51], s[50:51], exec
	s_andn2_b64 s[46:47], s[46:47], exec
	s_and_b64 s[48:49], s[48:49], exec
	s_or_b64 vcc, vcc, s[50:51]
	s_or_b64 s[46:47], s[46:47], s[48:49]
.LBB47_5524:
	s_or_b64 exec, exec, s[44:45]
	s_andn2_b64 s[40:41], s[40:41], exec
	s_and_b64 vcc, vcc, exec
	s_or_b64 s[40:41], s[40:41], vcc
	s_andn2_b64 vcc, s[38:39], exec
	s_and_b64 s[38:39], s[46:47], exec
	s_or_b64 s[38:39], vcc, s[38:39]
.LBB47_5525:
	s_or_b64 exec, exec, s[42:43]
	s_andn2_b64 vcc, s[4:5], exec
	s_and_b64 s[40:41], s[40:41], exec
	s_or_b64 s[40:41], vcc, s[40:41]
	s_and_b64 s[38:39], s[38:39], exec
                                        ; implicit-def: $vgpr80
                                        ; implicit-def: $vgpr2_vgpr3
	s_andn2_saveexec_b64 s[34:35], s[34:35]
	s_cbranch_execz .LBB47_3888
.LBB47_5526:
	v_mov_b32_e32 v1, 4
	v_cmp_gt_i16_sdwa vcc, v11, v1 src0_sel:BYTE_0 src1_sel:DWORD
	s_and_saveexec_b64 s[42:43], vcc
	s_xor_b64 vcc, exec, s[42:43]
	s_cbranch_execz .LBB47_5548
; %bb.5527:
	v_mov_b32_e32 v1, 7
	v_cmp_gt_i16_sdwa s[42:43], v11, v1 src0_sel:BYTE_0 src1_sel:DWORD
	s_and_saveexec_b64 s[44:45], s[42:43]
	s_xor_b64 s[42:43], exec, s[44:45]
	s_cbranch_execz .LBB47_5537
; %bb.5528:
	v_mov_b32_e32 v1, 8
	v_cmp_gt_i16_sdwa s[44:45], v11, v1 src0_sel:BYTE_0 src1_sel:DWORD
	s_and_saveexec_b64 s[46:47], s[44:45]
	s_xor_b64 s[44:45], exec, s[46:47]
	;; [unrolled: 6-line block ×3, first 2 shown]
	s_cbranch_execz .LBB47_5531
; %bb.5530:
	v_mov_b32_e32 v82, 0
	v_cvt_f64_f32_e32 v[80:81], v80
	v_mov_b32_e32 v83, v82
	flat_store_dwordx4 v[2:3], v[80:83]
                                        ; implicit-def: $vgpr80
                                        ; implicit-def: $vgpr2_vgpr3
.LBB47_5531:
	s_andn2_saveexec_b64 s[46:47], s[46:47]
	s_cbranch_execz .LBB47_5533
; %bb.5532:
	v_mov_b32_e32 v81, 0
	flat_store_dwordx2 v[2:3], v[80:81]
.LBB47_5533:
	s_or_b64 exec, exec, s[46:47]
                                        ; implicit-def: $vgpr80
                                        ; implicit-def: $vgpr2_vgpr3
.LBB47_5534:
	s_andn2_saveexec_b64 s[44:45], s[44:45]
	s_cbranch_execz .LBB47_5536
; %bb.5535:
	v_cvt_f16_f32_e32 v1, v80
	flat_store_dword v[2:3], v1
.LBB47_5536:
	s_or_b64 exec, exec, s[44:45]
                                        ; implicit-def: $vgpr80
                                        ; implicit-def: $vgpr2_vgpr3
.LBB47_5537:
	s_andn2_saveexec_b64 s[42:43], s[42:43]
	s_cbranch_execz .LBB47_5547
; %bb.5538:
	v_mov_b32_e32 v1, 5
	v_cmp_gt_i16_sdwa s[44:45], v11, v1 src0_sel:BYTE_0 src1_sel:DWORD
	s_and_saveexec_b64 s[46:47], s[44:45]
	s_xor_b64 s[44:45], exec, s[46:47]
	s_cbranch_execz .LBB47_5544
; %bb.5539:
	v_mov_b32_e32 v1, 6
	v_cmp_gt_i16_sdwa s[46:47], v11, v1 src0_sel:BYTE_0 src1_sel:DWORD
	s_and_saveexec_b64 s[48:49], s[46:47]
	s_xor_b64 s[46:47], exec, s[48:49]
	s_cbranch_execz .LBB47_5541
; %bb.5540:
	v_cvt_f64_f32_e32 v[4:5], v80
	flat_store_dwordx2 v[2:3], v[4:5]
                                        ; implicit-def: $vgpr2_vgpr3
                                        ; implicit-def: $vgpr80
.LBB47_5541:
	s_andn2_saveexec_b64 s[46:47], s[46:47]
	s_cbranch_execz .LBB47_5543
; %bb.5542:
	flat_store_dword v[2:3], v80
.LBB47_5543:
	s_or_b64 exec, exec, s[46:47]
                                        ; implicit-def: $vgpr80
                                        ; implicit-def: $vgpr2_vgpr3
.LBB47_5544:
	s_andn2_saveexec_b64 s[44:45], s[44:45]
	s_cbranch_execz .LBB47_5546
; %bb.5545:
	v_cvt_f16_f32_e32 v1, v80
	flat_store_short v[2:3], v1
.LBB47_5546:
	s_or_b64 exec, exec, s[44:45]
.LBB47_5547:
	s_or_b64 exec, exec, s[42:43]
                                        ; implicit-def: $vgpr80
                                        ; implicit-def: $vgpr2_vgpr3
.LBB47_5548:
	s_andn2_saveexec_b64 s[42:43], vcc
	s_cbranch_execz .LBB47_5566
; %bb.5549:
	v_mov_b32_e32 v1, 1
	v_cmp_gt_i16_sdwa vcc, v11, v1 src0_sel:BYTE_0 src1_sel:DWORD
	s_and_saveexec_b64 s[44:45], vcc
	s_xor_b64 s[44:45], exec, s[44:45]
	s_cbranch_execz .LBB47_5559
; %bb.5550:
	v_mov_b32_e32 v1, 2
	v_cmp_gt_i16_sdwa vcc, v11, v1 src0_sel:BYTE_0 src1_sel:DWORD
	s_and_saveexec_b64 s[46:47], vcc
	s_xor_b64 s[46:47], exec, s[46:47]
	;; [unrolled: 6-line block ×3, first 2 shown]
	s_cbranch_execz .LBB47_5553
; %bb.5552:
	v_trunc_f32_e32 v1, v80
	s_mov_b32 s50, 0x2f800000
	v_mul_f32_e64 v4, |v1|, s50
	v_floor_f32_e32 v4, v4
	s_mov_b32 s50, 0xcf800000
	v_cvt_u32_f32_e32 v5, v4
	v_fma_f32 v4, v4, s50, |v1|
	v_cvt_u32_f32_e32 v4, v4
	v_ashrrev_i32_e32 v1, 31, v1
	v_xor_b32_e32 v5, v5, v1
                                        ; implicit-def: $vgpr80
	v_xor_b32_e32 v4, v4, v1
	v_sub_co_u32_e32 v4, vcc, v4, v1
	v_subb_co_u32_e32 v5, vcc, v5, v1, vcc
	flat_store_dwordx2 v[2:3], v[4:5]
                                        ; implicit-def: $vgpr2_vgpr3
.LBB47_5553:
	s_andn2_saveexec_b64 vcc, s[48:49]
	s_cbranch_execz .LBB47_5555
; %bb.5554:
	v_cvt_i32_f32_e32 v1, v80
	flat_store_dword v[2:3], v1
.LBB47_5555:
	s_or_b64 exec, exec, vcc
                                        ; implicit-def: $vgpr80
                                        ; implicit-def: $vgpr2_vgpr3
.LBB47_5556:
	s_andn2_saveexec_b64 vcc, s[46:47]
	s_cbranch_execz .LBB47_5558
; %bb.5557:
	v_cvt_i32_f32_e32 v1, v80
	flat_store_short v[2:3], v1
.LBB47_5558:
	s_or_b64 exec, exec, vcc
                                        ; implicit-def: $vgpr80
                                        ; implicit-def: $vgpr2_vgpr3
.LBB47_5559:
	s_andn2_saveexec_b64 vcc, s[44:45]
	s_cbranch_execz .LBB47_5565
; %bb.5560:
	v_mov_b32_e32 v1, 0
	v_cmp_gt_i16_sdwa s[44:45], v11, v1 src0_sel:BYTE_0 src1_sel:DWORD
	s_and_saveexec_b64 s[46:47], s[44:45]
	s_xor_b64 s[44:45], exec, s[46:47]
	s_cbranch_execz .LBB47_5562
; %bb.5561:
	v_cvt_i32_f32_e32 v1, v80
                                        ; implicit-def: $vgpr80
	flat_store_byte v[2:3], v1
                                        ; implicit-def: $vgpr2_vgpr3
.LBB47_5562:
	s_andn2_saveexec_b64 s[44:45], s[44:45]
	s_cbranch_execz .LBB47_5564
; %bb.5563:
	v_trunc_f32_e32 v1, v80
	s_mov_b32 s46, 0x2f800000
	v_mul_f32_e64 v4, |v1|, s46
	v_floor_f32_e32 v4, v4
	s_mov_b32 s46, 0xcf800000
	v_fma_f32 v4, v4, s46, |v1|
	v_cvt_u32_f32_e32 v4, v4
	v_ashrrev_i32_e32 v1, 31, v1
	v_xor_b32_e32 v4, v4, v1
	v_sub_u32_e32 v1, v4, v1
	flat_store_byte v[2:3], v1
.LBB47_5564:
	s_or_b64 exec, exec, s[44:45]
.LBB47_5565:
	s_or_b64 exec, exec, vcc
.LBB47_5566:
	s_or_b64 exec, exec, s[42:43]
	s_or_b64 s[38:39], s[38:39], exec
	s_or_b64 exec, exec, s[34:35]
	s_mov_b64 vcc, 0
	s_and_saveexec_b64 s[34:35], s[38:39]
	s_cbranch_execnz .LBB47_3889
	s_branch .LBB47_3890
.LBB47_5567:
	v_bfe_u32 v1, v98, 20, 1
	s_mov_b32 s30, 0x487ffff
	v_add3_u32 v1, v98, v1, s30
	s_mov_b64 s[28:29], exec
	v_lshrrev_b32_e32 v1, 20, v1
	s_or_saveexec_b64 s[30:31], vcc
                                        ; implicit-def: $sgpr34
	s_xor_b64 exec, exec, s[30:31]
	s_cbranch_execz .LBB47_4860
.LBB47_5568:
	s_mov_b32 s34, 0x46000000
	v_add_f32_e64 v1, |v98|, s34
	v_and_b32_e32 v1, 0xff, v1
	v_cmp_ne_u32_e32 vcc, 0, v1
	s_andn2_b64 s[28:29], s[28:29], exec
	s_and_b64 vcc, vcc, exec
	s_mov_b32 s34, 0
	s_or_b64 s[28:29], s[28:29], vcc
	s_or_b64 exec, exec, s[30:31]
	v_mov_b32_e32 v4, s34
	s_and_saveexec_b64 vcc, s[28:29]
	s_cbranch_execnz .LBB47_4861
	s_branch .LBB47_4862
.LBB47_5569:
	v_mov_b32_e32 v1, 25
	v_cmp_gt_i16_sdwa vcc, v11, v1 src0_sel:BYTE_0 src1_sel:DWORD
	s_mov_b64 s[44:45], s[34:35]
	s_and_saveexec_b64 s[46:47], vcc
	s_xor_b64 s[46:47], exec, s[46:47]
	s_cbranch_execz .LBB47_5605
; %bb.5570:
	v_mov_b32_e32 v1, 28
	v_cmp_gt_i16_sdwa vcc, v11, v1 src0_sel:BYTE_0 src1_sel:DWORD
	s_mov_b64 s[48:49], 0
	s_mov_b64 s[44:45], s[34:35]
	s_and_saveexec_b64 s[42:43], vcc
	s_xor_b64 s[42:43], exec, s[42:43]
	s_cbranch_execz .LBB47_5588
; %bb.5571:
	v_mov_b32_e32 v1, 43
	v_cmp_gt_i16_sdwa s[44:45], v11, v1 src0_sel:BYTE_0 src1_sel:DWORD
	s_mov_b64 vcc, 0
	s_mov_b64 s[52:53], s[34:35]
	s_and_saveexec_b64 s[48:49], s[44:45]
	s_xor_b64 s[44:45], exec, s[48:49]
	s_cbranch_execz .LBB47_5583
; %bb.5572:
	v_mov_b32_e32 v1, 45
	s_mov_b64 s[48:49], s[4:5]
	v_cmp_gt_i16_sdwa s[4:5], v11, v1 src0_sel:BYTE_0 src1_sel:DWORD
	s_mov_b64 s[50:51], 0
	s_mov_b64 s[52:53], s[34:35]
	s_and_saveexec_b64 vcc, s[4:5]
	s_xor_b64 s[4:5], exec, vcc
	s_cbranch_execz .LBB47_5576
; %bb.5573:
	v_mov_b32_e32 v1, 46
	v_cmp_eq_u16_sdwa s[54:55], v11, v1 src0_sel:BYTE_0 src1_sel:DWORD
	s_mov_b64 vcc, -1
	s_and_saveexec_b64 s[52:53], s[54:55]
	s_cbranch_execz .LBB47_5575
; %bb.5574:
	v_bfe_u32 v1, v70, 16, 1
	s_movk_i32 vcc_lo, 0x7fff
	v_add3_u32 v1, v70, v1, vcc_lo
	v_lshrrev_b32_e32 v1, 16, v1
	v_mov_b32_e32 v4, 0x7fc0
	v_cmp_o_f32_e32 vcc, v70, v70
	v_cndmask_b32_e32 v1, v4, v1, vcc
	s_mov_b64 s[50:51], exec
	flat_store_dword v[2:3], v1
	s_xor_b64 vcc, exec, -1
.LBB47_5575:
	s_or_b64 exec, exec, s[52:53]
	s_andn2_b64 s[52:53], s[34:35], exec
	s_and_b64 vcc, vcc, exec
	s_or_b64 s[52:53], s[52:53], vcc
	s_and_b64 s[50:51], s[50:51], exec
                                        ; implicit-def: $vgpr2_vgpr3
                                        ; implicit-def: $vgpr70
.LBB47_5576:
	s_andn2_saveexec_b64 s[54:55], s[4:5]
	s_cbranch_execz .LBB47_5582
; %bb.5577:
	v_mov_b32_e32 v1, 44
	v_cmp_eq_u16_sdwa s[58:59], v11, v1 src0_sel:BYTE_0 src1_sel:DWORD
	s_mov_b64 vcc, -1
	s_mov_b64 s[4:5], s[50:51]
	s_and_saveexec_b64 s[56:57], s[58:59]
	s_cbranch_execz .LBB47_5581
; %bb.5578:
	v_bfe_u32 v1, v70, 23, 8
	s_movk_i32 s4, 0xff
	v_cmp_ne_u32_e32 vcc, s4, v1
	v_mov_b32_e32 v4, 0xff
	s_and_saveexec_b64 s[58:59], vcc
; %bb.5579:
	s_mov_b32 s4, 0x3fffff
	v_and_b32_e32 v5, 0x400000, v70
	v_and_or_b32 v1, v70, s4, v1
	v_cmp_ne_u32_e32 vcc, 0, v5
	v_cmp_ne_u32_e64 s[4:5], 0, v1
	s_and_b64 s[4:5], vcc, s[4:5]
	v_lshrrev_b32_e32 v4, 23, v70
	v_cndmask_b32_e64 v1, 0, 1, s[4:5]
	v_add_u32_e32 v4, v4, v1
; %bb.5580:
	s_or_b64 exec, exec, s[58:59]
	s_xor_b64 vcc, exec, -1
	s_or_b64 s[4:5], s[50:51], exec
	flat_store_byte v[2:3], v4
.LBB47_5581:
	s_or_b64 exec, exec, s[56:57]
	s_andn2_b64 s[52:53], s[52:53], exec
	s_and_b64 vcc, vcc, exec
	s_or_b64 s[52:53], s[52:53], vcc
	s_andn2_b64 vcc, s[50:51], exec
	s_and_b64 s[4:5], s[4:5], exec
	s_or_b64 s[50:51], vcc, s[4:5]
.LBB47_5582:
	s_or_b64 exec, exec, s[54:55]
	s_andn2_b64 s[4:5], s[34:35], exec
	s_and_b64 vcc, s[52:53], exec
	s_or_b64 s[52:53], s[4:5], vcc
	s_and_b64 vcc, s[50:51], exec
	s_mov_b64 s[4:5], s[48:49]
                                        ; implicit-def: $vgpr70
                                        ; implicit-def: $vgpr2_vgpr3
.LBB47_5583:
	s_andn2_saveexec_b64 s[44:45], s[44:45]
	s_cbranch_execz .LBB47_5587
; %bb.5584:
	v_mov_b32_e32 v1, 29
	v_cmp_eq_u16_sdwa s[56:57], v11, v1 src0_sel:BYTE_0 src1_sel:DWORD
	s_mov_b64 s[54:55], -1
	s_mov_b64 s[50:51], vcc
	s_and_saveexec_b64 s[48:49], s[56:57]
	s_cbranch_execz .LBB47_5586
; %bb.5585:
	v_trunc_f32_e32 v1, v70
	v_mul_f32_e32 v4, 0x2f800000, v1
	v_floor_f32_e32 v4, v4
	v_fmac_f32_e32 v1, 0xcf800000, v4
	v_cvt_u32_f32_e32 v5, v4
	v_cvt_u32_f32_e32 v4, v1
	s_xor_b64 s[54:55], exec, -1
	s_or_b64 s[50:51], vcc, exec
	flat_store_dwordx2 v[2:3], v[4:5]
.LBB47_5586:
	s_or_b64 exec, exec, s[48:49]
	s_andn2_b64 s[48:49], s[52:53], exec
	s_and_b64 s[52:53], s[54:55], exec
	s_or_b64 s[52:53], s[48:49], s[52:53]
	s_andn2_b64 vcc, vcc, exec
	s_and_b64 s[48:49], s[50:51], exec
	s_or_b64 vcc, vcc, s[48:49]
.LBB47_5587:
	s_or_b64 exec, exec, s[44:45]
	s_andn2_b64 s[44:45], s[34:35], exec
	s_and_b64 s[48:49], s[52:53], exec
	s_or_b64 s[44:45], s[44:45], s[48:49]
	s_and_b64 s[48:49], vcc, exec
                                        ; implicit-def: $vgpr2_vgpr3
                                        ; implicit-def: $vgpr70
.LBB47_5588:
	s_andn2_saveexec_b64 s[42:43], s[42:43]
	s_cbranch_execz .LBB47_5604
; %bb.5589:
	v_mov_b32_e32 v1, 26
	v_cmp_gt_i16_sdwa vcc, v11, v1 src0_sel:BYTE_0 src1_sel:DWORD
	s_and_saveexec_b64 s[50:51], vcc
	s_xor_b64 vcc, exec, s[50:51]
	s_cbranch_execz .LBB47_5595
; %bb.5590:
	v_cvt_u32_f32_e32 v1, v70
	v_mov_b32_e32 v4, 27
	v_cmp_gt_i16_sdwa s[50:51], v11, v4 src0_sel:BYTE_0 src1_sel:DWORD
	s_and_saveexec_b64 s[52:53], s[50:51]
	s_xor_b64 s[50:51], exec, s[52:53]
	s_cbranch_execz .LBB47_5592
; %bb.5591:
	flat_store_dword v[2:3], v1
                                        ; implicit-def: $vgpr2_vgpr3
                                        ; implicit-def: $vgpr1
.LBB47_5592:
	s_andn2_saveexec_b64 s[50:51], s[50:51]
	s_cbranch_execz .LBB47_5594
; %bb.5593:
	flat_store_short v[2:3], v1
.LBB47_5594:
	s_or_b64 exec, exec, s[50:51]
                                        ; implicit-def: $vgpr2_vgpr3
                                        ; implicit-def: $vgpr70
.LBB47_5595:
	s_andn2_saveexec_b64 s[50:51], vcc
	s_cbranch_execz .LBB47_5603
; %bb.5596:
	v_and_b32_e32 v1, 0x7fffffff, v70
	s_mov_b32 vcc_lo, 0x43800000
	v_cmp_gt_u32_e32 vcc, vcc_lo, v1
	v_mov_b32_e32 v4, 0x80
	s_and_saveexec_b64 s[52:53], vcc
	s_cbranch_execz .LBB47_5602
; %bb.5597:
	s_mov_b32 vcc_lo, 0x3bffffff
	v_cmp_lt_u32_e32 vcc, vcc_lo, v1
	s_mov_b64 s[54:55], 0
                                        ; implicit-def: $vgpr1
	s_and_saveexec_b64 s[56:57], vcc
	s_xor_b64 vcc, exec, s[56:57]
	s_cbranch_execnz .LBB47_6323
; %bb.5598:
	s_or_saveexec_b64 s[56:57], vcc
                                        ; implicit-def: $sgpr58
	s_xor_b64 exec, exec, s[56:57]
	s_cbranch_execnz .LBB47_6324
.LBB47_5599:
	s_or_b64 exec, exec, s[56:57]
	v_mov_b32_e32 v4, s58
	s_and_saveexec_b64 vcc, s[54:55]
.LBB47_5600:
	v_lshrrev_b32_e32 v4, 24, v70
	s_movk_i32 s54, 0x80
	v_and_or_b32 v4, v4, s54, v1
.LBB47_5601:
	s_or_b64 exec, exec, vcc
.LBB47_5602:
	s_or_b64 exec, exec, s[52:53]
	flat_store_byte v[2:3], v4
.LBB47_5603:
	s_or_b64 exec, exec, s[50:51]
	s_or_b64 s[48:49], s[48:49], exec
.LBB47_5604:
	s_or_b64 exec, exec, s[42:43]
	s_andn2_b64 vcc, s[34:35], exec
	s_and_b64 s[42:43], s[44:45], exec
	s_or_b64 s[44:45], vcc, s[42:43]
	s_and_b64 s[42:43], s[48:49], exec
                                        ; implicit-def: $vgpr70
                                        ; implicit-def: $vgpr2_vgpr3
.LBB47_5605:
	s_andn2_saveexec_b64 s[46:47], s[46:47]
	s_cbranch_execz .LBB47_5649
; %bb.5606:
	v_mov_b32_e32 v1, 22
	v_cmp_gt_i16_sdwa vcc, v11, v1 src0_sel:BYTE_0 src1_sel:DWORD
	s_mov_b64 s[50:51], s[42:43]
	s_and_saveexec_b64 s[48:49], vcc
	s_xor_b64 s[48:49], exec, s[48:49]
	s_cbranch_execz .LBB47_5638
; %bb.5607:
	v_mov_b32_e32 v1, 23
	v_cmp_gt_i16_sdwa vcc, v11, v1 src0_sel:BYTE_0 src1_sel:DWORD
	s_and_saveexec_b64 s[50:51], vcc
	s_xor_b64 s[50:51], exec, s[50:51]
	s_cbranch_execz .LBB47_5627
; %bb.5608:
	v_mov_b32_e32 v1, 24
	v_cmp_gt_i16_sdwa vcc, v11, v1 src0_sel:BYTE_0 src1_sel:DWORD
	s_and_saveexec_b64 s[52:53], vcc
	s_xor_b64 s[52:53], exec, s[52:53]
	s_cbranch_execz .LBB47_5616
; %bb.5609:
	v_and_b32_e32 v1, 0x7fffffff, v70
	s_mov_b32 vcc_lo, 0x47800000
	v_cmp_gt_u32_e32 vcc, vcc_lo, v1
	v_mov_b32_e32 v4, 0x80
	s_and_saveexec_b64 s[54:55], vcc
	s_cbranch_execz .LBB47_5615
; %bb.5610:
	s_mov_b32 vcc_lo, 0x37ffffff
	v_cmp_lt_u32_e32 vcc, vcc_lo, v1
	s_mov_b64 s[56:57], 0
                                        ; implicit-def: $vgpr1
	s_and_saveexec_b64 s[58:59], vcc
	s_xor_b64 vcc, exec, s[58:59]
	s_cbranch_execnz .LBB47_6447
; %bb.5611:
	s_or_saveexec_b64 s[58:59], vcc
                                        ; implicit-def: $sgpr60
	s_xor_b64 exec, exec, s[58:59]
	s_cbranch_execnz .LBB47_6448
.LBB47_5612:
	s_or_b64 exec, exec, s[58:59]
	v_mov_b32_e32 v4, s60
	s_and_saveexec_b64 vcc, s[56:57]
.LBB47_5613:
	v_lshrrev_b32_e32 v4, 24, v70
	s_movk_i32 s56, 0x80
	v_and_or_b32 v4, v4, s56, v1
.LBB47_5614:
	s_or_b64 exec, exec, vcc
.LBB47_5615:
	s_or_b64 exec, exec, s[54:55]
	flat_store_byte v[2:3], v4
                                        ; implicit-def: $vgpr70
                                        ; implicit-def: $vgpr2_vgpr3
.LBB47_5616:
	s_andn2_saveexec_b64 s[52:53], s[52:53]
	s_cbranch_execz .LBB47_5626
; %bb.5617:
	v_and_b32_e32 v4, 0x7fffffff, v70
	s_mov_b32 vcc_lo, 0x43f00000
	v_cmp_gt_u32_e32 vcc, vcc_lo, v4
                                        ; implicit-def: $vgpr1
	s_and_saveexec_b64 s[54:55], vcc
	s_xor_b64 s[54:55], exec, s[54:55]
	s_cbranch_execz .LBB47_5623
; %bb.5618:
	s_mov_b32 vcc_lo, 0x3c7fffff
	v_cmp_lt_u32_e32 vcc, vcc_lo, v4
                                        ; implicit-def: $vgpr1
	s_and_saveexec_b64 s[56:57], vcc
	s_xor_b64 s[56:57], exec, s[56:57]
; %bb.5619:
	v_bfe_u32 v1, v70, 20, 1
	s_mov_b32 vcc_lo, 0x407ffff
	v_add3_u32 v1, v70, v1, vcc_lo
	v_lshrrev_b32_e32 v4, 20, v1
	v_and_b32_e32 v1, 0xff00000, v1
	s_mov_b32 vcc_lo, 0x7f00000
	v_mov_b32_e32 v5, 0x7e
	v_cmp_ne_u32_e32 vcc, vcc_lo, v1
	v_cndmask_b32_e32 v1, v5, v4, vcc
; %bb.5620:
	s_andn2_saveexec_b64 vcc, s[56:57]
; %bb.5621:
	s_mov_b32 s56, 0x46800000
	v_add_f32_e64 v1, |v70|, s56
; %bb.5622:
	s_or_b64 exec, exec, vcc
                                        ; implicit-def: $vgpr4
.LBB47_5623:
	s_andn2_saveexec_b64 s[54:55], s[54:55]
; %bb.5624:
	s_mov_b32 vcc_lo, 0x7f800000
	v_mov_b32_e32 v1, 0x7e
	v_mov_b32_e32 v5, 0x7f
	v_cmp_lt_u32_e32 vcc, vcc_lo, v4
	v_cndmask_b32_e32 v1, v1, v5, vcc
; %bb.5625:
	s_or_b64 exec, exec, s[54:55]
	v_lshrrev_b32_e32 v4, 24, v70
	s_movk_i32 vcc_lo, 0x80
	v_and_or_b32 v1, v4, vcc_lo, v1
	flat_store_byte v[2:3], v1
.LBB47_5626:
	s_or_b64 exec, exec, s[52:53]
                                        ; implicit-def: $vgpr70
                                        ; implicit-def: $vgpr2_vgpr3
.LBB47_5627:
	s_andn2_saveexec_b64 s[50:51], s[50:51]
	s_cbranch_execz .LBB47_5637
; %bb.5628:
	v_and_b32_e32 v4, 0x7fffffff, v70
	s_mov_b32 vcc_lo, 0x47800000
	v_cmp_gt_u32_e32 vcc, vcc_lo, v4
                                        ; implicit-def: $vgpr1
	s_and_saveexec_b64 s[52:53], vcc
	s_xor_b64 s[52:53], exec, s[52:53]
	s_cbranch_execz .LBB47_5634
; %bb.5629:
	s_mov_b32 vcc_lo, 0x387fffff
	v_cmp_lt_u32_e32 vcc, vcc_lo, v4
                                        ; implicit-def: $vgpr1
	s_and_saveexec_b64 s[54:55], vcc
	s_xor_b64 vcc, exec, s[54:55]
; %bb.5630:
	v_bfe_u32 v1, v70, 21, 1
	s_mov_b32 s54, 0x80fffff
	v_add3_u32 v1, v70, v1, s54
	v_lshrrev_b32_e32 v1, 21, v1
; %bb.5631:
	s_andn2_saveexec_b64 vcc, vcc
; %bb.5632:
	s_mov_b32 s54, 0x43000000
	v_add_f32_e64 v1, |v70|, s54
; %bb.5633:
	s_or_b64 exec, exec, vcc
                                        ; implicit-def: $vgpr4
.LBB47_5634:
	s_andn2_saveexec_b64 s[52:53], s[52:53]
; %bb.5635:
	s_mov_b32 vcc_lo, 0x7f800000
	v_mov_b32_e32 v1, 0x7c
	v_mov_b32_e32 v5, 0x7f
	v_cmp_lt_u32_e32 vcc, vcc_lo, v4
	v_cndmask_b32_e32 v1, v1, v5, vcc
; %bb.5636:
	s_or_b64 exec, exec, s[52:53]
	v_lshrrev_b32_e32 v4, 24, v70
	s_movk_i32 vcc_lo, 0x80
	v_and_or_b32 v1, v4, vcc_lo, v1
	flat_store_byte v[2:3], v1
.LBB47_5637:
	s_or_b64 exec, exec, s[50:51]
	s_or_b64 s[50:51], s[42:43], exec
                                        ; implicit-def: $vgpr70
                                        ; implicit-def: $vgpr2_vgpr3
.LBB47_5638:
	s_or_saveexec_b64 s[48:49], s[48:49]
	s_mov_b64 vcc, s[44:45]
	s_xor_b64 exec, exec, s[48:49]
	s_cbranch_execz .LBB47_5648
; %bb.5639:
	v_mov_b32_e32 v1, 14
	v_cmp_gt_i16_sdwa vcc, v11, v1 src0_sel:BYTE_0 src1_sel:DWORD
	s_mov_b64 s[52:53], s[50:51]
	s_mov_b64 s[54:55], s[44:45]
	s_and_saveexec_b64 s[56:57], vcc
	s_xor_b64 s[56:57], exec, s[56:57]
	s_cbranch_execz .LBB47_5643
; %bb.5640:
	v_mov_b32_e32 v1, 15
	v_cmp_eq_u16_sdwa s[58:59], v11, v1 src0_sel:BYTE_0 src1_sel:DWORD
	s_mov_b64 s[54:55], -1
	s_mov_b64 vcc, s[50:51]
	s_and_saveexec_b64 s[52:53], s[58:59]
	s_cbranch_execz .LBB47_5642
; %bb.5641:
	v_bfe_u32 v1, v70, 16, 1
	s_movk_i32 vcc_lo, 0x7fff
	v_add3_u32 v1, v70, v1, vcc_lo
	v_lshrrev_b32_e32 v1, 16, v1
	v_mov_b32_e32 v4, 0x7fc0
	v_cmp_o_f32_e32 vcc, v70, v70
	v_cndmask_b32_e32 v1, v4, v1, vcc
	flat_store_short v[2:3], v1
	s_xor_b64 s[54:55], exec, -1
	s_or_b64 vcc, s[50:51], exec
.LBB47_5642:
	s_or_b64 exec, exec, s[52:53]
	s_andn2_b64 s[52:53], s[44:45], exec
	s_and_b64 s[54:55], s[54:55], exec
	s_or_b64 s[54:55], s[52:53], s[54:55]
	s_andn2_b64 s[52:53], s[50:51], exec
	s_and_b64 vcc, vcc, exec
	s_or_b64 s[52:53], s[52:53], vcc
                                        ; implicit-def: $vgpr70
                                        ; implicit-def: $vgpr2_vgpr3
.LBB47_5643:
	s_andn2_saveexec_b64 s[56:57], s[56:57]
	s_cbranch_execz .LBB47_5647
; %bb.5644:
	v_mov_b32_e32 v1, 11
	v_cmp_eq_u16_sdwa s[62:63], v11, v1 src0_sel:BYTE_0 src1_sel:DWORD
	s_mov_b64 s[58:59], -1
	s_mov_b64 vcc, s[52:53]
	s_and_saveexec_b64 s[60:61], s[62:63]
	s_cbranch_execz .LBB47_5646
; %bb.5645:
	v_cmp_neq_f32_e32 vcc, 0, v70
	v_cndmask_b32_e64 v1, 0, 1, vcc
	flat_store_byte v[2:3], v1
	s_xor_b64 s[58:59], exec, -1
	s_or_b64 vcc, s[52:53], exec
.LBB47_5646:
	s_or_b64 exec, exec, s[60:61]
	s_andn2_b64 s[54:55], s[54:55], exec
	s_and_b64 s[58:59], s[58:59], exec
	s_andn2_b64 s[52:53], s[52:53], exec
	s_and_b64 vcc, vcc, exec
	s_or_b64 s[54:55], s[54:55], s[58:59]
	s_or_b64 s[52:53], s[52:53], vcc
.LBB47_5647:
	s_or_b64 exec, exec, s[56:57]
	s_andn2_b64 vcc, s[44:45], exec
	s_and_b64 s[54:55], s[54:55], exec
	s_andn2_b64 s[50:51], s[50:51], exec
	s_and_b64 s[52:53], s[52:53], exec
	s_or_b64 vcc, vcc, s[54:55]
	s_or_b64 s[50:51], s[50:51], s[52:53]
.LBB47_5648:
	s_or_b64 exec, exec, s[48:49]
	s_andn2_b64 s[44:45], s[44:45], exec
	s_and_b64 vcc, vcc, exec
	s_or_b64 s[44:45], s[44:45], vcc
	s_andn2_b64 vcc, s[42:43], exec
	s_and_b64 s[42:43], s[50:51], exec
	s_or_b64 s[42:43], vcc, s[42:43]
.LBB47_5649:
	s_or_b64 exec, exec, s[46:47]
	s_andn2_b64 vcc, s[34:35], exec
	s_and_b64 s[44:45], s[44:45], exec
	s_or_b64 s[44:45], vcc, s[44:45]
	s_and_b64 s[42:43], s[42:43], exec
                                        ; implicit-def: $vgpr70
                                        ; implicit-def: $vgpr2_vgpr3
	s_andn2_saveexec_b64 s[38:39], s[38:39]
	s_cbranch_execz .LBB47_3895
.LBB47_5650:
	v_mov_b32_e32 v1, 4
	v_cmp_gt_i16_sdwa vcc, v11, v1 src0_sel:BYTE_0 src1_sel:DWORD
	s_and_saveexec_b64 s[46:47], vcc
	s_xor_b64 vcc, exec, s[46:47]
	s_cbranch_execz .LBB47_5672
; %bb.5651:
	v_mov_b32_e32 v1, 7
	v_cmp_gt_i16_sdwa s[46:47], v11, v1 src0_sel:BYTE_0 src1_sel:DWORD
	s_and_saveexec_b64 s[48:49], s[46:47]
	s_xor_b64 s[46:47], exec, s[48:49]
	s_cbranch_execz .LBB47_5661
; %bb.5652:
	v_mov_b32_e32 v1, 8
	v_cmp_gt_i16_sdwa s[48:49], v11, v1 src0_sel:BYTE_0 src1_sel:DWORD
	s_and_saveexec_b64 s[50:51], s[48:49]
	s_xor_b64 s[48:49], exec, s[50:51]
	;; [unrolled: 6-line block ×3, first 2 shown]
	s_cbranch_execz .LBB47_5655
; %bb.5654:
	v_mov_b32_e32 v82, 0
	v_cvt_f64_f32_e32 v[80:81], v70
	v_mov_b32_e32 v83, v82
	flat_store_dwordx4 v[2:3], v[80:83]
                                        ; implicit-def: $vgpr70
                                        ; implicit-def: $vgpr2_vgpr3
.LBB47_5655:
	s_andn2_saveexec_b64 s[50:51], s[50:51]
	s_cbranch_execz .LBB47_5657
; %bb.5656:
	v_mov_b32_e32 v71, 0
	flat_store_dwordx2 v[2:3], v[70:71]
.LBB47_5657:
	s_or_b64 exec, exec, s[50:51]
                                        ; implicit-def: $vgpr70
                                        ; implicit-def: $vgpr2_vgpr3
.LBB47_5658:
	s_andn2_saveexec_b64 s[48:49], s[48:49]
	s_cbranch_execz .LBB47_5660
; %bb.5659:
	v_cvt_f16_f32_e32 v1, v70
	flat_store_dword v[2:3], v1
.LBB47_5660:
	s_or_b64 exec, exec, s[48:49]
                                        ; implicit-def: $vgpr70
                                        ; implicit-def: $vgpr2_vgpr3
.LBB47_5661:
	s_andn2_saveexec_b64 s[46:47], s[46:47]
	s_cbranch_execz .LBB47_5671
; %bb.5662:
	v_mov_b32_e32 v1, 5
	v_cmp_gt_i16_sdwa s[48:49], v11, v1 src0_sel:BYTE_0 src1_sel:DWORD
	s_and_saveexec_b64 s[50:51], s[48:49]
	s_xor_b64 s[48:49], exec, s[50:51]
	s_cbranch_execz .LBB47_5668
; %bb.5663:
	v_mov_b32_e32 v1, 6
	v_cmp_gt_i16_sdwa s[50:51], v11, v1 src0_sel:BYTE_0 src1_sel:DWORD
	s_and_saveexec_b64 s[52:53], s[50:51]
	s_xor_b64 s[50:51], exec, s[52:53]
	s_cbranch_execz .LBB47_5665
; %bb.5664:
	v_cvt_f64_f32_e32 v[4:5], v70
	flat_store_dwordx2 v[2:3], v[4:5]
                                        ; implicit-def: $vgpr2_vgpr3
                                        ; implicit-def: $vgpr70
.LBB47_5665:
	s_andn2_saveexec_b64 s[50:51], s[50:51]
	s_cbranch_execz .LBB47_5667
; %bb.5666:
	flat_store_dword v[2:3], v70
.LBB47_5667:
	s_or_b64 exec, exec, s[50:51]
                                        ; implicit-def: $vgpr70
                                        ; implicit-def: $vgpr2_vgpr3
.LBB47_5668:
	s_andn2_saveexec_b64 s[48:49], s[48:49]
	s_cbranch_execz .LBB47_5670
; %bb.5669:
	v_cvt_f16_f32_e32 v1, v70
	flat_store_short v[2:3], v1
.LBB47_5670:
	s_or_b64 exec, exec, s[48:49]
.LBB47_5671:
	s_or_b64 exec, exec, s[46:47]
                                        ; implicit-def: $vgpr70
                                        ; implicit-def: $vgpr2_vgpr3
.LBB47_5672:
	s_andn2_saveexec_b64 s[46:47], vcc
	s_cbranch_execz .LBB47_5690
; %bb.5673:
	v_mov_b32_e32 v1, 1
	v_cmp_gt_i16_sdwa vcc, v11, v1 src0_sel:BYTE_0 src1_sel:DWORD
	s_and_saveexec_b64 s[48:49], vcc
	s_xor_b64 s[48:49], exec, s[48:49]
	s_cbranch_execz .LBB47_5683
; %bb.5674:
	v_mov_b32_e32 v1, 2
	v_cmp_gt_i16_sdwa vcc, v11, v1 src0_sel:BYTE_0 src1_sel:DWORD
	s_and_saveexec_b64 s[50:51], vcc
	s_xor_b64 s[50:51], exec, s[50:51]
	;; [unrolled: 6-line block ×3, first 2 shown]
	s_cbranch_execz .LBB47_5677
; %bb.5676:
	v_trunc_f32_e32 v1, v70
	s_mov_b32 s54, 0x2f800000
	v_mul_f32_e64 v4, |v1|, s54
	v_floor_f32_e32 v4, v4
	s_mov_b32 s54, 0xcf800000
	v_cvt_u32_f32_e32 v5, v4
	v_fma_f32 v4, v4, s54, |v1|
	v_cvt_u32_f32_e32 v4, v4
	v_ashrrev_i32_e32 v1, 31, v1
	v_xor_b32_e32 v5, v5, v1
                                        ; implicit-def: $vgpr70
	v_xor_b32_e32 v4, v4, v1
	v_sub_co_u32_e32 v4, vcc, v4, v1
	v_subb_co_u32_e32 v5, vcc, v5, v1, vcc
	flat_store_dwordx2 v[2:3], v[4:5]
                                        ; implicit-def: $vgpr2_vgpr3
.LBB47_5677:
	s_andn2_saveexec_b64 vcc, s[52:53]
	s_cbranch_execz .LBB47_5679
; %bb.5678:
	v_cvt_i32_f32_e32 v1, v70
	flat_store_dword v[2:3], v1
.LBB47_5679:
	s_or_b64 exec, exec, vcc
                                        ; implicit-def: $vgpr70
                                        ; implicit-def: $vgpr2_vgpr3
.LBB47_5680:
	s_andn2_saveexec_b64 vcc, s[50:51]
	s_cbranch_execz .LBB47_5682
; %bb.5681:
	v_cvt_i32_f32_e32 v1, v70
	flat_store_short v[2:3], v1
.LBB47_5682:
	s_or_b64 exec, exec, vcc
                                        ; implicit-def: $vgpr70
                                        ; implicit-def: $vgpr2_vgpr3
.LBB47_5683:
	s_andn2_saveexec_b64 vcc, s[48:49]
	s_cbranch_execz .LBB47_5689
; %bb.5684:
	v_mov_b32_e32 v1, 0
	v_cmp_gt_i16_sdwa s[48:49], v11, v1 src0_sel:BYTE_0 src1_sel:DWORD
	s_and_saveexec_b64 s[50:51], s[48:49]
	s_xor_b64 s[48:49], exec, s[50:51]
	s_cbranch_execz .LBB47_5686
; %bb.5685:
	v_cvt_i32_f32_e32 v1, v70
                                        ; implicit-def: $vgpr70
	flat_store_byte v[2:3], v1
                                        ; implicit-def: $vgpr2_vgpr3
.LBB47_5686:
	s_andn2_saveexec_b64 s[48:49], s[48:49]
	s_cbranch_execz .LBB47_5688
; %bb.5687:
	v_trunc_f32_e32 v1, v70
	s_mov_b32 s50, 0x2f800000
	v_mul_f32_e64 v4, |v1|, s50
	v_floor_f32_e32 v4, v4
	s_mov_b32 s50, 0xcf800000
	v_fma_f32 v4, v4, s50, |v1|
	v_cvt_u32_f32_e32 v4, v4
	v_ashrrev_i32_e32 v1, 31, v1
	v_xor_b32_e32 v4, v4, v1
	v_sub_u32_e32 v1, v4, v1
	flat_store_byte v[2:3], v1
.LBB47_5688:
	s_or_b64 exec, exec, s[48:49]
.LBB47_5689:
	s_or_b64 exec, exec, vcc
.LBB47_5690:
	s_or_b64 exec, exec, s[46:47]
	s_or_b64 s[42:43], s[42:43], exec
	s_or_b64 exec, exec, s[38:39]
	s_mov_b64 vcc, 0
	s_and_saveexec_b64 s[38:39], s[42:43]
	s_cbranch_execnz .LBB47_3896
	s_branch .LBB47_3897
.LBB47_5691:
	v_bfe_u32 v1, v98, 21, 1
	s_mov_b32 s34, 0x88fffff
	v_add3_u32 v1, v98, v1, s34
	s_mov_b64 s[30:31], exec
	v_lshrrev_b32_e32 v1, 21, v1
	s_or_saveexec_b64 s[34:35], vcc
                                        ; implicit-def: $sgpr36
	s_xor_b64 exec, exec, s[34:35]
	s_cbranch_execz .LBB47_4873
.LBB47_5692:
	s_mov_b32 s36, 0x42800000
	v_add_f32_e64 v1, |v98|, s36
	v_and_b32_e32 v1, 0xff, v1
	v_cmp_ne_u32_e32 vcc, 0, v1
	s_andn2_b64 s[30:31], s[30:31], exec
	s_and_b64 vcc, vcc, exec
	s_mov_b32 s36, 0
	s_or_b64 s[30:31], s[30:31], vcc
	s_or_b64 exec, exec, s[34:35]
	v_mov_b32_e32 v4, s36
	s_and_saveexec_b64 vcc, s[30:31]
	s_cbranch_execnz .LBB47_4874
	s_branch .LBB47_4875
.LBB47_5693:
	v_bfe_u32 v1, v96, 20, 1
	s_mov_b32 s36, 0x487ffff
	v_add3_u32 v1, v96, v1, s36
	s_mov_b64 s[34:35], exec
	v_lshrrev_b32_e32 v1, 20, v1
	s_or_saveexec_b64 s[36:37], vcc
                                        ; implicit-def: $sgpr38
	s_xor_b64 exec, exec, s[36:37]
	s_cbranch_execz .LBB47_4983
.LBB47_5694:
	s_mov_b32 s38, 0x46000000
	v_add_f32_e64 v1, |v96|, s38
	v_and_b32_e32 v1, 0xff, v1
	v_cmp_ne_u32_e32 vcc, 0, v1
	s_andn2_b64 s[34:35], s[34:35], exec
	s_and_b64 vcc, vcc, exec
	s_mov_b32 s38, 0
	s_or_b64 s[34:35], s[34:35], vcc
	s_or_b64 exec, exec, s[36:37]
	v_mov_b32_e32 v4, s38
	s_and_saveexec_b64 vcc, s[34:35]
	s_cbranch_execnz .LBB47_4984
	s_branch .LBB47_4985
.LBB47_5695:
	v_mov_b32_e32 v1, 25
	v_cmp_gt_i16_sdwa vcc, v11, v1 src0_sel:BYTE_0 src1_sel:DWORD
	s_mov_b64 s[46:47], s[38:39]
	s_and_saveexec_b64 s[48:49], vcc
	s_xor_b64 s[48:49], exec, s[48:49]
	s_cbranch_execz .LBB47_5731
; %bb.5696:
	v_mov_b32_e32 v1, 28
	v_cmp_gt_i16_sdwa vcc, v11, v1 src0_sel:BYTE_0 src1_sel:DWORD
	s_mov_b64 s[50:51], 0
	s_mov_b64 s[52:53], s[38:39]
	s_and_saveexec_b64 s[44:45], vcc
	s_xor_b64 s[44:45], exec, s[44:45]
	s_cbranch_execz .LBB47_5714
; %bb.5697:
	v_mov_b32_e32 v1, 43
	s_mov_b64 s[46:47], s[4:5]
	v_cmp_gt_i16_sdwa s[50:51], v11, v1 src0_sel:BYTE_0 src1_sel:DWORD
	s_mov_b64 s[4:5], 0
	s_mov_b64 vcc, s[38:39]
	s_and_saveexec_b64 s[52:53], s[50:51]
	s_xor_b64 s[50:51], exec, s[52:53]
	s_cbranch_execz .LBB47_5709
; %bb.5698:
	v_mov_b32_e32 v1, 45
	v_cmp_gt_i16_sdwa s[4:5], v11, v1 src0_sel:BYTE_0 src1_sel:DWORD
	s_mov_b64 s[52:53], 0
	s_mov_b64 s[54:55], s[38:39]
	s_and_saveexec_b64 vcc, s[4:5]
	s_xor_b64 s[4:5], exec, vcc
	s_cbranch_execz .LBB47_5702
; %bb.5699:
	v_mov_b32_e32 v1, 46
	v_cmp_eq_u16_sdwa s[56:57], v11, v1 src0_sel:BYTE_0 src1_sel:DWORD
	s_mov_b64 vcc, -1
	s_and_saveexec_b64 s[54:55], s[56:57]
	s_cbranch_execz .LBB47_5701
; %bb.5700:
	v_bfe_u32 v1, v68, 16, 1
	s_movk_i32 vcc_lo, 0x7fff
	v_add3_u32 v1, v68, v1, vcc_lo
	v_lshrrev_b32_e32 v1, 16, v1
	v_mov_b32_e32 v4, 0x7fc0
	v_cmp_o_f32_e32 vcc, v68, v68
	v_cndmask_b32_e32 v1, v4, v1, vcc
	s_mov_b64 s[52:53], exec
	flat_store_dword v[2:3], v1
	s_xor_b64 vcc, exec, -1
.LBB47_5701:
	s_or_b64 exec, exec, s[54:55]
	s_andn2_b64 s[54:55], s[38:39], exec
	s_and_b64 vcc, vcc, exec
	s_or_b64 s[54:55], s[54:55], vcc
	s_and_b64 s[52:53], s[52:53], exec
                                        ; implicit-def: $vgpr2_vgpr3
                                        ; implicit-def: $vgpr68
.LBB47_5702:
	s_andn2_saveexec_b64 s[56:57], s[4:5]
	s_cbranch_execz .LBB47_5708
; %bb.5703:
	v_mov_b32_e32 v1, 44
	v_cmp_eq_u16_sdwa s[60:61], v11, v1 src0_sel:BYTE_0 src1_sel:DWORD
	s_mov_b64 vcc, -1
	s_mov_b64 s[4:5], s[52:53]
	s_and_saveexec_b64 s[58:59], s[60:61]
	s_cbranch_execz .LBB47_5707
; %bb.5704:
	v_bfe_u32 v1, v68, 23, 8
	s_movk_i32 s4, 0xff
	v_cmp_ne_u32_e32 vcc, s4, v1
	v_mov_b32_e32 v4, 0xff
	s_and_saveexec_b64 s[60:61], vcc
; %bb.5705:
	s_mov_b32 s4, 0x3fffff
	v_and_b32_e32 v5, 0x400000, v68
	v_and_or_b32 v1, v68, s4, v1
	v_cmp_ne_u32_e32 vcc, 0, v5
	v_cmp_ne_u32_e64 s[4:5], 0, v1
	s_and_b64 s[4:5], vcc, s[4:5]
	v_lshrrev_b32_e32 v4, 23, v68
	v_cndmask_b32_e64 v1, 0, 1, s[4:5]
	v_add_u32_e32 v4, v4, v1
; %bb.5706:
	s_or_b64 exec, exec, s[60:61]
	s_xor_b64 vcc, exec, -1
	s_or_b64 s[4:5], s[52:53], exec
	flat_store_byte v[2:3], v4
.LBB47_5707:
	s_or_b64 exec, exec, s[58:59]
	s_andn2_b64 s[54:55], s[54:55], exec
	s_and_b64 vcc, vcc, exec
	s_or_b64 s[54:55], s[54:55], vcc
	s_andn2_b64 vcc, s[52:53], exec
	s_and_b64 s[4:5], s[4:5], exec
	s_or_b64 s[52:53], vcc, s[4:5]
.LBB47_5708:
	s_or_b64 exec, exec, s[56:57]
	s_andn2_b64 s[4:5], s[38:39], exec
	s_and_b64 vcc, s[54:55], exec
	s_or_b64 vcc, s[4:5], vcc
	s_and_b64 s[4:5], s[52:53], exec
                                        ; implicit-def: $vgpr68
                                        ; implicit-def: $vgpr2_vgpr3
.LBB47_5709:
	s_andn2_saveexec_b64 s[50:51], s[50:51]
	s_cbranch_execz .LBB47_5713
; %bb.5710:
	v_mov_b32_e32 v1, 29
	v_cmp_eq_u16_sdwa s[58:59], v11, v1 src0_sel:BYTE_0 src1_sel:DWORD
	s_mov_b64 s[56:57], -1
	s_mov_b64 s[54:55], s[4:5]
	s_and_saveexec_b64 s[52:53], s[58:59]
	s_cbranch_execz .LBB47_5712
; %bb.5711:
	v_trunc_f32_e32 v1, v68
	v_mul_f32_e32 v4, 0x2f800000, v1
	v_floor_f32_e32 v4, v4
	v_fmac_f32_e32 v1, 0xcf800000, v4
	v_cvt_u32_f32_e32 v5, v4
	v_cvt_u32_f32_e32 v4, v1
	s_xor_b64 s[56:57], exec, -1
	s_or_b64 s[54:55], s[4:5], exec
	flat_store_dwordx2 v[2:3], v[4:5]
.LBB47_5712:
	s_or_b64 exec, exec, s[52:53]
	s_andn2_b64 vcc, vcc, exec
	s_and_b64 s[52:53], s[56:57], exec
	s_or_b64 vcc, vcc, s[52:53]
	s_andn2_b64 s[4:5], s[4:5], exec
	s_and_b64 s[52:53], s[54:55], exec
	s_or_b64 s[4:5], s[4:5], s[52:53]
.LBB47_5713:
	s_or_b64 exec, exec, s[50:51]
	s_andn2_b64 s[50:51], s[38:39], exec
	s_and_b64 vcc, vcc, exec
	s_or_b64 s[52:53], s[50:51], vcc
	s_and_b64 s[50:51], s[4:5], exec
	s_mov_b64 s[4:5], s[46:47]
                                        ; implicit-def: $vgpr2_vgpr3
                                        ; implicit-def: $vgpr68
.LBB47_5714:
	s_andn2_saveexec_b64 s[44:45], s[44:45]
	s_cbranch_execz .LBB47_5730
; %bb.5715:
	v_mov_b32_e32 v1, 26
	v_cmp_gt_i16_sdwa vcc, v11, v1 src0_sel:BYTE_0 src1_sel:DWORD
	s_and_saveexec_b64 s[46:47], vcc
	s_xor_b64 vcc, exec, s[46:47]
	s_cbranch_execz .LBB47_5721
; %bb.5716:
	v_cvt_u32_f32_e32 v1, v68
	v_mov_b32_e32 v4, 27
	v_cmp_gt_i16_sdwa s[46:47], v11, v4 src0_sel:BYTE_0 src1_sel:DWORD
	s_and_saveexec_b64 s[54:55], s[46:47]
	s_xor_b64 s[46:47], exec, s[54:55]
	s_cbranch_execz .LBB47_5718
; %bb.5717:
	flat_store_dword v[2:3], v1
                                        ; implicit-def: $vgpr2_vgpr3
                                        ; implicit-def: $vgpr1
.LBB47_5718:
	s_andn2_saveexec_b64 s[46:47], s[46:47]
	s_cbranch_execz .LBB47_5720
; %bb.5719:
	flat_store_short v[2:3], v1
.LBB47_5720:
	s_or_b64 exec, exec, s[46:47]
                                        ; implicit-def: $vgpr2_vgpr3
                                        ; implicit-def: $vgpr68
.LBB47_5721:
	s_andn2_saveexec_b64 s[46:47], vcc
	s_cbranch_execz .LBB47_5729
; %bb.5722:
	v_and_b32_e32 v1, 0x7fffffff, v68
	s_mov_b32 vcc_lo, 0x43800000
	v_cmp_gt_u32_e32 vcc, vcc_lo, v1
	v_mov_b32_e32 v4, 0x80
	s_and_saveexec_b64 s[54:55], vcc
	s_cbranch_execz .LBB47_5728
; %bb.5723:
	s_mov_b32 vcc_lo, 0x3bffffff
	v_cmp_lt_u32_e32 vcc, vcc_lo, v1
	s_mov_b64 s[56:57], 0
                                        ; implicit-def: $vgpr1
	s_and_saveexec_b64 s[58:59], vcc
	s_xor_b64 vcc, exec, s[58:59]
	s_cbranch_execnz .LBB47_6449
; %bb.5724:
	s_or_saveexec_b64 s[58:59], vcc
                                        ; implicit-def: $sgpr60
	s_xor_b64 exec, exec, s[58:59]
	s_cbranch_execnz .LBB47_6450
.LBB47_5725:
	s_or_b64 exec, exec, s[58:59]
	v_mov_b32_e32 v4, s60
	s_and_saveexec_b64 vcc, s[56:57]
.LBB47_5726:
	v_lshrrev_b32_e32 v4, 24, v68
	s_movk_i32 s56, 0x80
	v_and_or_b32 v4, v4, s56, v1
.LBB47_5727:
	s_or_b64 exec, exec, vcc
.LBB47_5728:
	s_or_b64 exec, exec, s[54:55]
	flat_store_byte v[2:3], v4
.LBB47_5729:
	s_or_b64 exec, exec, s[46:47]
	s_or_b64 s[50:51], s[50:51], exec
.LBB47_5730:
	s_or_b64 exec, exec, s[44:45]
	s_andn2_b64 vcc, s[38:39], exec
	s_and_b64 s[44:45], s[52:53], exec
	s_or_b64 s[46:47], vcc, s[44:45]
	s_and_b64 s[44:45], s[50:51], exec
                                        ; implicit-def: $vgpr68
                                        ; implicit-def: $vgpr2_vgpr3
.LBB47_5731:
	s_andn2_saveexec_b64 s[48:49], s[48:49]
	s_cbranch_execz .LBB47_5775
; %bb.5732:
	v_mov_b32_e32 v1, 22
	v_cmp_gt_i16_sdwa vcc, v11, v1 src0_sel:BYTE_0 src1_sel:DWORD
	s_mov_b64 s[52:53], s[44:45]
	s_and_saveexec_b64 s[50:51], vcc
	s_xor_b64 s[50:51], exec, s[50:51]
	s_cbranch_execz .LBB47_5764
; %bb.5733:
	v_mov_b32_e32 v1, 23
	v_cmp_gt_i16_sdwa vcc, v11, v1 src0_sel:BYTE_0 src1_sel:DWORD
	s_and_saveexec_b64 s[52:53], vcc
	s_xor_b64 s[52:53], exec, s[52:53]
	s_cbranch_execz .LBB47_5753
; %bb.5734:
	v_mov_b32_e32 v1, 24
	v_cmp_gt_i16_sdwa vcc, v11, v1 src0_sel:BYTE_0 src1_sel:DWORD
	s_and_saveexec_b64 s[54:55], vcc
	s_xor_b64 s[54:55], exec, s[54:55]
	s_cbranch_execz .LBB47_5742
; %bb.5735:
	v_and_b32_e32 v1, 0x7fffffff, v68
	s_mov_b32 vcc_lo, 0x47800000
	v_cmp_gt_u32_e32 vcc, vcc_lo, v1
	v_mov_b32_e32 v4, 0x80
	s_and_saveexec_b64 s[56:57], vcc
	s_cbranch_execz .LBB47_5741
; %bb.5736:
	s_mov_b32 vcc_lo, 0x37ffffff
	v_cmp_lt_u32_e32 vcc, vcc_lo, v1
	s_mov_b64 s[58:59], 0
                                        ; implicit-def: $vgpr1
	s_and_saveexec_b64 s[60:61], vcc
	s_xor_b64 vcc, exec, s[60:61]
	s_cbranch_execnz .LBB47_6573
; %bb.5737:
	s_or_saveexec_b64 s[60:61], vcc
                                        ; implicit-def: $sgpr62
	s_xor_b64 exec, exec, s[60:61]
	s_cbranch_execnz .LBB47_6574
.LBB47_5738:
	s_or_b64 exec, exec, s[60:61]
	v_mov_b32_e32 v4, s62
	s_and_saveexec_b64 vcc, s[58:59]
.LBB47_5739:
	v_lshrrev_b32_e32 v4, 24, v68
	s_movk_i32 s58, 0x80
	v_and_or_b32 v4, v4, s58, v1
.LBB47_5740:
	s_or_b64 exec, exec, vcc
.LBB47_5741:
	s_or_b64 exec, exec, s[56:57]
	flat_store_byte v[2:3], v4
                                        ; implicit-def: $vgpr68
                                        ; implicit-def: $vgpr2_vgpr3
.LBB47_5742:
	s_andn2_saveexec_b64 s[54:55], s[54:55]
	s_cbranch_execz .LBB47_5752
; %bb.5743:
	v_and_b32_e32 v4, 0x7fffffff, v68
	s_mov_b32 vcc_lo, 0x43f00000
	v_cmp_gt_u32_e32 vcc, vcc_lo, v4
                                        ; implicit-def: $vgpr1
	s_and_saveexec_b64 s[56:57], vcc
	s_xor_b64 s[56:57], exec, s[56:57]
	s_cbranch_execz .LBB47_5749
; %bb.5744:
	s_mov_b32 vcc_lo, 0x3c7fffff
	v_cmp_lt_u32_e32 vcc, vcc_lo, v4
                                        ; implicit-def: $vgpr1
	s_and_saveexec_b64 s[58:59], vcc
	s_xor_b64 s[58:59], exec, s[58:59]
; %bb.5745:
	v_bfe_u32 v1, v68, 20, 1
	s_mov_b32 vcc_lo, 0x407ffff
	v_add3_u32 v1, v68, v1, vcc_lo
	v_lshrrev_b32_e32 v4, 20, v1
	v_and_b32_e32 v1, 0xff00000, v1
	s_mov_b32 vcc_lo, 0x7f00000
	v_mov_b32_e32 v5, 0x7e
	v_cmp_ne_u32_e32 vcc, vcc_lo, v1
	v_cndmask_b32_e32 v1, v5, v4, vcc
; %bb.5746:
	s_andn2_saveexec_b64 vcc, s[58:59]
; %bb.5747:
	s_mov_b32 s58, 0x46800000
	v_add_f32_e64 v1, |v68|, s58
; %bb.5748:
	s_or_b64 exec, exec, vcc
                                        ; implicit-def: $vgpr4
.LBB47_5749:
	s_andn2_saveexec_b64 s[56:57], s[56:57]
; %bb.5750:
	s_mov_b32 vcc_lo, 0x7f800000
	v_mov_b32_e32 v1, 0x7e
	v_mov_b32_e32 v5, 0x7f
	v_cmp_lt_u32_e32 vcc, vcc_lo, v4
	v_cndmask_b32_e32 v1, v1, v5, vcc
; %bb.5751:
	s_or_b64 exec, exec, s[56:57]
	v_lshrrev_b32_e32 v4, 24, v68
	s_movk_i32 vcc_lo, 0x80
	v_and_or_b32 v1, v4, vcc_lo, v1
	flat_store_byte v[2:3], v1
.LBB47_5752:
	s_or_b64 exec, exec, s[54:55]
                                        ; implicit-def: $vgpr68
                                        ; implicit-def: $vgpr2_vgpr3
.LBB47_5753:
	s_andn2_saveexec_b64 s[52:53], s[52:53]
	s_cbranch_execz .LBB47_5763
; %bb.5754:
	v_and_b32_e32 v4, 0x7fffffff, v68
	s_mov_b32 vcc_lo, 0x47800000
	v_cmp_gt_u32_e32 vcc, vcc_lo, v4
                                        ; implicit-def: $vgpr1
	s_and_saveexec_b64 s[54:55], vcc
	s_xor_b64 s[54:55], exec, s[54:55]
	s_cbranch_execz .LBB47_5760
; %bb.5755:
	s_mov_b32 vcc_lo, 0x387fffff
	v_cmp_lt_u32_e32 vcc, vcc_lo, v4
                                        ; implicit-def: $vgpr1
	s_and_saveexec_b64 s[56:57], vcc
	s_xor_b64 vcc, exec, s[56:57]
; %bb.5756:
	v_bfe_u32 v1, v68, 21, 1
	s_mov_b32 s56, 0x80fffff
	v_add3_u32 v1, v68, v1, s56
	v_lshrrev_b32_e32 v1, 21, v1
; %bb.5757:
	s_andn2_saveexec_b64 vcc, vcc
; %bb.5758:
	s_mov_b32 s56, 0x43000000
	v_add_f32_e64 v1, |v68|, s56
; %bb.5759:
	s_or_b64 exec, exec, vcc
                                        ; implicit-def: $vgpr4
.LBB47_5760:
	s_andn2_saveexec_b64 s[54:55], s[54:55]
; %bb.5761:
	s_mov_b32 vcc_lo, 0x7f800000
	v_mov_b32_e32 v1, 0x7c
	v_mov_b32_e32 v5, 0x7f
	v_cmp_lt_u32_e32 vcc, vcc_lo, v4
	v_cndmask_b32_e32 v1, v1, v5, vcc
; %bb.5762:
	s_or_b64 exec, exec, s[54:55]
	v_lshrrev_b32_e32 v4, 24, v68
	s_movk_i32 vcc_lo, 0x80
	v_and_or_b32 v1, v4, vcc_lo, v1
	flat_store_byte v[2:3], v1
.LBB47_5763:
	s_or_b64 exec, exec, s[52:53]
	s_or_b64 s[52:53], s[44:45], exec
                                        ; implicit-def: $vgpr68
                                        ; implicit-def: $vgpr2_vgpr3
.LBB47_5764:
	s_or_saveexec_b64 s[50:51], s[50:51]
	s_mov_b64 vcc, s[46:47]
	s_xor_b64 exec, exec, s[50:51]
	s_cbranch_execz .LBB47_5774
; %bb.5765:
	v_mov_b32_e32 v1, 14
	v_cmp_gt_i16_sdwa vcc, v11, v1 src0_sel:BYTE_0 src1_sel:DWORD
	s_mov_b64 s[54:55], s[52:53]
	s_mov_b64 s[56:57], s[46:47]
	s_and_saveexec_b64 s[58:59], vcc
	s_xor_b64 s[58:59], exec, s[58:59]
	s_cbranch_execz .LBB47_5769
; %bb.5766:
	v_mov_b32_e32 v1, 15
	v_cmp_eq_u16_sdwa s[60:61], v11, v1 src0_sel:BYTE_0 src1_sel:DWORD
	s_mov_b64 s[56:57], -1
	s_mov_b64 vcc, s[52:53]
	s_and_saveexec_b64 s[54:55], s[60:61]
	s_cbranch_execz .LBB47_5768
; %bb.5767:
	v_bfe_u32 v1, v68, 16, 1
	s_movk_i32 vcc_lo, 0x7fff
	v_add3_u32 v1, v68, v1, vcc_lo
	v_lshrrev_b32_e32 v1, 16, v1
	v_mov_b32_e32 v4, 0x7fc0
	v_cmp_o_f32_e32 vcc, v68, v68
	v_cndmask_b32_e32 v1, v4, v1, vcc
	flat_store_short v[2:3], v1
	s_xor_b64 s[56:57], exec, -1
	s_or_b64 vcc, s[52:53], exec
.LBB47_5768:
	s_or_b64 exec, exec, s[54:55]
	s_andn2_b64 s[54:55], s[46:47], exec
	s_and_b64 s[56:57], s[56:57], exec
	s_or_b64 s[56:57], s[54:55], s[56:57]
	s_andn2_b64 s[54:55], s[52:53], exec
	s_and_b64 vcc, vcc, exec
	s_or_b64 s[54:55], s[54:55], vcc
                                        ; implicit-def: $vgpr68
                                        ; implicit-def: $vgpr2_vgpr3
.LBB47_5769:
	s_andn2_saveexec_b64 s[58:59], s[58:59]
	s_cbranch_execz .LBB47_5773
; %bb.5770:
	v_mov_b32_e32 v1, 11
	v_cmp_eq_u16_sdwa s[64:65], v11, v1 src0_sel:BYTE_0 src1_sel:DWORD
	s_mov_b64 s[60:61], -1
	s_mov_b64 vcc, s[54:55]
	s_and_saveexec_b64 s[62:63], s[64:65]
	s_cbranch_execz .LBB47_5772
; %bb.5771:
	v_cmp_neq_f32_e32 vcc, 0, v68
	v_cndmask_b32_e64 v1, 0, 1, vcc
	flat_store_byte v[2:3], v1
	s_xor_b64 s[60:61], exec, -1
	s_or_b64 vcc, s[54:55], exec
.LBB47_5772:
	s_or_b64 exec, exec, s[62:63]
	s_andn2_b64 s[56:57], s[56:57], exec
	s_and_b64 s[60:61], s[60:61], exec
	s_andn2_b64 s[54:55], s[54:55], exec
	s_and_b64 vcc, vcc, exec
	s_or_b64 s[56:57], s[56:57], s[60:61]
	s_or_b64 s[54:55], s[54:55], vcc
.LBB47_5773:
	s_or_b64 exec, exec, s[58:59]
	s_andn2_b64 vcc, s[46:47], exec
	s_and_b64 s[56:57], s[56:57], exec
	s_andn2_b64 s[52:53], s[52:53], exec
	s_and_b64 s[54:55], s[54:55], exec
	s_or_b64 vcc, vcc, s[56:57]
	s_or_b64 s[52:53], s[52:53], s[54:55]
.LBB47_5774:
	s_or_b64 exec, exec, s[50:51]
	s_andn2_b64 s[46:47], s[46:47], exec
	s_and_b64 vcc, vcc, exec
	s_or_b64 s[46:47], s[46:47], vcc
	s_andn2_b64 vcc, s[44:45], exec
	s_and_b64 s[44:45], s[52:53], exec
	s_or_b64 s[44:45], vcc, s[44:45]
.LBB47_5775:
	s_or_b64 exec, exec, s[48:49]
	s_andn2_b64 vcc, s[38:39], exec
	s_and_b64 s[46:47], s[46:47], exec
	s_or_b64 s[46:47], vcc, s[46:47]
	s_and_b64 s[44:45], s[44:45], exec
                                        ; implicit-def: $vgpr68
                                        ; implicit-def: $vgpr2_vgpr3
	s_andn2_saveexec_b64 s[42:43], s[42:43]
	s_cbranch_execz .LBB47_3902
.LBB47_5776:
	v_mov_b32_e32 v1, 4
	v_cmp_gt_i16_sdwa vcc, v11, v1 src0_sel:BYTE_0 src1_sel:DWORD
	s_and_saveexec_b64 s[48:49], vcc
	s_xor_b64 vcc, exec, s[48:49]
	s_cbranch_execz .LBB47_5798
; %bb.5777:
	v_mov_b32_e32 v1, 7
	v_cmp_gt_i16_sdwa s[48:49], v11, v1 src0_sel:BYTE_0 src1_sel:DWORD
	s_and_saveexec_b64 s[50:51], s[48:49]
	s_xor_b64 s[48:49], exec, s[50:51]
	s_cbranch_execz .LBB47_5787
; %bb.5778:
	v_mov_b32_e32 v1, 8
	v_cmp_gt_i16_sdwa s[50:51], v11, v1 src0_sel:BYTE_0 src1_sel:DWORD
	s_and_saveexec_b64 s[52:53], s[50:51]
	s_xor_b64 s[50:51], exec, s[52:53]
	;; [unrolled: 6-line block ×3, first 2 shown]
	s_cbranch_execz .LBB47_5781
; %bb.5780:
	v_mov_b32_e32 v70, 0
	v_cvt_f64_f32_e32 v[68:69], v68
	v_mov_b32_e32 v71, v70
	flat_store_dwordx4 v[2:3], v[68:71]
                                        ; implicit-def: $vgpr68
                                        ; implicit-def: $vgpr2_vgpr3
.LBB47_5781:
	s_andn2_saveexec_b64 s[52:53], s[52:53]
	s_cbranch_execz .LBB47_5783
; %bb.5782:
	v_mov_b32_e32 v69, 0
	flat_store_dwordx2 v[2:3], v[68:69]
.LBB47_5783:
	s_or_b64 exec, exec, s[52:53]
                                        ; implicit-def: $vgpr68
                                        ; implicit-def: $vgpr2_vgpr3
.LBB47_5784:
	s_andn2_saveexec_b64 s[50:51], s[50:51]
	s_cbranch_execz .LBB47_5786
; %bb.5785:
	v_cvt_f16_f32_e32 v1, v68
	flat_store_dword v[2:3], v1
.LBB47_5786:
	s_or_b64 exec, exec, s[50:51]
                                        ; implicit-def: $vgpr68
                                        ; implicit-def: $vgpr2_vgpr3
.LBB47_5787:
	s_andn2_saveexec_b64 s[48:49], s[48:49]
	s_cbranch_execz .LBB47_5797
; %bb.5788:
	v_mov_b32_e32 v1, 5
	v_cmp_gt_i16_sdwa s[50:51], v11, v1 src0_sel:BYTE_0 src1_sel:DWORD
	s_and_saveexec_b64 s[52:53], s[50:51]
	s_xor_b64 s[50:51], exec, s[52:53]
	s_cbranch_execz .LBB47_5794
; %bb.5789:
	v_mov_b32_e32 v1, 6
	v_cmp_gt_i16_sdwa s[52:53], v11, v1 src0_sel:BYTE_0 src1_sel:DWORD
	s_and_saveexec_b64 s[54:55], s[52:53]
	s_xor_b64 s[52:53], exec, s[54:55]
	s_cbranch_execz .LBB47_5791
; %bb.5790:
	v_cvt_f64_f32_e32 v[4:5], v68
	flat_store_dwordx2 v[2:3], v[4:5]
                                        ; implicit-def: $vgpr2_vgpr3
                                        ; implicit-def: $vgpr68
.LBB47_5791:
	s_andn2_saveexec_b64 s[52:53], s[52:53]
	s_cbranch_execz .LBB47_5793
; %bb.5792:
	flat_store_dword v[2:3], v68
.LBB47_5793:
	s_or_b64 exec, exec, s[52:53]
                                        ; implicit-def: $vgpr68
                                        ; implicit-def: $vgpr2_vgpr3
.LBB47_5794:
	s_andn2_saveexec_b64 s[50:51], s[50:51]
	s_cbranch_execz .LBB47_5796
; %bb.5795:
	v_cvt_f16_f32_e32 v1, v68
	flat_store_short v[2:3], v1
.LBB47_5796:
	s_or_b64 exec, exec, s[50:51]
.LBB47_5797:
	s_or_b64 exec, exec, s[48:49]
                                        ; implicit-def: $vgpr68
                                        ; implicit-def: $vgpr2_vgpr3
.LBB47_5798:
	s_andn2_saveexec_b64 s[48:49], vcc
	s_cbranch_execz .LBB47_5816
; %bb.5799:
	v_mov_b32_e32 v1, 1
	v_cmp_gt_i16_sdwa vcc, v11, v1 src0_sel:BYTE_0 src1_sel:DWORD
	s_and_saveexec_b64 s[50:51], vcc
	s_xor_b64 s[50:51], exec, s[50:51]
	s_cbranch_execz .LBB47_5809
; %bb.5800:
	v_mov_b32_e32 v1, 2
	v_cmp_gt_i16_sdwa vcc, v11, v1 src0_sel:BYTE_0 src1_sel:DWORD
	s_and_saveexec_b64 s[52:53], vcc
	s_xor_b64 s[52:53], exec, s[52:53]
	;; [unrolled: 6-line block ×3, first 2 shown]
	s_cbranch_execz .LBB47_5803
; %bb.5802:
	v_trunc_f32_e32 v1, v68
	s_mov_b32 s56, 0x2f800000
	v_mul_f32_e64 v4, |v1|, s56
	v_floor_f32_e32 v4, v4
	s_mov_b32 s56, 0xcf800000
	v_cvt_u32_f32_e32 v5, v4
	v_fma_f32 v4, v4, s56, |v1|
	v_cvt_u32_f32_e32 v4, v4
	v_ashrrev_i32_e32 v1, 31, v1
	v_xor_b32_e32 v5, v5, v1
                                        ; implicit-def: $vgpr68
	v_xor_b32_e32 v4, v4, v1
	v_sub_co_u32_e32 v4, vcc, v4, v1
	v_subb_co_u32_e32 v5, vcc, v5, v1, vcc
	flat_store_dwordx2 v[2:3], v[4:5]
                                        ; implicit-def: $vgpr2_vgpr3
.LBB47_5803:
	s_andn2_saveexec_b64 vcc, s[54:55]
	s_cbranch_execz .LBB47_5805
; %bb.5804:
	v_cvt_i32_f32_e32 v1, v68
	flat_store_dword v[2:3], v1
.LBB47_5805:
	s_or_b64 exec, exec, vcc
                                        ; implicit-def: $vgpr68
                                        ; implicit-def: $vgpr2_vgpr3
.LBB47_5806:
	s_andn2_saveexec_b64 vcc, s[52:53]
	s_cbranch_execz .LBB47_5808
; %bb.5807:
	v_cvt_i32_f32_e32 v1, v68
	flat_store_short v[2:3], v1
.LBB47_5808:
	s_or_b64 exec, exec, vcc
                                        ; implicit-def: $vgpr68
                                        ; implicit-def: $vgpr2_vgpr3
.LBB47_5809:
	s_andn2_saveexec_b64 vcc, s[50:51]
	s_cbranch_execz .LBB47_5815
; %bb.5810:
	v_mov_b32_e32 v1, 0
	v_cmp_gt_i16_sdwa s[50:51], v11, v1 src0_sel:BYTE_0 src1_sel:DWORD
	s_and_saveexec_b64 s[52:53], s[50:51]
	s_xor_b64 s[50:51], exec, s[52:53]
	s_cbranch_execz .LBB47_5812
; %bb.5811:
	v_cvt_i32_f32_e32 v1, v68
                                        ; implicit-def: $vgpr68
	flat_store_byte v[2:3], v1
                                        ; implicit-def: $vgpr2_vgpr3
.LBB47_5812:
	s_andn2_saveexec_b64 s[50:51], s[50:51]
	s_cbranch_execz .LBB47_5814
; %bb.5813:
	v_trunc_f32_e32 v1, v68
	s_mov_b32 s52, 0x2f800000
	v_mul_f32_e64 v4, |v1|, s52
	v_floor_f32_e32 v4, v4
	s_mov_b32 s52, 0xcf800000
	v_fma_f32 v4, v4, s52, |v1|
	v_cvt_u32_f32_e32 v4, v4
	v_ashrrev_i32_e32 v1, 31, v1
	v_xor_b32_e32 v4, v4, v1
	v_sub_u32_e32 v1, v4, v1
	flat_store_byte v[2:3], v1
.LBB47_5814:
	s_or_b64 exec, exec, s[50:51]
.LBB47_5815:
	s_or_b64 exec, exec, vcc
.LBB47_5816:
	s_or_b64 exec, exec, s[48:49]
	s_or_b64 s[44:45], s[44:45], exec
	s_or_b64 exec, exec, s[42:43]
	s_mov_b64 vcc, 0
	s_and_saveexec_b64 s[42:43], s[44:45]
	s_cbranch_execnz .LBB47_3903
	s_branch .LBB47_3904
.LBB47_5817:
	v_bfe_u32 v1, v96, 21, 1
	s_mov_b32 s38, 0x88fffff
	v_add3_u32 v1, v96, v1, s38
	s_mov_b64 s[36:37], exec
	v_lshrrev_b32_e32 v1, 21, v1
	s_or_saveexec_b64 s[38:39], vcc
                                        ; implicit-def: $sgpr40
	s_xor_b64 exec, exec, s[38:39]
	s_cbranch_execz .LBB47_4996
.LBB47_5818:
	s_mov_b32 s40, 0x42800000
	v_add_f32_e64 v1, |v96|, s40
	v_and_b32_e32 v1, 0xff, v1
	v_cmp_ne_u32_e32 vcc, 0, v1
	s_andn2_b64 s[36:37], s[36:37], exec
	s_and_b64 vcc, vcc, exec
	s_mov_b32 s40, 0
	s_or_b64 s[36:37], s[36:37], vcc
	s_or_b64 exec, exec, s[38:39]
	v_mov_b32_e32 v4, s40
	s_and_saveexec_b64 vcc, s[36:37]
	s_cbranch_execnz .LBB47_4997
	s_branch .LBB47_4998
.LBB47_5819:
	v_bfe_u32 v1, v86, 20, 1
	s_mov_b32 s40, 0x487ffff
	v_add3_u32 v1, v86, v1, s40
	s_mov_b64 s[38:39], exec
	v_lshrrev_b32_e32 v1, 20, v1
	s_or_saveexec_b64 s[40:41], vcc
                                        ; implicit-def: $sgpr42
	s_xor_b64 exec, exec, s[40:41]
	s_cbranch_execz .LBB47_5105
.LBB47_5820:
	s_mov_b32 s42, 0x46000000
	v_add_f32_e64 v1, |v86|, s42
	v_and_b32_e32 v1, 0xff, v1
	v_cmp_ne_u32_e32 vcc, 0, v1
	s_andn2_b64 s[38:39], s[38:39], exec
	s_and_b64 vcc, vcc, exec
	s_mov_b32 s42, 0
	s_or_b64 s[38:39], s[38:39], vcc
	s_or_b64 exec, exec, s[40:41]
	v_mov_b32_e32 v4, s42
	s_and_saveexec_b64 vcc, s[38:39]
	s_cbranch_execnz .LBB47_5106
	s_branch .LBB47_5107
.LBB47_5821:
	v_mov_b32_e32 v1, 25
	v_cmp_gt_i16_sdwa s[48:49], v11, v1 src0_sel:BYTE_0 src1_sel:DWORD
	s_mov_b64 s[46:47], vcc
	s_and_saveexec_b64 s[50:51], s[48:49]
	s_xor_b64 s[48:49], exec, s[50:51]
	s_cbranch_execz .LBB47_5857
; %bb.5822:
	v_mov_b32_e32 v1, 28
	s_mov_b64 s[50:51], s[4:5]
	v_cmp_gt_i16_sdwa s[44:45], v11, v1 src0_sel:BYTE_0 src1_sel:DWORD
	s_mov_b64 s[4:5], 0
	s_mov_b64 s[46:47], vcc
	s_and_saveexec_b64 s[52:53], s[44:45]
	s_xor_b64 s[44:45], exec, s[52:53]
	s_cbranch_execz .LBB47_5840
; %bb.5823:
	v_mov_b32_e32 v1, 43
	v_cmp_gt_i16_sdwa s[46:47], v11, v1 src0_sel:BYTE_0 src1_sel:DWORD
	s_mov_b64 s[54:55], vcc
	s_and_saveexec_b64 vcc, s[46:47]
	s_xor_b64 s[46:47], exec, vcc
	s_cbranch_execz .LBB47_5835
; %bb.5824:
	v_mov_b32_e32 v1, 45
	v_readlane_b32 s54, v44, 58
	v_cmp_gt_i16_sdwa s[4:5], v11, v1 src0_sel:BYTE_0 src1_sel:DWORD
	s_mov_b64 s[52:53], 0
	v_readlane_b32 s55, v44, 59
	s_and_saveexec_b64 vcc, s[4:5]
	s_xor_b64 s[4:5], exec, vcc
	s_cbranch_execz .LBB47_5828
; %bb.5825:
	v_mov_b32_e32 v1, 46
	v_cmp_eq_u16_sdwa s[56:57], v11, v1 src0_sel:BYTE_0 src1_sel:DWORD
	s_mov_b64 vcc, -1
	s_and_saveexec_b64 s[54:55], s[56:57]
	s_cbranch_execz .LBB47_5827
; %bb.5826:
	v_bfe_u32 v1, v66, 16, 1
	s_movk_i32 vcc_lo, 0x7fff
	v_add3_u32 v1, v66, v1, vcc_lo
	v_lshrrev_b32_e32 v1, 16, v1
	v_mov_b32_e32 v4, 0x7fc0
	v_cmp_o_f32_e32 vcc, v66, v66
	v_cndmask_b32_e32 v1, v4, v1, vcc
	s_mov_b64 s[52:53], exec
	flat_store_dword v[2:3], v1
	s_xor_b64 vcc, exec, -1
.LBB47_5827:
	s_or_b64 exec, exec, s[54:55]
	v_readlane_b32 s54, v44, 58
	v_readlane_b32 s55, v44, 59
	s_andn2_b64 s[54:55], s[54:55], exec
	s_and_b64 vcc, vcc, exec
	s_or_b64 s[54:55], s[54:55], vcc
	s_and_b64 s[52:53], s[52:53], exec
                                        ; implicit-def: $vgpr2_vgpr3
                                        ; implicit-def: $vgpr66
.LBB47_5828:
	s_andn2_saveexec_b64 s[56:57], s[4:5]
	s_cbranch_execz .LBB47_5834
; %bb.5829:
	v_mov_b32_e32 v1, 44
	v_cmp_eq_u16_sdwa s[60:61], v11, v1 src0_sel:BYTE_0 src1_sel:DWORD
	s_mov_b64 vcc, -1
	s_mov_b64 s[4:5], s[52:53]
	s_and_saveexec_b64 s[58:59], s[60:61]
	s_cbranch_execz .LBB47_5833
; %bb.5830:
	v_bfe_u32 v1, v66, 23, 8
	s_movk_i32 s4, 0xff
	v_cmp_ne_u32_e32 vcc, s4, v1
	v_mov_b32_e32 v4, 0xff
	s_and_saveexec_b64 s[60:61], vcc
; %bb.5831:
	s_mov_b32 s4, 0x3fffff
	v_and_b32_e32 v5, 0x400000, v66
	v_and_or_b32 v1, v66, s4, v1
	v_cmp_ne_u32_e32 vcc, 0, v5
	v_cmp_ne_u32_e64 s[4:5], 0, v1
	s_and_b64 s[4:5], vcc, s[4:5]
	v_lshrrev_b32_e32 v4, 23, v66
	v_cndmask_b32_e64 v1, 0, 1, s[4:5]
	v_add_u32_e32 v4, v4, v1
; %bb.5832:
	s_or_b64 exec, exec, s[60:61]
	s_xor_b64 vcc, exec, -1
	s_or_b64 s[4:5], s[52:53], exec
	flat_store_byte v[2:3], v4
.LBB47_5833:
	s_or_b64 exec, exec, s[58:59]
	s_andn2_b64 s[54:55], s[54:55], exec
	s_and_b64 vcc, vcc, exec
	s_or_b64 s[54:55], s[54:55], vcc
	s_andn2_b64 vcc, s[52:53], exec
	s_and_b64 s[4:5], s[4:5], exec
	s_or_b64 s[52:53], vcc, s[4:5]
.LBB47_5834:
	s_or_b64 exec, exec, s[56:57]
	v_readlane_b32 s4, v44, 58
	v_readlane_b32 s5, v44, 59
	s_andn2_b64 s[4:5], s[4:5], exec
	s_and_b64 vcc, s[54:55], exec
	s_or_b64 s[54:55], s[4:5], vcc
	s_and_b64 s[4:5], s[52:53], exec
                                        ; implicit-def: $vgpr66
                                        ; implicit-def: $vgpr2_vgpr3
.LBB47_5835:
	s_andn2_saveexec_b64 vcc, s[46:47]
	s_cbranch_execz .LBB47_5839
; %bb.5836:
	v_mov_b32_e32 v1, 29
	v_cmp_eq_u16_sdwa s[58:59], v11, v1 src0_sel:BYTE_0 src1_sel:DWORD
	s_mov_b64 s[56:57], -1
	s_mov_b64 s[52:53], s[4:5]
	s_and_saveexec_b64 s[46:47], s[58:59]
	s_cbranch_execz .LBB47_5838
; %bb.5837:
	v_trunc_f32_e32 v1, v66
	v_mul_f32_e32 v4, 0x2f800000, v1
	v_floor_f32_e32 v4, v4
	v_fmac_f32_e32 v1, 0xcf800000, v4
	v_cvt_u32_f32_e32 v5, v4
	v_cvt_u32_f32_e32 v4, v1
	s_xor_b64 s[56:57], exec, -1
	s_or_b64 s[52:53], s[4:5], exec
	flat_store_dwordx2 v[2:3], v[4:5]
.LBB47_5838:
	s_or_b64 exec, exec, s[46:47]
	s_andn2_b64 s[46:47], s[54:55], exec
	s_and_b64 s[54:55], s[56:57], exec
	s_or_b64 s[54:55], s[46:47], s[54:55]
	s_andn2_b64 s[4:5], s[4:5], exec
	s_and_b64 s[46:47], s[52:53], exec
	s_or_b64 s[4:5], s[4:5], s[46:47]
.LBB47_5839:
	s_or_b64 exec, exec, vcc
	v_readlane_b32 vcc_lo, v44, 58
	v_readlane_b32 vcc_hi, v44, 59
	s_andn2_b64 s[46:47], vcc, exec
	s_and_b64 s[52:53], s[54:55], exec
	s_or_b64 s[46:47], s[46:47], s[52:53]
	s_and_b64 s[4:5], s[4:5], exec
                                        ; implicit-def: $vgpr2_vgpr3
                                        ; implicit-def: $vgpr66
.LBB47_5840:
	s_andn2_saveexec_b64 s[44:45], s[44:45]
	s_cbranch_execz .LBB47_5856
; %bb.5841:
	v_mov_b32_e32 v1, 26
	v_cmp_gt_i16_sdwa vcc, v11, v1 src0_sel:BYTE_0 src1_sel:DWORD
	s_and_saveexec_b64 s[52:53], vcc
	s_xor_b64 vcc, exec, s[52:53]
	s_cbranch_execz .LBB47_5847
; %bb.5842:
	v_cvt_u32_f32_e32 v1, v66
	v_mov_b32_e32 v4, 27
	v_cmp_gt_i16_sdwa s[52:53], v11, v4 src0_sel:BYTE_0 src1_sel:DWORD
	s_and_saveexec_b64 s[54:55], s[52:53]
	s_xor_b64 s[52:53], exec, s[54:55]
	s_cbranch_execz .LBB47_5844
; %bb.5843:
	flat_store_dword v[2:3], v1
                                        ; implicit-def: $vgpr2_vgpr3
                                        ; implicit-def: $vgpr1
.LBB47_5844:
	s_andn2_saveexec_b64 s[52:53], s[52:53]
	s_cbranch_execz .LBB47_5846
; %bb.5845:
	flat_store_short v[2:3], v1
.LBB47_5846:
	s_or_b64 exec, exec, s[52:53]
                                        ; implicit-def: $vgpr2_vgpr3
                                        ; implicit-def: $vgpr66
.LBB47_5847:
	s_andn2_saveexec_b64 s[52:53], vcc
	s_cbranch_execz .LBB47_5855
; %bb.5848:
	v_and_b32_e32 v1, 0x7fffffff, v66
	s_mov_b32 vcc_lo, 0x43800000
	v_cmp_gt_u32_e32 vcc, vcc_lo, v1
	v_mov_b32_e32 v4, 0x80
	s_and_saveexec_b64 s[54:55], vcc
	s_cbranch_execz .LBB47_5854
; %bb.5849:
	s_mov_b32 vcc_lo, 0x3bffffff
	v_cmp_lt_u32_e32 vcc, vcc_lo, v1
	s_mov_b64 s[56:57], 0
                                        ; implicit-def: $vgpr1
	s_and_saveexec_b64 s[58:59], vcc
	s_xor_b64 vcc, exec, s[58:59]
	s_cbranch_execnz .LBB47_6575
; %bb.5850:
	s_or_saveexec_b64 s[58:59], vcc
                                        ; implicit-def: $sgpr60
	s_xor_b64 exec, exec, s[58:59]
	s_cbranch_execnz .LBB47_6576
.LBB47_5851:
	s_or_b64 exec, exec, s[58:59]
	v_mov_b32_e32 v4, s60
	s_and_saveexec_b64 vcc, s[56:57]
.LBB47_5852:
	v_lshrrev_b32_e32 v4, 24, v66
	s_movk_i32 s56, 0x80
	v_and_or_b32 v4, v4, s56, v1
.LBB47_5853:
	s_or_b64 exec, exec, vcc
.LBB47_5854:
	s_or_b64 exec, exec, s[54:55]
	flat_store_byte v[2:3], v4
.LBB47_5855:
	s_or_b64 exec, exec, s[52:53]
	v_readlane_b32 vcc_lo, v44, 58
	s_or_b64 s[4:5], s[4:5], exec
	v_readlane_b32 vcc_hi, v44, 59
.LBB47_5856:
	s_or_b64 exec, exec, s[44:45]
	s_andn2_b64 s[44:45], vcc, exec
	s_and_b64 s[46:47], s[46:47], exec
	s_or_b64 s[46:47], s[44:45], s[46:47]
	s_and_b64 s[44:45], s[4:5], exec
	s_mov_b64 s[4:5], s[50:51]
                                        ; implicit-def: $vgpr66
                                        ; implicit-def: $vgpr2_vgpr3
.LBB47_5857:
	s_andn2_saveexec_b64 s[48:49], s[48:49]
	s_cbranch_execz .LBB47_5901
; %bb.5858:
	v_mov_b32_e32 v1, 22
	v_cmp_gt_i16_sdwa vcc, v11, v1 src0_sel:BYTE_0 src1_sel:DWORD
	s_mov_b64 s[52:53], s[44:45]
	s_and_saveexec_b64 s[50:51], vcc
	s_xor_b64 s[50:51], exec, s[50:51]
	s_cbranch_execz .LBB47_5890
; %bb.5859:
	v_mov_b32_e32 v1, 23
	v_cmp_gt_i16_sdwa vcc, v11, v1 src0_sel:BYTE_0 src1_sel:DWORD
	s_and_saveexec_b64 s[52:53], vcc
	s_xor_b64 s[52:53], exec, s[52:53]
	s_cbranch_execz .LBB47_5879
; %bb.5860:
	v_mov_b32_e32 v1, 24
	v_cmp_gt_i16_sdwa vcc, v11, v1 src0_sel:BYTE_0 src1_sel:DWORD
	s_and_saveexec_b64 s[54:55], vcc
	s_xor_b64 s[54:55], exec, s[54:55]
	s_cbranch_execz .LBB47_5868
; %bb.5861:
	v_and_b32_e32 v1, 0x7fffffff, v66
	s_mov_b32 vcc_lo, 0x47800000
	v_cmp_gt_u32_e32 vcc, vcc_lo, v1
	v_mov_b32_e32 v4, 0x80
	s_and_saveexec_b64 s[56:57], vcc
	s_cbranch_execz .LBB47_5867
; %bb.5862:
	s_mov_b32 vcc_lo, 0x37ffffff
	v_cmp_lt_u32_e32 vcc, vcc_lo, v1
	s_mov_b64 s[58:59], 0
                                        ; implicit-def: $vgpr1
	s_and_saveexec_b64 s[60:61], vcc
	s_xor_b64 vcc, exec, s[60:61]
	s_cbranch_execnz .LBB47_6699
; %bb.5863:
	s_or_saveexec_b64 s[60:61], vcc
                                        ; implicit-def: $sgpr62
	s_xor_b64 exec, exec, s[60:61]
	s_cbranch_execnz .LBB47_6700
.LBB47_5864:
	s_or_b64 exec, exec, s[60:61]
	v_mov_b32_e32 v4, s62
	s_and_saveexec_b64 vcc, s[58:59]
.LBB47_5865:
	v_lshrrev_b32_e32 v4, 24, v66
	s_movk_i32 s58, 0x80
	v_and_or_b32 v4, v4, s58, v1
.LBB47_5866:
	s_or_b64 exec, exec, vcc
.LBB47_5867:
	s_or_b64 exec, exec, s[56:57]
	flat_store_byte v[2:3], v4
                                        ; implicit-def: $vgpr66
                                        ; implicit-def: $vgpr2_vgpr3
.LBB47_5868:
	s_andn2_saveexec_b64 s[54:55], s[54:55]
	s_cbranch_execz .LBB47_5878
; %bb.5869:
	v_and_b32_e32 v4, 0x7fffffff, v66
	s_mov_b32 vcc_lo, 0x43f00000
	v_cmp_gt_u32_e32 vcc, vcc_lo, v4
                                        ; implicit-def: $vgpr1
	s_and_saveexec_b64 s[56:57], vcc
	s_xor_b64 s[56:57], exec, s[56:57]
	s_cbranch_execz .LBB47_5875
; %bb.5870:
	s_mov_b32 vcc_lo, 0x3c7fffff
	v_cmp_lt_u32_e32 vcc, vcc_lo, v4
                                        ; implicit-def: $vgpr1
	s_and_saveexec_b64 s[58:59], vcc
	s_xor_b64 s[58:59], exec, s[58:59]
; %bb.5871:
	v_bfe_u32 v1, v66, 20, 1
	s_mov_b32 vcc_lo, 0x407ffff
	v_add3_u32 v1, v66, v1, vcc_lo
	v_lshrrev_b32_e32 v4, 20, v1
	v_and_b32_e32 v1, 0xff00000, v1
	s_mov_b32 vcc_lo, 0x7f00000
	v_mov_b32_e32 v5, 0x7e
	v_cmp_ne_u32_e32 vcc, vcc_lo, v1
	v_cndmask_b32_e32 v1, v5, v4, vcc
; %bb.5872:
	s_andn2_saveexec_b64 vcc, s[58:59]
; %bb.5873:
	s_mov_b32 s58, 0x46800000
	v_add_f32_e64 v1, |v66|, s58
; %bb.5874:
	s_or_b64 exec, exec, vcc
                                        ; implicit-def: $vgpr4
.LBB47_5875:
	s_andn2_saveexec_b64 s[56:57], s[56:57]
; %bb.5876:
	s_mov_b32 vcc_lo, 0x7f800000
	v_mov_b32_e32 v1, 0x7e
	v_mov_b32_e32 v5, 0x7f
	v_cmp_lt_u32_e32 vcc, vcc_lo, v4
	v_cndmask_b32_e32 v1, v1, v5, vcc
; %bb.5877:
	s_or_b64 exec, exec, s[56:57]
	v_lshrrev_b32_e32 v4, 24, v66
	s_movk_i32 vcc_lo, 0x80
	v_and_or_b32 v1, v4, vcc_lo, v1
	flat_store_byte v[2:3], v1
.LBB47_5878:
	s_or_b64 exec, exec, s[54:55]
                                        ; implicit-def: $vgpr66
                                        ; implicit-def: $vgpr2_vgpr3
.LBB47_5879:
	s_andn2_saveexec_b64 s[52:53], s[52:53]
	s_cbranch_execz .LBB47_5889
; %bb.5880:
	v_and_b32_e32 v4, 0x7fffffff, v66
	s_mov_b32 vcc_lo, 0x47800000
	v_cmp_gt_u32_e32 vcc, vcc_lo, v4
                                        ; implicit-def: $vgpr1
	s_and_saveexec_b64 s[54:55], vcc
	s_xor_b64 s[54:55], exec, s[54:55]
	s_cbranch_execz .LBB47_5886
; %bb.5881:
	s_mov_b32 vcc_lo, 0x387fffff
	v_cmp_lt_u32_e32 vcc, vcc_lo, v4
                                        ; implicit-def: $vgpr1
	s_and_saveexec_b64 s[56:57], vcc
	s_xor_b64 vcc, exec, s[56:57]
; %bb.5882:
	v_bfe_u32 v1, v66, 21, 1
	s_mov_b32 s56, 0x80fffff
	v_add3_u32 v1, v66, v1, s56
	v_lshrrev_b32_e32 v1, 21, v1
; %bb.5883:
	s_andn2_saveexec_b64 vcc, vcc
; %bb.5884:
	s_mov_b32 s56, 0x43000000
	v_add_f32_e64 v1, |v66|, s56
; %bb.5885:
	s_or_b64 exec, exec, vcc
                                        ; implicit-def: $vgpr4
.LBB47_5886:
	s_andn2_saveexec_b64 s[54:55], s[54:55]
; %bb.5887:
	s_mov_b32 vcc_lo, 0x7f800000
	v_mov_b32_e32 v1, 0x7c
	v_mov_b32_e32 v5, 0x7f
	v_cmp_lt_u32_e32 vcc, vcc_lo, v4
	v_cndmask_b32_e32 v1, v1, v5, vcc
; %bb.5888:
	s_or_b64 exec, exec, s[54:55]
	v_lshrrev_b32_e32 v4, 24, v66
	s_movk_i32 vcc_lo, 0x80
	v_and_or_b32 v1, v4, vcc_lo, v1
	flat_store_byte v[2:3], v1
.LBB47_5889:
	s_or_b64 exec, exec, s[52:53]
	s_or_b64 s[52:53], s[44:45], exec
                                        ; implicit-def: $vgpr66
                                        ; implicit-def: $vgpr2_vgpr3
.LBB47_5890:
	s_or_saveexec_b64 s[50:51], s[50:51]
	s_mov_b64 vcc, s[46:47]
	s_xor_b64 exec, exec, s[50:51]
	s_cbranch_execz .LBB47_5900
; %bb.5891:
	v_mov_b32_e32 v1, 14
	v_cmp_gt_i16_sdwa vcc, v11, v1 src0_sel:BYTE_0 src1_sel:DWORD
	s_mov_b64 s[54:55], s[52:53]
	s_mov_b64 s[56:57], s[46:47]
	s_and_saveexec_b64 s[58:59], vcc
	s_xor_b64 s[58:59], exec, s[58:59]
	s_cbranch_execz .LBB47_5895
; %bb.5892:
	v_mov_b32_e32 v1, 15
	v_cmp_eq_u16_sdwa s[60:61], v11, v1 src0_sel:BYTE_0 src1_sel:DWORD
	s_mov_b64 s[56:57], -1
	s_mov_b64 vcc, s[52:53]
	s_and_saveexec_b64 s[54:55], s[60:61]
	s_cbranch_execz .LBB47_5894
; %bb.5893:
	v_bfe_u32 v1, v66, 16, 1
	s_movk_i32 vcc_lo, 0x7fff
	v_add3_u32 v1, v66, v1, vcc_lo
	v_lshrrev_b32_e32 v1, 16, v1
	v_mov_b32_e32 v4, 0x7fc0
	v_cmp_o_f32_e32 vcc, v66, v66
	v_cndmask_b32_e32 v1, v4, v1, vcc
	flat_store_short v[2:3], v1
	s_xor_b64 s[56:57], exec, -1
	s_or_b64 vcc, s[52:53], exec
.LBB47_5894:
	s_or_b64 exec, exec, s[54:55]
	s_andn2_b64 s[54:55], s[46:47], exec
	s_and_b64 s[56:57], s[56:57], exec
	s_or_b64 s[56:57], s[54:55], s[56:57]
	s_andn2_b64 s[54:55], s[52:53], exec
	s_and_b64 vcc, vcc, exec
	s_or_b64 s[54:55], s[54:55], vcc
                                        ; implicit-def: $vgpr66
                                        ; implicit-def: $vgpr2_vgpr3
.LBB47_5895:
	s_andn2_saveexec_b64 s[58:59], s[58:59]
	s_cbranch_execz .LBB47_5899
; %bb.5896:
	v_mov_b32_e32 v1, 11
	v_cmp_eq_u16_sdwa s[64:65], v11, v1 src0_sel:BYTE_0 src1_sel:DWORD
	s_mov_b64 s[60:61], -1
	s_mov_b64 vcc, s[54:55]
	s_and_saveexec_b64 s[62:63], s[64:65]
	s_cbranch_execz .LBB47_5898
; %bb.5897:
	v_cmp_neq_f32_e32 vcc, 0, v66
	v_cndmask_b32_e64 v1, 0, 1, vcc
	flat_store_byte v[2:3], v1
	s_xor_b64 s[60:61], exec, -1
	s_or_b64 vcc, s[54:55], exec
.LBB47_5898:
	s_or_b64 exec, exec, s[62:63]
	s_andn2_b64 s[56:57], s[56:57], exec
	s_and_b64 s[60:61], s[60:61], exec
	s_andn2_b64 s[54:55], s[54:55], exec
	s_and_b64 vcc, vcc, exec
	s_or_b64 s[56:57], s[56:57], s[60:61]
	s_or_b64 s[54:55], s[54:55], vcc
.LBB47_5899:
	s_or_b64 exec, exec, s[58:59]
	s_andn2_b64 vcc, s[46:47], exec
	s_and_b64 s[56:57], s[56:57], exec
	s_andn2_b64 s[52:53], s[52:53], exec
	s_and_b64 s[54:55], s[54:55], exec
	s_or_b64 vcc, vcc, s[56:57]
	s_or_b64 s[52:53], s[52:53], s[54:55]
.LBB47_5900:
	s_or_b64 exec, exec, s[50:51]
	s_andn2_b64 s[46:47], s[46:47], exec
	s_and_b64 vcc, vcc, exec
	s_or_b64 s[46:47], s[46:47], vcc
	s_andn2_b64 vcc, s[44:45], exec
	s_and_b64 s[44:45], s[52:53], exec
	s_or_b64 s[44:45], vcc, s[44:45]
	v_readlane_b32 vcc_lo, v44, 58
	v_readlane_b32 vcc_hi, v44, 59
.LBB47_5901:
	s_or_b64 exec, exec, s[48:49]
	s_andn2_b64 s[48:49], vcc, exec
	s_and_b64 s[46:47], s[46:47], exec
	s_or_b64 s[46:47], s[48:49], s[46:47]
	s_and_b64 s[44:45], s[44:45], exec
                                        ; implicit-def: $vgpr66
                                        ; implicit-def: $vgpr2_vgpr3
	s_andn2_saveexec_b64 s[42:43], s[42:43]
	s_cbranch_execz .LBB47_3909
.LBB47_5902:
	v_mov_b32_e32 v1, 4
	v_cmp_gt_i16_sdwa s[48:49], v11, v1 src0_sel:BYTE_0 src1_sel:DWORD
	s_and_saveexec_b64 s[50:51], s[48:49]
	s_xor_b64 s[48:49], exec, s[50:51]
	s_cbranch_execz .LBB47_5924
; %bb.5903:
	v_mov_b32_e32 v1, 7
	v_cmp_gt_i16_sdwa vcc, v11, v1 src0_sel:BYTE_0 src1_sel:DWORD
	s_and_saveexec_b64 s[50:51], vcc
	s_xor_b64 vcc, exec, s[50:51]
	s_cbranch_execz .LBB47_5913
; %bb.5904:
	v_mov_b32_e32 v1, 8
	v_cmp_gt_i16_sdwa s[50:51], v11, v1 src0_sel:BYTE_0 src1_sel:DWORD
	s_and_saveexec_b64 s[52:53], s[50:51]
	s_xor_b64 s[50:51], exec, s[52:53]
	s_cbranch_execz .LBB47_5910
; %bb.5905:
	v_mov_b32_e32 v1, 9
	v_cmp_gt_i16_sdwa s[52:53], v11, v1 src0_sel:BYTE_0 src1_sel:DWORD
	s_and_saveexec_b64 s[54:55], s[52:53]
	s_xor_b64 s[52:53], exec, s[54:55]
	s_cbranch_execz .LBB47_5907
; %bb.5906:
	v_mov_b32_e32 v68, 0
	v_cvt_f64_f32_e32 v[66:67], v66
	v_mov_b32_e32 v69, v68
	flat_store_dwordx4 v[2:3], v[66:69]
                                        ; implicit-def: $vgpr66
                                        ; implicit-def: $vgpr2_vgpr3
.LBB47_5907:
	s_andn2_saveexec_b64 s[52:53], s[52:53]
	s_cbranch_execz .LBB47_5909
; %bb.5908:
	v_mov_b32_e32 v67, 0
	flat_store_dwordx2 v[2:3], v[66:67]
.LBB47_5909:
	s_or_b64 exec, exec, s[52:53]
                                        ; implicit-def: $vgpr66
                                        ; implicit-def: $vgpr2_vgpr3
.LBB47_5910:
	s_andn2_saveexec_b64 s[50:51], s[50:51]
	s_cbranch_execz .LBB47_5912
; %bb.5911:
	v_cvt_f16_f32_e32 v1, v66
	flat_store_dword v[2:3], v1
.LBB47_5912:
	s_or_b64 exec, exec, s[50:51]
                                        ; implicit-def: $vgpr66
                                        ; implicit-def: $vgpr2_vgpr3
.LBB47_5913:
	s_andn2_saveexec_b64 vcc, vcc
	s_cbranch_execz .LBB47_5923
; %bb.5914:
	v_mov_b32_e32 v1, 5
	v_cmp_gt_i16_sdwa s[50:51], v11, v1 src0_sel:BYTE_0 src1_sel:DWORD
	s_and_saveexec_b64 s[52:53], s[50:51]
	s_xor_b64 s[50:51], exec, s[52:53]
	s_cbranch_execz .LBB47_5920
; %bb.5915:
	v_mov_b32_e32 v1, 6
	v_cmp_gt_i16_sdwa s[52:53], v11, v1 src0_sel:BYTE_0 src1_sel:DWORD
	s_and_saveexec_b64 s[54:55], s[52:53]
	s_xor_b64 s[52:53], exec, s[54:55]
	s_cbranch_execz .LBB47_5917
; %bb.5916:
	v_cvt_f64_f32_e32 v[4:5], v66
	flat_store_dwordx2 v[2:3], v[4:5]
                                        ; implicit-def: $vgpr2_vgpr3
                                        ; implicit-def: $vgpr66
.LBB47_5917:
	s_andn2_saveexec_b64 s[52:53], s[52:53]
	s_cbranch_execz .LBB47_5919
; %bb.5918:
	flat_store_dword v[2:3], v66
.LBB47_5919:
	s_or_b64 exec, exec, s[52:53]
                                        ; implicit-def: $vgpr66
                                        ; implicit-def: $vgpr2_vgpr3
.LBB47_5920:
	s_andn2_saveexec_b64 s[50:51], s[50:51]
	s_cbranch_execz .LBB47_5922
; %bb.5921:
	v_cvt_f16_f32_e32 v1, v66
	flat_store_short v[2:3], v1
.LBB47_5922:
	s_or_b64 exec, exec, s[50:51]
.LBB47_5923:
	s_or_b64 exec, exec, vcc
	v_readlane_b32 vcc_lo, v44, 58
	v_readlane_b32 vcc_hi, v44, 59
                                        ; implicit-def: $vgpr66
                                        ; implicit-def: $vgpr2_vgpr3
.LBB47_5924:
	s_andn2_saveexec_b64 s[48:49], s[48:49]
	s_cbranch_execz .LBB47_5942
; %bb.5925:
	v_mov_b32_e32 v1, 1
	v_cmp_gt_i16_sdwa vcc, v11, v1 src0_sel:BYTE_0 src1_sel:DWORD
	s_and_saveexec_b64 s[50:51], vcc
	s_xor_b64 s[50:51], exec, s[50:51]
	s_cbranch_execz .LBB47_5935
; %bb.5926:
	v_mov_b32_e32 v1, 2
	v_cmp_gt_i16_sdwa vcc, v11, v1 src0_sel:BYTE_0 src1_sel:DWORD
	s_and_saveexec_b64 s[52:53], vcc
	s_xor_b64 s[52:53], exec, s[52:53]
	;; [unrolled: 6-line block ×3, first 2 shown]
	s_cbranch_execz .LBB47_5929
; %bb.5928:
	v_trunc_f32_e32 v1, v66
	s_mov_b32 s56, 0x2f800000
	v_mul_f32_e64 v4, |v1|, s56
	v_floor_f32_e32 v4, v4
	s_mov_b32 s56, 0xcf800000
	v_cvt_u32_f32_e32 v5, v4
	v_fma_f32 v4, v4, s56, |v1|
	v_cvt_u32_f32_e32 v4, v4
	v_ashrrev_i32_e32 v1, 31, v1
	v_xor_b32_e32 v5, v5, v1
                                        ; implicit-def: $vgpr66
	v_xor_b32_e32 v4, v4, v1
	v_sub_co_u32_e32 v4, vcc, v4, v1
	v_subb_co_u32_e32 v5, vcc, v5, v1, vcc
	flat_store_dwordx2 v[2:3], v[4:5]
                                        ; implicit-def: $vgpr2_vgpr3
.LBB47_5929:
	s_andn2_saveexec_b64 vcc, s[54:55]
	s_cbranch_execz .LBB47_5931
; %bb.5930:
	v_cvt_i32_f32_e32 v1, v66
	flat_store_dword v[2:3], v1
.LBB47_5931:
	s_or_b64 exec, exec, vcc
                                        ; implicit-def: $vgpr66
                                        ; implicit-def: $vgpr2_vgpr3
.LBB47_5932:
	s_andn2_saveexec_b64 vcc, s[52:53]
	s_cbranch_execz .LBB47_5934
; %bb.5933:
	v_cvt_i32_f32_e32 v1, v66
	flat_store_short v[2:3], v1
.LBB47_5934:
	s_or_b64 exec, exec, vcc
                                        ; implicit-def: $vgpr66
                                        ; implicit-def: $vgpr2_vgpr3
.LBB47_5935:
	s_andn2_saveexec_b64 vcc, s[50:51]
	s_cbranch_execz .LBB47_5941
; %bb.5936:
	v_mov_b32_e32 v1, 0
	v_cmp_gt_i16_sdwa s[50:51], v11, v1 src0_sel:BYTE_0 src1_sel:DWORD
	s_and_saveexec_b64 s[52:53], s[50:51]
	s_xor_b64 s[50:51], exec, s[52:53]
	s_cbranch_execz .LBB47_5938
; %bb.5937:
	v_cvt_i32_f32_e32 v1, v66
                                        ; implicit-def: $vgpr66
	flat_store_byte v[2:3], v1
                                        ; implicit-def: $vgpr2_vgpr3
.LBB47_5938:
	s_andn2_saveexec_b64 s[50:51], s[50:51]
	s_cbranch_execz .LBB47_5940
; %bb.5939:
	v_trunc_f32_e32 v1, v66
	s_mov_b32 s52, 0x2f800000
	v_mul_f32_e64 v4, |v1|, s52
	v_floor_f32_e32 v4, v4
	s_mov_b32 s52, 0xcf800000
	v_fma_f32 v4, v4, s52, |v1|
	v_cvt_u32_f32_e32 v4, v4
	v_ashrrev_i32_e32 v1, 31, v1
	v_xor_b32_e32 v4, v4, v1
	v_sub_u32_e32 v1, v4, v1
	flat_store_byte v[2:3], v1
.LBB47_5940:
	s_or_b64 exec, exec, s[50:51]
.LBB47_5941:
	s_or_b64 exec, exec, vcc
	v_readlane_b32 vcc_lo, v44, 58
	v_readlane_b32 vcc_hi, v44, 59
.LBB47_5942:
	s_or_b64 exec, exec, s[48:49]
	s_or_b64 s[44:45], s[44:45], exec
	s_or_b64 exec, exec, s[42:43]
	s_mov_b64 s[42:43], 0
	s_and_saveexec_b64 s[48:49], s[44:45]
	s_cbranch_execnz .LBB47_3910
	s_branch .LBB47_3911
.LBB47_5943:
	v_bfe_u32 v1, v86, 21, 1
	s_mov_b32 s42, 0x88fffff
	v_add3_u32 v1, v86, v1, s42
	s_mov_b64 s[40:41], exec
	v_lshrrev_b32_e32 v1, 21, v1
	s_or_saveexec_b64 s[42:43], vcc
                                        ; implicit-def: $sgpr44
	s_xor_b64 exec, exec, s[42:43]
	s_cbranch_execz .LBB47_5118
.LBB47_5944:
	s_mov_b32 s44, 0x42800000
	v_add_f32_e64 v1, |v86|, s44
	v_and_b32_e32 v1, 0xff, v1
	v_cmp_ne_u32_e32 vcc, 0, v1
	s_andn2_b64 s[40:41], s[40:41], exec
	s_and_b64 vcc, vcc, exec
	s_mov_b32 s44, 0
	s_or_b64 s[40:41], s[40:41], vcc
	s_or_b64 exec, exec, s[42:43]
	v_mov_b32_e32 v4, s44
	s_and_saveexec_b64 vcc, s[40:41]
	s_cbranch_execnz .LBB47_5119
	s_branch .LBB47_5120
.LBB47_5945:
	v_bfe_u32 v1, v84, 20, 1
	s_mov_b32 s44, 0x487ffff
	v_add3_u32 v1, v84, v1, s44
	s_mov_b64 s[42:43], exec
	v_lshrrev_b32_e32 v1, 20, v1
	s_or_saveexec_b64 s[44:45], vcc
                                        ; implicit-def: $sgpr46
	s_xor_b64 exec, exec, s[44:45]
	s_cbranch_execz .LBB47_5227
.LBB47_5946:
	s_mov_b32 s46, 0x46000000
	v_add_f32_e64 v1, |v84|, s46
	v_and_b32_e32 v1, 0xff, v1
	v_cmp_ne_u32_e32 vcc, 0, v1
	s_andn2_b64 s[42:43], s[42:43], exec
	s_and_b64 vcc, vcc, exec
	s_mov_b32 s46, 0
	s_or_b64 s[42:43], s[42:43], vcc
	s_or_b64 exec, exec, s[44:45]
	v_mov_b32_e32 v4, s46
	s_and_saveexec_b64 vcc, s[42:43]
	s_cbranch_execnz .LBB47_5228
	s_branch .LBB47_5229
.LBB47_5947:
	v_mov_b32_e32 v1, 25
	s_mov_b64 s[44:45], s[4:5]
	v_cmp_gt_i16_sdwa s[48:49], v11, v1 src0_sel:BYTE_0 src1_sel:DWORD
	s_mov_b64 s[4:5], 0
	s_mov_b64 s[46:47], vcc
	s_and_saveexec_b64 s[50:51], s[48:49]
	s_xor_b64 s[48:49], exec, s[50:51]
	s_cbranch_execz .LBB47_5983
; %bb.5948:
	v_mov_b32_e32 v1, 28
	v_cmp_gt_i16_sdwa s[46:47], v11, v1 src0_sel:BYTE_0 src1_sel:DWORD
	s_mov_b64 s[50:51], vcc
	s_and_saveexec_b64 vcc, s[46:47]
	s_xor_b64 s[46:47], exec, vcc
	s_cbranch_execz .LBB47_5966
; %bb.5949:
	v_mov_b32_e32 v1, 43
	v_readlane_b32 vcc_lo, v44, 62
	v_cmp_gt_i16_sdwa s[50:51], v11, v1 src0_sel:BYTE_0 src1_sel:DWORD
	v_readlane_b32 vcc_hi, v44, 63
	s_and_saveexec_b64 s[52:53], s[50:51]
	s_xor_b64 s[50:51], exec, s[52:53]
	s_cbranch_execz .LBB47_5961
; %bb.5950:
	v_mov_b32_e32 v1, 45
	v_readlane_b32 s54, v44, 62
	v_cmp_gt_i16_sdwa s[4:5], v11, v1 src0_sel:BYTE_0 src1_sel:DWORD
	s_mov_b64 s[52:53], 0
	v_readlane_b32 s55, v44, 63
	s_and_saveexec_b64 vcc, s[4:5]
	s_xor_b64 s[4:5], exec, vcc
	s_cbranch_execz .LBB47_5954
; %bb.5951:
	v_mov_b32_e32 v1, 46
	v_cmp_eq_u16_sdwa s[56:57], v11, v1 src0_sel:BYTE_0 src1_sel:DWORD
	s_mov_b64 vcc, -1
	s_and_saveexec_b64 s[54:55], s[56:57]
	s_cbranch_execz .LBB47_5953
; %bb.5952:
	s_waitcnt vmcnt(0) lgkmcnt(0)
	v_bfe_u32 v1, v64, 16, 1
	s_movk_i32 vcc_lo, 0x7fff
	v_add3_u32 v1, v64, v1, vcc_lo
	v_lshrrev_b32_e32 v1, 16, v1
	v_mov_b32_e32 v4, 0x7fc0
	v_cmp_o_f32_e32 vcc, v64, v64
	v_cndmask_b32_e32 v1, v4, v1, vcc
	s_mov_b64 s[52:53], exec
	flat_store_dword v[2:3], v1
	s_xor_b64 vcc, exec, -1
.LBB47_5953:
	s_or_b64 exec, exec, s[54:55]
	v_readlane_b32 s54, v44, 62
	v_readlane_b32 s55, v44, 63
	s_andn2_b64 s[54:55], s[54:55], exec
	s_and_b64 vcc, vcc, exec
	s_or_b64 s[54:55], s[54:55], vcc
	s_and_b64 s[52:53], s[52:53], exec
                                        ; implicit-def: $vgpr2_vgpr3
                                        ; implicit-def: $vgpr64
.LBB47_5954:
	s_andn2_saveexec_b64 s[56:57], s[4:5]
	s_cbranch_execz .LBB47_5960
; %bb.5955:
	v_mov_b32_e32 v1, 44
	v_cmp_eq_u16_sdwa s[60:61], v11, v1 src0_sel:BYTE_0 src1_sel:DWORD
	s_mov_b64 vcc, -1
	s_mov_b64 s[4:5], s[52:53]
	s_and_saveexec_b64 s[58:59], s[60:61]
	s_cbranch_execz .LBB47_5959
; %bb.5956:
	s_waitcnt vmcnt(0) lgkmcnt(0)
	v_bfe_u32 v1, v64, 23, 8
	s_movk_i32 s4, 0xff
	v_cmp_ne_u32_e32 vcc, s4, v1
	v_mov_b32_e32 v4, 0xff
	s_and_saveexec_b64 s[60:61], vcc
; %bb.5957:
	s_mov_b32 s4, 0x3fffff
	v_and_b32_e32 v5, 0x400000, v64
	v_and_or_b32 v1, v64, s4, v1
	v_cmp_ne_u32_e32 vcc, 0, v5
	v_cmp_ne_u32_e64 s[4:5], 0, v1
	s_and_b64 s[4:5], vcc, s[4:5]
	v_lshrrev_b32_e32 v4, 23, v64
	v_cndmask_b32_e64 v1, 0, 1, s[4:5]
	v_add_u32_e32 v4, v4, v1
; %bb.5958:
	s_or_b64 exec, exec, s[60:61]
	s_xor_b64 vcc, exec, -1
	s_or_b64 s[4:5], s[52:53], exec
	flat_store_byte v[2:3], v4
.LBB47_5959:
	s_or_b64 exec, exec, s[58:59]
	s_andn2_b64 s[54:55], s[54:55], exec
	s_and_b64 vcc, vcc, exec
	s_or_b64 s[54:55], s[54:55], vcc
	s_andn2_b64 vcc, s[52:53], exec
	s_and_b64 s[4:5], s[4:5], exec
	s_or_b64 s[52:53], vcc, s[4:5]
.LBB47_5960:
	s_or_b64 exec, exec, s[56:57]
	v_readlane_b32 s4, v44, 62
	v_readlane_b32 s5, v44, 63
	s_andn2_b64 s[4:5], s[4:5], exec
	s_and_b64 vcc, s[54:55], exec
	s_or_b64 vcc, s[4:5], vcc
	s_and_b64 s[4:5], s[52:53], exec
                                        ; implicit-def: $vgpr64
                                        ; implicit-def: $vgpr2_vgpr3
.LBB47_5961:
	s_andn2_saveexec_b64 s[50:51], s[50:51]
	s_cbranch_execz .LBB47_5965
; %bb.5962:
	v_mov_b32_e32 v1, 29
	v_cmp_eq_u16_sdwa s[58:59], v11, v1 src0_sel:BYTE_0 src1_sel:DWORD
	s_mov_b64 s[56:57], -1
	s_mov_b64 s[54:55], s[4:5]
	s_and_saveexec_b64 s[52:53], s[58:59]
	s_cbranch_execz .LBB47_5964
; %bb.5963:
	s_waitcnt vmcnt(0) lgkmcnt(0)
	v_trunc_f32_e32 v1, v64
	v_mul_f32_e32 v4, 0x2f800000, v1
	v_floor_f32_e32 v4, v4
	v_fmac_f32_e32 v1, 0xcf800000, v4
	v_cvt_u32_f32_e32 v5, v4
	v_cvt_u32_f32_e32 v4, v1
	s_xor_b64 s[56:57], exec, -1
	s_or_b64 s[54:55], s[4:5], exec
	flat_store_dwordx2 v[2:3], v[4:5]
.LBB47_5964:
	s_or_b64 exec, exec, s[52:53]
	s_andn2_b64 vcc, vcc, exec
	s_and_b64 s[52:53], s[56:57], exec
	s_or_b64 vcc, vcc, s[52:53]
	s_andn2_b64 s[4:5], s[4:5], exec
	s_and_b64 s[52:53], s[54:55], exec
	s_or_b64 s[4:5], s[4:5], s[52:53]
.LBB47_5965:
	s_or_b64 exec, exec, s[50:51]
	v_readlane_b32 s50, v44, 62
	v_readlane_b32 s51, v44, 63
	s_andn2_b64 s[50:51], s[50:51], exec
	s_and_b64 vcc, vcc, exec
	s_or_b64 s[50:51], s[50:51], vcc
	s_and_b64 s[4:5], s[4:5], exec
                                        ; implicit-def: $vgpr2_vgpr3
                                        ; implicit-def: $vgpr64
.LBB47_5966:
	s_andn2_saveexec_b64 s[46:47], s[46:47]
	s_cbranch_execz .LBB47_5982
; %bb.5967:
	v_mov_b32_e32 v1, 26
	v_cmp_gt_i16_sdwa vcc, v11, v1 src0_sel:BYTE_0 src1_sel:DWORD
	s_and_saveexec_b64 s[52:53], vcc
	s_xor_b64 vcc, exec, s[52:53]
	s_cbranch_execz .LBB47_5973
; %bb.5968:
	s_waitcnt vmcnt(0) lgkmcnt(0)
	v_cvt_u32_f32_e32 v1, v64
	v_mov_b32_e32 v4, 27
	v_cmp_gt_i16_sdwa s[52:53], v11, v4 src0_sel:BYTE_0 src1_sel:DWORD
	s_and_saveexec_b64 s[54:55], s[52:53]
	s_xor_b64 s[52:53], exec, s[54:55]
	s_cbranch_execz .LBB47_5970
; %bb.5969:
	flat_store_dword v[2:3], v1
                                        ; implicit-def: $vgpr2_vgpr3
                                        ; implicit-def: $vgpr1
.LBB47_5970:
	s_andn2_saveexec_b64 s[52:53], s[52:53]
	s_cbranch_execz .LBB47_5972
; %bb.5971:
	flat_store_short v[2:3], v1
.LBB47_5972:
	s_or_b64 exec, exec, s[52:53]
                                        ; implicit-def: $vgpr2_vgpr3
                                        ; implicit-def: $vgpr64
.LBB47_5973:
	s_andn2_saveexec_b64 s[52:53], vcc
	s_cbranch_execz .LBB47_5981
; %bb.5974:
	s_waitcnt vmcnt(0) lgkmcnt(0)
	v_and_b32_e32 v1, 0x7fffffff, v64
	s_mov_b32 vcc_lo, 0x43800000
	v_cmp_gt_u32_e32 vcc, vcc_lo, v1
	v_mov_b32_e32 v4, 0x80
	s_and_saveexec_b64 s[54:55], vcc
	s_cbranch_execz .LBB47_5980
; %bb.5975:
	s_mov_b32 vcc_lo, 0x3bffffff
	v_cmp_lt_u32_e32 vcc, vcc_lo, v1
	s_mov_b64 s[56:57], 0
                                        ; implicit-def: $vgpr1
	s_and_saveexec_b64 s[58:59], vcc
	s_xor_b64 vcc, exec, s[58:59]
	s_cbranch_execnz .LBB47_6701
; %bb.5976:
	s_or_saveexec_b64 s[58:59], vcc
                                        ; implicit-def: $sgpr60
	s_xor_b64 exec, exec, s[58:59]
	s_cbranch_execnz .LBB47_6702
.LBB47_5977:
	s_or_b64 exec, exec, s[58:59]
	v_mov_b32_e32 v4, s60
	s_and_saveexec_b64 vcc, s[56:57]
.LBB47_5978:
	v_lshrrev_b32_e32 v4, 24, v64
	s_movk_i32 s56, 0x80
	v_and_or_b32 v4, v4, s56, v1
.LBB47_5979:
	s_or_b64 exec, exec, vcc
.LBB47_5980:
	s_or_b64 exec, exec, s[54:55]
	flat_store_byte v[2:3], v4
.LBB47_5981:
	s_or_b64 exec, exec, s[52:53]
	s_or_b64 s[4:5], s[4:5], exec
.LBB47_5982:
	s_or_b64 exec, exec, s[46:47]
	v_readlane_b32 vcc_lo, v44, 62
	v_readlane_b32 vcc_hi, v44, 63
	s_andn2_b64 s[46:47], vcc, exec
	s_and_b64 s[50:51], s[50:51], exec
	s_or_b64 s[46:47], s[46:47], s[50:51]
	s_and_b64 s[4:5], s[4:5], exec
                                        ; implicit-def: $vgpr64
                                        ; implicit-def: $vgpr2_vgpr3
.LBB47_5983:
	s_andn2_saveexec_b64 s[48:49], s[48:49]
	s_cbranch_execz .LBB47_6027
; %bb.5984:
	v_mov_b32_e32 v1, 22
	v_cmp_gt_i16_sdwa vcc, v11, v1 src0_sel:BYTE_0 src1_sel:DWORD
	s_mov_b64 s[52:53], s[4:5]
	s_and_saveexec_b64 s[50:51], vcc
	s_xor_b64 s[50:51], exec, s[50:51]
	s_cbranch_execz .LBB47_6016
; %bb.5985:
	v_mov_b32_e32 v1, 23
	v_cmp_gt_i16_sdwa vcc, v11, v1 src0_sel:BYTE_0 src1_sel:DWORD
	s_and_saveexec_b64 s[52:53], vcc
	s_xor_b64 s[52:53], exec, s[52:53]
	s_cbranch_execz .LBB47_6005
; %bb.5986:
	v_mov_b32_e32 v1, 24
	v_cmp_gt_i16_sdwa vcc, v11, v1 src0_sel:BYTE_0 src1_sel:DWORD
	s_and_saveexec_b64 s[54:55], vcc
	s_xor_b64 s[54:55], exec, s[54:55]
	s_cbranch_execz .LBB47_5994
; %bb.5987:
	s_waitcnt vmcnt(0) lgkmcnt(0)
	v_and_b32_e32 v1, 0x7fffffff, v64
	s_mov_b32 vcc_lo, 0x47800000
	v_cmp_gt_u32_e32 vcc, vcc_lo, v1
	v_mov_b32_e32 v4, 0x80
	s_and_saveexec_b64 s[56:57], vcc
	s_cbranch_execz .LBB47_5993
; %bb.5988:
	s_mov_b32 vcc_lo, 0x37ffffff
	v_cmp_lt_u32_e32 vcc, vcc_lo, v1
	s_mov_b64 s[58:59], 0
                                        ; implicit-def: $vgpr1
	s_and_saveexec_b64 s[60:61], vcc
	s_xor_b64 vcc, exec, s[60:61]
	s_cbranch_execnz .LBB47_6825
; %bb.5989:
	s_or_saveexec_b64 s[60:61], vcc
                                        ; implicit-def: $sgpr62
	s_xor_b64 exec, exec, s[60:61]
	s_cbranch_execnz .LBB47_6826
.LBB47_5990:
	s_or_b64 exec, exec, s[60:61]
	v_mov_b32_e32 v4, s62
	s_and_saveexec_b64 vcc, s[58:59]
.LBB47_5991:
	v_lshrrev_b32_e32 v4, 24, v64
	s_movk_i32 s58, 0x80
	v_and_or_b32 v4, v4, s58, v1
.LBB47_5992:
	s_or_b64 exec, exec, vcc
.LBB47_5993:
	s_or_b64 exec, exec, s[56:57]
	flat_store_byte v[2:3], v4
                                        ; implicit-def: $vgpr64
                                        ; implicit-def: $vgpr2_vgpr3
.LBB47_5994:
	s_andn2_saveexec_b64 s[54:55], s[54:55]
	s_cbranch_execz .LBB47_6004
; %bb.5995:
	s_waitcnt vmcnt(0) lgkmcnt(0)
	v_and_b32_e32 v4, 0x7fffffff, v64
	s_mov_b32 vcc_lo, 0x43f00000
	v_cmp_gt_u32_e32 vcc, vcc_lo, v4
                                        ; implicit-def: $vgpr1
	s_and_saveexec_b64 s[56:57], vcc
	s_xor_b64 s[56:57], exec, s[56:57]
	s_cbranch_execz .LBB47_6001
; %bb.5996:
	s_mov_b32 vcc_lo, 0x3c7fffff
	v_cmp_lt_u32_e32 vcc, vcc_lo, v4
                                        ; implicit-def: $vgpr1
	s_and_saveexec_b64 s[58:59], vcc
	s_xor_b64 s[58:59], exec, s[58:59]
; %bb.5997:
	v_bfe_u32 v1, v64, 20, 1
	s_mov_b32 vcc_lo, 0x407ffff
	v_add3_u32 v1, v64, v1, vcc_lo
	v_lshrrev_b32_e32 v4, 20, v1
	v_and_b32_e32 v1, 0xff00000, v1
	s_mov_b32 vcc_lo, 0x7f00000
	v_mov_b32_e32 v5, 0x7e
	v_cmp_ne_u32_e32 vcc, vcc_lo, v1
	v_cndmask_b32_e32 v1, v5, v4, vcc
; %bb.5998:
	s_andn2_saveexec_b64 vcc, s[58:59]
; %bb.5999:
	s_mov_b32 s58, 0x46800000
	v_add_f32_e64 v1, |v64|, s58
; %bb.6000:
	s_or_b64 exec, exec, vcc
                                        ; implicit-def: $vgpr4
.LBB47_6001:
	s_andn2_saveexec_b64 s[56:57], s[56:57]
; %bb.6002:
	s_mov_b32 vcc_lo, 0x7f800000
	v_mov_b32_e32 v1, 0x7e
	v_mov_b32_e32 v5, 0x7f
	v_cmp_lt_u32_e32 vcc, vcc_lo, v4
	v_cndmask_b32_e32 v1, v1, v5, vcc
; %bb.6003:
	s_or_b64 exec, exec, s[56:57]
	v_lshrrev_b32_e32 v4, 24, v64
	s_movk_i32 vcc_lo, 0x80
	v_and_or_b32 v1, v4, vcc_lo, v1
	flat_store_byte v[2:3], v1
.LBB47_6004:
	s_or_b64 exec, exec, s[54:55]
                                        ; implicit-def: $vgpr64
                                        ; implicit-def: $vgpr2_vgpr3
.LBB47_6005:
	s_andn2_saveexec_b64 s[52:53], s[52:53]
	s_cbranch_execz .LBB47_6015
; %bb.6006:
	s_waitcnt vmcnt(0) lgkmcnt(0)
	v_and_b32_e32 v4, 0x7fffffff, v64
	s_mov_b32 vcc_lo, 0x47800000
	v_cmp_gt_u32_e32 vcc, vcc_lo, v4
                                        ; implicit-def: $vgpr1
	s_and_saveexec_b64 s[54:55], vcc
	s_xor_b64 s[54:55], exec, s[54:55]
	s_cbranch_execz .LBB47_6012
; %bb.6007:
	s_mov_b32 vcc_lo, 0x387fffff
	v_cmp_lt_u32_e32 vcc, vcc_lo, v4
                                        ; implicit-def: $vgpr1
	s_and_saveexec_b64 s[56:57], vcc
	s_xor_b64 vcc, exec, s[56:57]
; %bb.6008:
	v_bfe_u32 v1, v64, 21, 1
	s_mov_b32 s56, 0x80fffff
	v_add3_u32 v1, v64, v1, s56
	v_lshrrev_b32_e32 v1, 21, v1
; %bb.6009:
	s_andn2_saveexec_b64 vcc, vcc
; %bb.6010:
	s_mov_b32 s56, 0x43000000
	v_add_f32_e64 v1, |v64|, s56
; %bb.6011:
	s_or_b64 exec, exec, vcc
                                        ; implicit-def: $vgpr4
.LBB47_6012:
	s_andn2_saveexec_b64 s[54:55], s[54:55]
; %bb.6013:
	s_mov_b32 vcc_lo, 0x7f800000
	v_mov_b32_e32 v1, 0x7c
	v_mov_b32_e32 v5, 0x7f
	v_cmp_lt_u32_e32 vcc, vcc_lo, v4
	v_cndmask_b32_e32 v1, v1, v5, vcc
; %bb.6014:
	s_or_b64 exec, exec, s[54:55]
	v_lshrrev_b32_e32 v4, 24, v64
	s_movk_i32 vcc_lo, 0x80
	v_and_or_b32 v1, v4, vcc_lo, v1
	flat_store_byte v[2:3], v1
.LBB47_6015:
	s_or_b64 exec, exec, s[52:53]
	s_or_b64 s[52:53], s[4:5], exec
                                        ; implicit-def: $vgpr64
                                        ; implicit-def: $vgpr2_vgpr3
.LBB47_6016:
	s_or_saveexec_b64 s[50:51], s[50:51]
	s_mov_b64 vcc, s[46:47]
	s_xor_b64 exec, exec, s[50:51]
	s_cbranch_execz .LBB47_6026
; %bb.6017:
	v_mov_b32_e32 v1, 14
	v_cmp_gt_i16_sdwa vcc, v11, v1 src0_sel:BYTE_0 src1_sel:DWORD
	s_mov_b64 s[54:55], s[52:53]
	s_mov_b64 s[56:57], s[46:47]
	s_and_saveexec_b64 s[58:59], vcc
	s_xor_b64 s[58:59], exec, s[58:59]
	s_cbranch_execz .LBB47_6021
; %bb.6018:
	v_mov_b32_e32 v1, 15
	v_cmp_eq_u16_sdwa s[60:61], v11, v1 src0_sel:BYTE_0 src1_sel:DWORD
	s_mov_b64 s[56:57], -1
	s_mov_b64 vcc, s[52:53]
	s_and_saveexec_b64 s[54:55], s[60:61]
	s_cbranch_execz .LBB47_6020
; %bb.6019:
	s_waitcnt vmcnt(0) lgkmcnt(0)
	v_bfe_u32 v1, v64, 16, 1
	s_movk_i32 vcc_lo, 0x7fff
	v_add3_u32 v1, v64, v1, vcc_lo
	v_lshrrev_b32_e32 v1, 16, v1
	v_mov_b32_e32 v4, 0x7fc0
	v_cmp_o_f32_e32 vcc, v64, v64
	v_cndmask_b32_e32 v1, v4, v1, vcc
	flat_store_short v[2:3], v1
	s_xor_b64 s[56:57], exec, -1
	s_or_b64 vcc, s[52:53], exec
.LBB47_6020:
	s_or_b64 exec, exec, s[54:55]
	s_andn2_b64 s[54:55], s[46:47], exec
	s_and_b64 s[56:57], s[56:57], exec
	s_or_b64 s[56:57], s[54:55], s[56:57]
	s_andn2_b64 s[54:55], s[52:53], exec
	s_and_b64 vcc, vcc, exec
	s_or_b64 s[54:55], s[54:55], vcc
                                        ; implicit-def: $vgpr64
                                        ; implicit-def: $vgpr2_vgpr3
.LBB47_6021:
	s_andn2_saveexec_b64 s[58:59], s[58:59]
	s_cbranch_execz .LBB47_6025
; %bb.6022:
	v_mov_b32_e32 v1, 11
	v_cmp_eq_u16_sdwa s[64:65], v11, v1 src0_sel:BYTE_0 src1_sel:DWORD
	s_mov_b64 s[60:61], -1
	s_mov_b64 vcc, s[54:55]
	s_and_saveexec_b64 s[62:63], s[64:65]
	s_cbranch_execz .LBB47_6024
; %bb.6023:
	s_waitcnt vmcnt(0) lgkmcnt(0)
	v_cmp_neq_f32_e32 vcc, 0, v64
	v_cndmask_b32_e64 v1, 0, 1, vcc
	flat_store_byte v[2:3], v1
	s_xor_b64 s[60:61], exec, -1
	s_or_b64 vcc, s[54:55], exec
.LBB47_6024:
	s_or_b64 exec, exec, s[62:63]
	s_andn2_b64 s[56:57], s[56:57], exec
	s_and_b64 s[60:61], s[60:61], exec
	s_andn2_b64 s[54:55], s[54:55], exec
	s_and_b64 vcc, vcc, exec
	s_or_b64 s[56:57], s[56:57], s[60:61]
	s_or_b64 s[54:55], s[54:55], vcc
.LBB47_6025:
	s_or_b64 exec, exec, s[58:59]
	s_andn2_b64 vcc, s[46:47], exec
	s_and_b64 s[56:57], s[56:57], exec
	s_andn2_b64 s[52:53], s[52:53], exec
	s_and_b64 s[54:55], s[54:55], exec
	s_or_b64 vcc, vcc, s[56:57]
	s_or_b64 s[52:53], s[52:53], s[54:55]
.LBB47_6026:
	s_or_b64 exec, exec, s[50:51]
	s_andn2_b64 s[46:47], s[46:47], exec
	s_and_b64 vcc, vcc, exec
	s_or_b64 s[46:47], s[46:47], vcc
	s_andn2_b64 s[4:5], s[4:5], exec
	s_and_b64 vcc, s[52:53], exec
	s_or_b64 s[4:5], s[4:5], vcc
	v_readlane_b32 vcc_lo, v44, 62
	v_readlane_b32 vcc_hi, v44, 63
.LBB47_6027:
	s_or_b64 exec, exec, s[48:49]
	s_andn2_b64 s[48:49], vcc, exec
	s_and_b64 s[46:47], s[46:47], exec
	s_or_b64 s[46:47], s[48:49], s[46:47]
	s_and_b64 s[48:49], s[4:5], exec
	s_mov_b64 s[4:5], s[44:45]
                                        ; implicit-def: $vgpr64
                                        ; implicit-def: $vgpr2_vgpr3
	s_andn2_saveexec_b64 s[42:43], s[42:43]
	s_cbranch_execz .LBB47_3916
.LBB47_6028:
	v_mov_b32_e32 v1, 4
	v_cmp_gt_i16_sdwa vcc, v11, v1 src0_sel:BYTE_0 src1_sel:DWORD
	s_and_saveexec_b64 s[44:45], vcc
	s_xor_b64 vcc, exec, s[44:45]
	s_cbranch_execz .LBB47_6050
; %bb.6029:
	v_mov_b32_e32 v1, 7
	v_cmp_gt_i16_sdwa s[44:45], v11, v1 src0_sel:BYTE_0 src1_sel:DWORD
	s_and_saveexec_b64 s[50:51], s[44:45]
	s_xor_b64 s[44:45], exec, s[50:51]
	s_cbranch_execz .LBB47_6039
; %bb.6030:
	v_mov_b32_e32 v1, 8
	v_cmp_gt_i16_sdwa s[50:51], v11, v1 src0_sel:BYTE_0 src1_sel:DWORD
	s_and_saveexec_b64 s[52:53], s[50:51]
	s_xor_b64 s[50:51], exec, s[52:53]
	;; [unrolled: 6-line block ×3, first 2 shown]
	s_cbranch_execz .LBB47_6033
; %bb.6032:
	v_mov_b32_e32 v66, 0
	s_waitcnt vmcnt(0) lgkmcnt(0)
	v_cvt_f64_f32_e32 v[64:65], v64
	v_mov_b32_e32 v67, v66
	flat_store_dwordx4 v[2:3], v[64:67]
                                        ; implicit-def: $vgpr64
                                        ; implicit-def: $vgpr2_vgpr3
.LBB47_6033:
	s_andn2_saveexec_b64 s[52:53], s[52:53]
	s_cbranch_execz .LBB47_6035
; %bb.6034:
	v_mov_b32_e32 v65, 0
	s_waitcnt vmcnt(0) lgkmcnt(0)
	flat_store_dwordx2 v[2:3], v[64:65]
.LBB47_6035:
	s_or_b64 exec, exec, s[52:53]
                                        ; implicit-def: $vgpr64
                                        ; implicit-def: $vgpr2_vgpr3
.LBB47_6036:
	s_andn2_saveexec_b64 s[50:51], s[50:51]
	s_cbranch_execz .LBB47_6038
; %bb.6037:
	s_waitcnt vmcnt(0) lgkmcnt(0)
	v_cvt_f16_f32_e32 v1, v64
	flat_store_dword v[2:3], v1
.LBB47_6038:
	s_or_b64 exec, exec, s[50:51]
                                        ; implicit-def: $vgpr64
                                        ; implicit-def: $vgpr2_vgpr3
.LBB47_6039:
	s_andn2_saveexec_b64 s[44:45], s[44:45]
	s_cbranch_execz .LBB47_6049
; %bb.6040:
	v_mov_b32_e32 v1, 5
	v_cmp_gt_i16_sdwa s[50:51], v11, v1 src0_sel:BYTE_0 src1_sel:DWORD
	s_and_saveexec_b64 s[52:53], s[50:51]
	s_xor_b64 s[50:51], exec, s[52:53]
	s_cbranch_execz .LBB47_6046
; %bb.6041:
	v_mov_b32_e32 v1, 6
	v_cmp_gt_i16_sdwa s[52:53], v11, v1 src0_sel:BYTE_0 src1_sel:DWORD
	s_and_saveexec_b64 s[54:55], s[52:53]
	s_xor_b64 s[52:53], exec, s[54:55]
	s_cbranch_execz .LBB47_6043
; %bb.6042:
	s_waitcnt vmcnt(0) lgkmcnt(0)
	v_cvt_f64_f32_e32 v[4:5], v64
	flat_store_dwordx2 v[2:3], v[4:5]
                                        ; implicit-def: $vgpr2_vgpr3
                                        ; implicit-def: $vgpr64
.LBB47_6043:
	s_andn2_saveexec_b64 s[52:53], s[52:53]
	s_cbranch_execz .LBB47_6045
; %bb.6044:
	s_waitcnt vmcnt(0) lgkmcnt(0)
	flat_store_dword v[2:3], v64
.LBB47_6045:
	s_or_b64 exec, exec, s[52:53]
                                        ; implicit-def: $vgpr64
                                        ; implicit-def: $vgpr2_vgpr3
.LBB47_6046:
	s_andn2_saveexec_b64 s[50:51], s[50:51]
	s_cbranch_execz .LBB47_6048
; %bb.6047:
	s_waitcnt vmcnt(0) lgkmcnt(0)
	v_cvt_f16_f32_e32 v1, v64
	flat_store_short v[2:3], v1
.LBB47_6048:
	s_or_b64 exec, exec, s[50:51]
.LBB47_6049:
	s_or_b64 exec, exec, s[44:45]
                                        ; implicit-def: $vgpr64
                                        ; implicit-def: $vgpr2_vgpr3
.LBB47_6050:
	s_andn2_saveexec_b64 s[44:45], vcc
	s_cbranch_execz .LBB47_6068
; %bb.6051:
	v_mov_b32_e32 v1, 1
	v_cmp_gt_i16_sdwa vcc, v11, v1 src0_sel:BYTE_0 src1_sel:DWORD
	s_and_saveexec_b64 s[50:51], vcc
	s_xor_b64 s[50:51], exec, s[50:51]
	s_cbranch_execz .LBB47_6061
; %bb.6052:
	v_mov_b32_e32 v1, 2
	v_cmp_gt_i16_sdwa vcc, v11, v1 src0_sel:BYTE_0 src1_sel:DWORD
	s_and_saveexec_b64 s[52:53], vcc
	s_xor_b64 s[52:53], exec, s[52:53]
	;; [unrolled: 6-line block ×3, first 2 shown]
	s_cbranch_execz .LBB47_6055
; %bb.6054:
	s_waitcnt vmcnt(0) lgkmcnt(0)
	v_trunc_f32_e32 v1, v64
	s_mov_b32 s56, 0x2f800000
	v_mul_f32_e64 v4, |v1|, s56
	v_floor_f32_e32 v4, v4
	s_mov_b32 s56, 0xcf800000
	v_cvt_u32_f32_e32 v5, v4
	v_fma_f32 v4, v4, s56, |v1|
	v_cvt_u32_f32_e32 v4, v4
	v_ashrrev_i32_e32 v1, 31, v1
	v_xor_b32_e32 v5, v5, v1
                                        ; implicit-def: $vgpr64
	v_xor_b32_e32 v4, v4, v1
	v_sub_co_u32_e32 v4, vcc, v4, v1
	v_subb_co_u32_e32 v5, vcc, v5, v1, vcc
	flat_store_dwordx2 v[2:3], v[4:5]
                                        ; implicit-def: $vgpr2_vgpr3
.LBB47_6055:
	s_andn2_saveexec_b64 vcc, s[54:55]
	s_cbranch_execz .LBB47_6057
; %bb.6056:
	s_waitcnt vmcnt(0) lgkmcnt(0)
	v_cvt_i32_f32_e32 v1, v64
	flat_store_dword v[2:3], v1
.LBB47_6057:
	s_or_b64 exec, exec, vcc
                                        ; implicit-def: $vgpr64
                                        ; implicit-def: $vgpr2_vgpr3
.LBB47_6058:
	s_andn2_saveexec_b64 vcc, s[52:53]
	s_cbranch_execz .LBB47_6060
; %bb.6059:
	s_waitcnt vmcnt(0) lgkmcnt(0)
	v_cvt_i32_f32_e32 v1, v64
	flat_store_short v[2:3], v1
.LBB47_6060:
	s_or_b64 exec, exec, vcc
                                        ; implicit-def: $vgpr64
                                        ; implicit-def: $vgpr2_vgpr3
.LBB47_6061:
	s_andn2_saveexec_b64 vcc, s[50:51]
	s_cbranch_execz .LBB47_6067
; %bb.6062:
	v_mov_b32_e32 v1, 0
	v_cmp_gt_i16_sdwa s[50:51], v11, v1 src0_sel:BYTE_0 src1_sel:DWORD
	s_and_saveexec_b64 s[52:53], s[50:51]
	s_xor_b64 s[50:51], exec, s[52:53]
	s_cbranch_execz .LBB47_6064
; %bb.6063:
	s_waitcnt vmcnt(0) lgkmcnt(0)
	v_cvt_i32_f32_e32 v1, v64
                                        ; implicit-def: $vgpr64
	flat_store_byte v[2:3], v1
                                        ; implicit-def: $vgpr2_vgpr3
.LBB47_6064:
	s_andn2_saveexec_b64 s[50:51], s[50:51]
	s_cbranch_execz .LBB47_6066
; %bb.6065:
	s_waitcnt vmcnt(0) lgkmcnt(0)
	v_trunc_f32_e32 v1, v64
	s_mov_b32 s52, 0x2f800000
	v_mul_f32_e64 v4, |v1|, s52
	v_floor_f32_e32 v4, v4
	s_mov_b32 s52, 0xcf800000
	v_fma_f32 v4, v4, s52, |v1|
	v_cvt_u32_f32_e32 v4, v4
	v_ashrrev_i32_e32 v1, 31, v1
	v_xor_b32_e32 v4, v4, v1
	v_sub_u32_e32 v1, v4, v1
	flat_store_byte v[2:3], v1
.LBB47_6066:
	s_or_b64 exec, exec, s[50:51]
.LBB47_6067:
	s_or_b64 exec, exec, vcc
.LBB47_6068:
	s_or_b64 exec, exec, s[44:45]
	v_readlane_b32 vcc_lo, v44, 62
	s_or_b64 s[48:49], s[48:49], exec
	v_readlane_b32 vcc_hi, v44, 63
	s_or_b64 exec, exec, s[42:43]
	s_mov_b64 s[42:43], 0
	s_and_saveexec_b64 s[44:45], s[48:49]
	s_cbranch_execnz .LBB47_3917
	s_branch .LBB47_3918
.LBB47_6069:
	v_bfe_u32 v1, v84, 21, 1
	s_mov_b32 s46, 0x88fffff
	v_add3_u32 v1, v84, v1, s46
	s_mov_b64 s[44:45], exec
	v_lshrrev_b32_e32 v1, 21, v1
	s_or_saveexec_b64 s[46:47], vcc
                                        ; implicit-def: $sgpr48
	s_xor_b64 exec, exec, s[46:47]
	s_cbranch_execz .LBB47_5240
.LBB47_6070:
	s_mov_b32 s48, 0x42800000
	v_add_f32_e64 v1, |v84|, s48
	v_and_b32_e32 v1, 0xff, v1
	v_cmp_ne_u32_e32 vcc, 0, v1
	s_andn2_b64 s[44:45], s[44:45], exec
	s_and_b64 vcc, vcc, exec
	s_mov_b32 s48, 0
	s_or_b64 s[44:45], s[44:45], vcc
	s_or_b64 exec, exec, s[46:47]
	v_mov_b32_e32 v4, s48
	s_and_saveexec_b64 vcc, s[44:45]
	s_cbranch_execnz .LBB47_5241
	s_branch .LBB47_5242
.LBB47_6071:
	v_bfe_u32 v1, v82, 20, 1
	s_mov_b32 s48, 0x487ffff
	v_add3_u32 v1, v82, v1, s48
	s_mov_b64 s[46:47], exec
	v_lshrrev_b32_e32 v1, 20, v1
	s_or_saveexec_b64 s[48:49], vcc
                                        ; implicit-def: $sgpr50
	s_xor_b64 exec, exec, s[48:49]
	s_cbranch_execz .LBB47_5351
.LBB47_6072:
	s_mov_b32 s50, 0x46000000
	v_add_f32_e64 v1, |v82|, s50
	v_and_b32_e32 v1, 0xff, v1
	v_cmp_ne_u32_e32 vcc, 0, v1
	s_andn2_b64 s[46:47], s[46:47], exec
	s_and_b64 vcc, vcc, exec
	s_mov_b32 s50, 0
	s_or_b64 s[46:47], s[46:47], vcc
	s_or_b64 exec, exec, s[48:49]
	v_mov_b32_e32 v4, s50
	s_and_saveexec_b64 vcc, s[46:47]
	s_cbranch_execnz .LBB47_5352
	s_branch .LBB47_5353
.LBB47_6073:
	v_mov_b32_e32 v1, 25
	v_cmp_gt_i16_sdwa s[48:49], v11, v1 src0_sel:BYTE_0 src1_sel:DWORD
	s_mov_b64 s[46:47], vcc
	s_and_saveexec_b64 vcc, s[48:49]
	s_xor_b64 s[48:49], exec, vcc
	s_cbranch_execz .LBB47_6109
; %bb.6074:
	v_mov_b32_e32 v1, 28
	v_readlane_b32 s50, v43, 2
	v_cmp_gt_i16_sdwa vcc, v11, v1 src0_sel:BYTE_0 src1_sel:DWORD
	v_readlane_b32 s51, v43, 3
	s_and_saveexec_b64 s[46:47], vcc
	s_xor_b64 s[46:47], exec, s[46:47]
	s_cbranch_execz .LBB47_6092
; %bb.6075:
	v_mov_b32_e32 v1, 43
	v_readlane_b32 vcc_lo, v43, 2
	v_cmp_gt_i16_sdwa s[50:51], v11, v1 src0_sel:BYTE_0 src1_sel:DWORD
	v_readlane_b32 vcc_hi, v43, 3
	s_and_saveexec_b64 s[52:53], s[50:51]
	s_xor_b64 s[50:51], exec, s[52:53]
	s_cbranch_execz .LBB47_6087
; %bb.6076:
	v_mov_b32_e32 v1, 45
	v_readlane_b32 s54, v43, 2
	v_cmp_gt_i16_sdwa s[4:5], v11, v1 src0_sel:BYTE_0 src1_sel:DWORD
	s_mov_b64 s[52:53], 0
	v_readlane_b32 s55, v43, 3
	s_and_saveexec_b64 vcc, s[4:5]
	s_xor_b64 s[4:5], exec, vcc
	s_cbranch_execz .LBB47_6080
; %bb.6077:
	v_mov_b32_e32 v1, 46
	v_cmp_eq_u16_sdwa s[56:57], v11, v1 src0_sel:BYTE_0 src1_sel:DWORD
	s_mov_b64 vcc, -1
	s_and_saveexec_b64 s[54:55], s[56:57]
	s_cbranch_execz .LBB47_6079
; %bb.6078:
	s_waitcnt vmcnt(0) lgkmcnt(0)
	v_bfe_u32 v1, v54, 16, 1
	s_movk_i32 vcc_lo, 0x7fff
	v_add3_u32 v1, v54, v1, vcc_lo
	v_lshrrev_b32_e32 v1, 16, v1
	v_mov_b32_e32 v4, 0x7fc0
	v_cmp_o_f32_e32 vcc, v54, v54
	v_cndmask_b32_e32 v1, v4, v1, vcc
	s_mov_b64 s[52:53], exec
	flat_store_dword v[2:3], v1
	s_xor_b64 vcc, exec, -1
.LBB47_6079:
	s_or_b64 exec, exec, s[54:55]
	v_readlane_b32 s54, v43, 2
	v_readlane_b32 s55, v43, 3
	s_andn2_b64 s[54:55], s[54:55], exec
	s_and_b64 vcc, vcc, exec
	s_or_b64 s[54:55], s[54:55], vcc
	s_and_b64 s[52:53], s[52:53], exec
                                        ; implicit-def: $vgpr2_vgpr3
                                        ; implicit-def: $vgpr54
.LBB47_6080:
	s_andn2_saveexec_b64 s[56:57], s[4:5]
	s_cbranch_execz .LBB47_6086
; %bb.6081:
	v_mov_b32_e32 v1, 44
	v_cmp_eq_u16_sdwa s[60:61], v11, v1 src0_sel:BYTE_0 src1_sel:DWORD
	s_mov_b64 vcc, -1
	s_mov_b64 s[4:5], s[52:53]
	s_and_saveexec_b64 s[58:59], s[60:61]
	s_cbranch_execz .LBB47_6085
; %bb.6082:
	s_waitcnt vmcnt(0) lgkmcnt(0)
	v_bfe_u32 v1, v54, 23, 8
	s_movk_i32 s4, 0xff
	v_cmp_ne_u32_e32 vcc, s4, v1
	v_mov_b32_e32 v4, 0xff
	s_and_saveexec_b64 s[60:61], vcc
; %bb.6083:
	s_mov_b32 s4, 0x3fffff
	v_and_b32_e32 v5, 0x400000, v54
	v_and_or_b32 v1, v54, s4, v1
	v_cmp_ne_u32_e32 vcc, 0, v5
	v_cmp_ne_u32_e64 s[4:5], 0, v1
	s_and_b64 s[4:5], vcc, s[4:5]
	v_lshrrev_b32_e32 v4, 23, v54
	v_cndmask_b32_e64 v1, 0, 1, s[4:5]
	v_add_u32_e32 v4, v4, v1
; %bb.6084:
	s_or_b64 exec, exec, s[60:61]
	s_xor_b64 vcc, exec, -1
	s_or_b64 s[4:5], s[52:53], exec
	flat_store_byte v[2:3], v4
.LBB47_6085:
	s_or_b64 exec, exec, s[58:59]
	s_andn2_b64 s[54:55], s[54:55], exec
	s_and_b64 vcc, vcc, exec
	s_or_b64 s[54:55], s[54:55], vcc
	s_andn2_b64 vcc, s[52:53], exec
	s_and_b64 s[4:5], s[4:5], exec
	s_or_b64 s[52:53], vcc, s[4:5]
.LBB47_6086:
	s_or_b64 exec, exec, s[56:57]
	v_readlane_b32 s4, v43, 2
	v_readlane_b32 s5, v43, 3
	s_andn2_b64 s[4:5], s[4:5], exec
	s_and_b64 vcc, s[54:55], exec
	s_or_b64 vcc, s[4:5], vcc
	s_and_b64 s[4:5], s[52:53], exec
                                        ; implicit-def: $vgpr54
                                        ; implicit-def: $vgpr2_vgpr3
.LBB47_6087:
	s_andn2_saveexec_b64 s[50:51], s[50:51]
	s_cbranch_execz .LBB47_6091
; %bb.6088:
	v_mov_b32_e32 v1, 29
	v_cmp_eq_u16_sdwa s[58:59], v11, v1 src0_sel:BYTE_0 src1_sel:DWORD
	s_mov_b64 s[56:57], -1
	s_mov_b64 s[54:55], s[4:5]
	s_and_saveexec_b64 s[52:53], s[58:59]
	s_cbranch_execz .LBB47_6090
; %bb.6089:
	s_waitcnt vmcnt(0) lgkmcnt(0)
	v_trunc_f32_e32 v1, v54
	v_mul_f32_e32 v4, 0x2f800000, v1
	v_floor_f32_e32 v4, v4
	v_fmac_f32_e32 v1, 0xcf800000, v4
	v_cvt_u32_f32_e32 v5, v4
	v_cvt_u32_f32_e32 v4, v1
	s_xor_b64 s[56:57], exec, -1
	s_or_b64 s[54:55], s[4:5], exec
	flat_store_dwordx2 v[2:3], v[4:5]
.LBB47_6090:
	s_or_b64 exec, exec, s[52:53]
	s_andn2_b64 vcc, vcc, exec
	s_and_b64 s[52:53], s[56:57], exec
	s_or_b64 vcc, vcc, s[52:53]
	s_andn2_b64 s[4:5], s[4:5], exec
	s_and_b64 s[52:53], s[54:55], exec
	s_or_b64 s[4:5], s[4:5], s[52:53]
.LBB47_6091:
	s_or_b64 exec, exec, s[50:51]
	v_readlane_b32 s50, v43, 2
	v_readlane_b32 s51, v43, 3
	s_andn2_b64 s[50:51], s[50:51], exec
	s_and_b64 vcc, vcc, exec
	s_or_b64 s[50:51], s[50:51], vcc
	s_and_b64 s[4:5], s[4:5], exec
                                        ; implicit-def: $vgpr2_vgpr3
                                        ; implicit-def: $vgpr54
.LBB47_6092:
	s_andn2_saveexec_b64 s[46:47], s[46:47]
	s_cbranch_execz .LBB47_6108
; %bb.6093:
	v_mov_b32_e32 v1, 26
	v_cmp_gt_i16_sdwa vcc, v11, v1 src0_sel:BYTE_0 src1_sel:DWORD
	s_and_saveexec_b64 s[52:53], vcc
	s_xor_b64 vcc, exec, s[52:53]
	s_cbranch_execz .LBB47_6099
; %bb.6094:
	s_waitcnt vmcnt(0) lgkmcnt(0)
	v_cvt_u32_f32_e32 v1, v54
	v_mov_b32_e32 v4, 27
	v_cmp_gt_i16_sdwa s[52:53], v11, v4 src0_sel:BYTE_0 src1_sel:DWORD
	s_and_saveexec_b64 s[54:55], s[52:53]
	s_xor_b64 s[52:53], exec, s[54:55]
	s_cbranch_execz .LBB47_6096
; %bb.6095:
	flat_store_dword v[2:3], v1
                                        ; implicit-def: $vgpr2_vgpr3
                                        ; implicit-def: $vgpr1
.LBB47_6096:
	s_andn2_saveexec_b64 s[52:53], s[52:53]
	s_cbranch_execz .LBB47_6098
; %bb.6097:
	flat_store_short v[2:3], v1
.LBB47_6098:
	s_or_b64 exec, exec, s[52:53]
                                        ; implicit-def: $vgpr2_vgpr3
                                        ; implicit-def: $vgpr54
.LBB47_6099:
	s_andn2_saveexec_b64 s[52:53], vcc
	s_cbranch_execz .LBB47_6107
; %bb.6100:
	s_waitcnt vmcnt(0) lgkmcnt(0)
	v_and_b32_e32 v1, 0x7fffffff, v54
	s_mov_b32 vcc_lo, 0x43800000
	v_cmp_gt_u32_e32 vcc, vcc_lo, v1
	v_mov_b32_e32 v4, 0x80
	s_and_saveexec_b64 s[54:55], vcc
	s_cbranch_execz .LBB47_6106
; %bb.6101:
	s_mov_b32 vcc_lo, 0x3bffffff
	v_cmp_lt_u32_e32 vcc, vcc_lo, v1
	s_mov_b64 s[56:57], 0
                                        ; implicit-def: $vgpr1
	s_and_saveexec_b64 s[58:59], vcc
	s_xor_b64 vcc, exec, s[58:59]
	s_cbranch_execnz .LBB47_6827
; %bb.6102:
	s_or_saveexec_b64 s[58:59], vcc
                                        ; implicit-def: $sgpr60
	s_xor_b64 exec, exec, s[58:59]
	s_cbranch_execnz .LBB47_6828
.LBB47_6103:
	s_or_b64 exec, exec, s[58:59]
	v_mov_b32_e32 v4, s60
	s_and_saveexec_b64 vcc, s[56:57]
.LBB47_6104:
	v_lshrrev_b32_e32 v4, 24, v54
	s_movk_i32 s56, 0x80
	v_and_or_b32 v4, v4, s56, v1
.LBB47_6105:
	s_or_b64 exec, exec, vcc
.LBB47_6106:
	s_or_b64 exec, exec, s[54:55]
	flat_store_byte v[2:3], v4
.LBB47_6107:
	s_or_b64 exec, exec, s[52:53]
	s_or_b64 s[4:5], s[4:5], exec
.LBB47_6108:
	s_or_b64 exec, exec, s[46:47]
	v_readlane_b32 vcc_lo, v43, 2
	v_readlane_b32 vcc_hi, v43, 3
	s_andn2_b64 vcc, vcc, exec
	s_and_b64 s[46:47], s[50:51], exec
	s_or_b64 s[46:47], vcc, s[46:47]
	s_and_b64 s[4:5], s[4:5], exec
                                        ; implicit-def: $vgpr54
                                        ; implicit-def: $vgpr2_vgpr3
.LBB47_6109:
	s_andn2_saveexec_b64 s[48:49], s[48:49]
	s_cbranch_execz .LBB47_6153
; %bb.6110:
	v_mov_b32_e32 v1, 22
	v_cmp_gt_i16_sdwa vcc, v11, v1 src0_sel:BYTE_0 src1_sel:DWORD
	s_mov_b64 s[52:53], s[4:5]
	s_and_saveexec_b64 s[50:51], vcc
	s_xor_b64 s[50:51], exec, s[50:51]
	s_cbranch_execz .LBB47_6142
; %bb.6111:
	v_mov_b32_e32 v1, 23
	v_cmp_gt_i16_sdwa vcc, v11, v1 src0_sel:BYTE_0 src1_sel:DWORD
	s_and_saveexec_b64 s[52:53], vcc
	s_xor_b64 s[52:53], exec, s[52:53]
	s_cbranch_execz .LBB47_6131
; %bb.6112:
	v_mov_b32_e32 v1, 24
	v_cmp_gt_i16_sdwa vcc, v11, v1 src0_sel:BYTE_0 src1_sel:DWORD
	s_and_saveexec_b64 s[54:55], vcc
	s_xor_b64 s[54:55], exec, s[54:55]
	s_cbranch_execz .LBB47_6120
; %bb.6113:
	s_waitcnt vmcnt(0) lgkmcnt(0)
	v_and_b32_e32 v1, 0x7fffffff, v54
	s_mov_b32 vcc_lo, 0x47800000
	v_cmp_gt_u32_e32 vcc, vcc_lo, v1
	v_mov_b32_e32 v4, 0x80
	s_and_saveexec_b64 s[56:57], vcc
	s_cbranch_execz .LBB47_6119
; %bb.6114:
	s_mov_b32 vcc_lo, 0x37ffffff
	v_cmp_lt_u32_e32 vcc, vcc_lo, v1
	s_mov_b64 s[58:59], 0
                                        ; implicit-def: $vgpr1
	s_and_saveexec_b64 s[60:61], vcc
	s_xor_b64 vcc, exec, s[60:61]
	s_cbranch_execnz .LBB47_6951
; %bb.6115:
	s_or_saveexec_b64 s[60:61], vcc
                                        ; implicit-def: $sgpr62
	s_xor_b64 exec, exec, s[60:61]
	s_cbranch_execnz .LBB47_6952
.LBB47_6116:
	s_or_b64 exec, exec, s[60:61]
	v_mov_b32_e32 v4, s62
	s_and_saveexec_b64 vcc, s[58:59]
.LBB47_6117:
	v_lshrrev_b32_e32 v4, 24, v54
	s_movk_i32 s58, 0x80
	v_and_or_b32 v4, v4, s58, v1
.LBB47_6118:
	s_or_b64 exec, exec, vcc
.LBB47_6119:
	s_or_b64 exec, exec, s[56:57]
	flat_store_byte v[2:3], v4
                                        ; implicit-def: $vgpr54
                                        ; implicit-def: $vgpr2_vgpr3
.LBB47_6120:
	s_andn2_saveexec_b64 s[54:55], s[54:55]
	s_cbranch_execz .LBB47_6130
; %bb.6121:
	s_waitcnt vmcnt(0) lgkmcnt(0)
	v_and_b32_e32 v4, 0x7fffffff, v54
	s_mov_b32 vcc_lo, 0x43f00000
	v_cmp_gt_u32_e32 vcc, vcc_lo, v4
                                        ; implicit-def: $vgpr1
	s_and_saveexec_b64 s[56:57], vcc
	s_xor_b64 s[56:57], exec, s[56:57]
	s_cbranch_execz .LBB47_6127
; %bb.6122:
	s_mov_b32 vcc_lo, 0x3c7fffff
	v_cmp_lt_u32_e32 vcc, vcc_lo, v4
                                        ; implicit-def: $vgpr1
	s_and_saveexec_b64 s[58:59], vcc
	s_xor_b64 s[58:59], exec, s[58:59]
; %bb.6123:
	v_bfe_u32 v1, v54, 20, 1
	s_mov_b32 vcc_lo, 0x407ffff
	v_add3_u32 v1, v54, v1, vcc_lo
	v_lshrrev_b32_e32 v4, 20, v1
	v_and_b32_e32 v1, 0xff00000, v1
	s_mov_b32 vcc_lo, 0x7f00000
	v_mov_b32_e32 v5, 0x7e
	v_cmp_ne_u32_e32 vcc, vcc_lo, v1
	v_cndmask_b32_e32 v1, v5, v4, vcc
; %bb.6124:
	s_andn2_saveexec_b64 vcc, s[58:59]
; %bb.6125:
	s_mov_b32 s58, 0x46800000
	v_add_f32_e64 v1, |v54|, s58
; %bb.6126:
	s_or_b64 exec, exec, vcc
                                        ; implicit-def: $vgpr4
.LBB47_6127:
	s_andn2_saveexec_b64 s[56:57], s[56:57]
; %bb.6128:
	s_mov_b32 vcc_lo, 0x7f800000
	v_mov_b32_e32 v1, 0x7e
	v_mov_b32_e32 v5, 0x7f
	v_cmp_lt_u32_e32 vcc, vcc_lo, v4
	v_cndmask_b32_e32 v1, v1, v5, vcc
; %bb.6129:
	s_or_b64 exec, exec, s[56:57]
	v_lshrrev_b32_e32 v4, 24, v54
	s_movk_i32 vcc_lo, 0x80
	v_and_or_b32 v1, v4, vcc_lo, v1
	flat_store_byte v[2:3], v1
.LBB47_6130:
	s_or_b64 exec, exec, s[54:55]
                                        ; implicit-def: $vgpr54
                                        ; implicit-def: $vgpr2_vgpr3
.LBB47_6131:
	s_andn2_saveexec_b64 s[52:53], s[52:53]
	s_cbranch_execz .LBB47_6141
; %bb.6132:
	s_waitcnt vmcnt(0) lgkmcnt(0)
	v_and_b32_e32 v4, 0x7fffffff, v54
	s_mov_b32 vcc_lo, 0x47800000
	v_cmp_gt_u32_e32 vcc, vcc_lo, v4
                                        ; implicit-def: $vgpr1
	s_and_saveexec_b64 s[54:55], vcc
	s_xor_b64 s[54:55], exec, s[54:55]
	s_cbranch_execz .LBB47_6138
; %bb.6133:
	s_mov_b32 vcc_lo, 0x387fffff
	v_cmp_lt_u32_e32 vcc, vcc_lo, v4
                                        ; implicit-def: $vgpr1
	s_and_saveexec_b64 s[56:57], vcc
	s_xor_b64 vcc, exec, s[56:57]
; %bb.6134:
	v_bfe_u32 v1, v54, 21, 1
	s_mov_b32 s56, 0x80fffff
	v_add3_u32 v1, v54, v1, s56
	v_lshrrev_b32_e32 v1, 21, v1
; %bb.6135:
	s_andn2_saveexec_b64 vcc, vcc
; %bb.6136:
	s_mov_b32 s56, 0x43000000
	v_add_f32_e64 v1, |v54|, s56
; %bb.6137:
	s_or_b64 exec, exec, vcc
                                        ; implicit-def: $vgpr4
.LBB47_6138:
	s_andn2_saveexec_b64 s[54:55], s[54:55]
; %bb.6139:
	s_mov_b32 vcc_lo, 0x7f800000
	v_mov_b32_e32 v1, 0x7c
	v_mov_b32_e32 v5, 0x7f
	v_cmp_lt_u32_e32 vcc, vcc_lo, v4
	v_cndmask_b32_e32 v1, v1, v5, vcc
; %bb.6140:
	s_or_b64 exec, exec, s[54:55]
	v_lshrrev_b32_e32 v4, 24, v54
	s_movk_i32 vcc_lo, 0x80
	v_and_or_b32 v1, v4, vcc_lo, v1
	flat_store_byte v[2:3], v1
.LBB47_6141:
	s_or_b64 exec, exec, s[52:53]
	s_or_b64 s[52:53], s[4:5], exec
                                        ; implicit-def: $vgpr54
                                        ; implicit-def: $vgpr2_vgpr3
.LBB47_6142:
	s_or_saveexec_b64 s[50:51], s[50:51]
	s_mov_b64 vcc, s[46:47]
	s_xor_b64 exec, exec, s[50:51]
	s_cbranch_execz .LBB47_6152
; %bb.6143:
	v_mov_b32_e32 v1, 14
	v_cmp_gt_i16_sdwa vcc, v11, v1 src0_sel:BYTE_0 src1_sel:DWORD
	s_mov_b64 s[54:55], s[52:53]
	s_mov_b64 s[56:57], s[46:47]
	s_and_saveexec_b64 s[58:59], vcc
	s_xor_b64 s[58:59], exec, s[58:59]
	s_cbranch_execz .LBB47_6147
; %bb.6144:
	v_mov_b32_e32 v1, 15
	v_cmp_eq_u16_sdwa s[60:61], v11, v1 src0_sel:BYTE_0 src1_sel:DWORD
	s_mov_b64 s[56:57], -1
	s_mov_b64 vcc, s[52:53]
	s_and_saveexec_b64 s[54:55], s[60:61]
	s_cbranch_execz .LBB47_6146
; %bb.6145:
	s_waitcnt vmcnt(0) lgkmcnt(0)
	v_bfe_u32 v1, v54, 16, 1
	s_movk_i32 vcc_lo, 0x7fff
	v_add3_u32 v1, v54, v1, vcc_lo
	v_lshrrev_b32_e32 v1, 16, v1
	v_mov_b32_e32 v4, 0x7fc0
	v_cmp_o_f32_e32 vcc, v54, v54
	v_cndmask_b32_e32 v1, v4, v1, vcc
	flat_store_short v[2:3], v1
	s_xor_b64 s[56:57], exec, -1
	s_or_b64 vcc, s[52:53], exec
.LBB47_6146:
	s_or_b64 exec, exec, s[54:55]
	s_andn2_b64 s[54:55], s[46:47], exec
	s_and_b64 s[56:57], s[56:57], exec
	s_or_b64 s[56:57], s[54:55], s[56:57]
	s_andn2_b64 s[54:55], s[52:53], exec
	s_and_b64 vcc, vcc, exec
	s_or_b64 s[54:55], s[54:55], vcc
                                        ; implicit-def: $vgpr54
                                        ; implicit-def: $vgpr2_vgpr3
.LBB47_6147:
	s_andn2_saveexec_b64 s[58:59], s[58:59]
	s_cbranch_execz .LBB47_6151
; %bb.6148:
	v_mov_b32_e32 v1, 11
	v_cmp_eq_u16_sdwa s[64:65], v11, v1 src0_sel:BYTE_0 src1_sel:DWORD
	s_mov_b64 s[60:61], -1
	s_mov_b64 vcc, s[54:55]
	s_and_saveexec_b64 s[62:63], s[64:65]
	s_cbranch_execz .LBB47_6150
; %bb.6149:
	s_waitcnt vmcnt(0) lgkmcnt(0)
	v_cmp_neq_f32_e32 vcc, 0, v54
	v_cndmask_b32_e64 v1, 0, 1, vcc
	flat_store_byte v[2:3], v1
	s_xor_b64 s[60:61], exec, -1
	s_or_b64 vcc, s[54:55], exec
.LBB47_6150:
	s_or_b64 exec, exec, s[62:63]
	s_andn2_b64 s[56:57], s[56:57], exec
	s_and_b64 s[60:61], s[60:61], exec
	s_andn2_b64 s[54:55], s[54:55], exec
	s_and_b64 vcc, vcc, exec
	s_or_b64 s[56:57], s[56:57], s[60:61]
	s_or_b64 s[54:55], s[54:55], vcc
.LBB47_6151:
	s_or_b64 exec, exec, s[58:59]
	s_andn2_b64 vcc, s[46:47], exec
	s_and_b64 s[56:57], s[56:57], exec
	s_andn2_b64 s[52:53], s[52:53], exec
	s_and_b64 s[54:55], s[54:55], exec
	s_or_b64 vcc, vcc, s[56:57]
	s_or_b64 s[52:53], s[52:53], s[54:55]
.LBB47_6152:
	s_or_b64 exec, exec, s[50:51]
	s_andn2_b64 s[46:47], s[46:47], exec
	s_and_b64 vcc, vcc, exec
	s_or_b64 s[46:47], s[46:47], vcc
	s_andn2_b64 s[4:5], s[4:5], exec
	s_and_b64 vcc, s[52:53], exec
	s_or_b64 s[4:5], s[4:5], vcc
.LBB47_6153:
	s_or_b64 exec, exec, s[48:49]
	v_readlane_b32 vcc_lo, v43, 2
	v_readlane_b32 vcc_hi, v43, 3
	s_andn2_b64 vcc, vcc, exec
	s_and_b64 s[46:47], s[46:47], exec
	s_or_b64 s[46:47], vcc, s[46:47]
	s_and_b64 s[4:5], s[4:5], exec
                                        ; implicit-def: $vgpr54
                                        ; implicit-def: $vgpr2_vgpr3
	s_andn2_saveexec_b64 s[40:41], s[40:41]
	s_cbranch_execz .LBB47_3923
.LBB47_6154:
	v_mov_b32_e32 v1, 4
	v_cmp_gt_i16_sdwa vcc, v11, v1 src0_sel:BYTE_0 src1_sel:DWORD
	s_and_saveexec_b64 s[48:49], vcc
	s_xor_b64 vcc, exec, s[48:49]
	s_cbranch_execz .LBB47_6176
; %bb.6155:
	v_mov_b32_e32 v1, 7
	v_cmp_gt_i16_sdwa s[48:49], v11, v1 src0_sel:BYTE_0 src1_sel:DWORD
	s_and_saveexec_b64 s[50:51], s[48:49]
	s_xor_b64 s[48:49], exec, s[50:51]
	s_cbranch_execz .LBB47_6165
; %bb.6156:
	v_mov_b32_e32 v1, 8
	v_cmp_gt_i16_sdwa s[50:51], v11, v1 src0_sel:BYTE_0 src1_sel:DWORD
	s_and_saveexec_b64 s[52:53], s[50:51]
	s_xor_b64 s[50:51], exec, s[52:53]
	;; [unrolled: 6-line block ×3, first 2 shown]
	s_cbranch_execz .LBB47_6159
; %bb.6158:
	v_mov_b32_e32 v66, 0
	s_waitcnt vmcnt(0) lgkmcnt(0)
	v_cvt_f64_f32_e32 v[64:65], v54
	v_mov_b32_e32 v67, v66
	flat_store_dwordx4 v[2:3], v[64:67]
                                        ; implicit-def: $vgpr54
                                        ; implicit-def: $vgpr2_vgpr3
.LBB47_6159:
	s_andn2_saveexec_b64 s[52:53], s[52:53]
	s_cbranch_execz .LBB47_6161
; %bb.6160:
	s_waitcnt vmcnt(0) lgkmcnt(0)
	v_mov_b32_e32 v55, 0
	flat_store_dwordx2 v[2:3], v[54:55]
.LBB47_6161:
	s_or_b64 exec, exec, s[52:53]
                                        ; implicit-def: $vgpr54
                                        ; implicit-def: $vgpr2_vgpr3
.LBB47_6162:
	s_andn2_saveexec_b64 s[50:51], s[50:51]
	s_cbranch_execz .LBB47_6164
; %bb.6163:
	s_waitcnt vmcnt(0) lgkmcnt(0)
	v_cvt_f16_f32_e32 v1, v54
	flat_store_dword v[2:3], v1
.LBB47_6164:
	s_or_b64 exec, exec, s[50:51]
                                        ; implicit-def: $vgpr54
                                        ; implicit-def: $vgpr2_vgpr3
.LBB47_6165:
	s_andn2_saveexec_b64 s[48:49], s[48:49]
	s_cbranch_execz .LBB47_6175
; %bb.6166:
	v_mov_b32_e32 v1, 5
	v_cmp_gt_i16_sdwa s[50:51], v11, v1 src0_sel:BYTE_0 src1_sel:DWORD
	s_and_saveexec_b64 s[52:53], s[50:51]
	s_xor_b64 s[50:51], exec, s[52:53]
	s_cbranch_execz .LBB47_6172
; %bb.6167:
	v_mov_b32_e32 v1, 6
	v_cmp_gt_i16_sdwa s[52:53], v11, v1 src0_sel:BYTE_0 src1_sel:DWORD
	s_and_saveexec_b64 s[54:55], s[52:53]
	s_xor_b64 s[52:53], exec, s[54:55]
	s_cbranch_execz .LBB47_6169
; %bb.6168:
	s_waitcnt vmcnt(0) lgkmcnt(0)
	v_cvt_f64_f32_e32 v[4:5], v54
	flat_store_dwordx2 v[2:3], v[4:5]
                                        ; implicit-def: $vgpr2_vgpr3
                                        ; implicit-def: $vgpr54
.LBB47_6169:
	s_andn2_saveexec_b64 s[52:53], s[52:53]
	s_cbranch_execz .LBB47_6171
; %bb.6170:
	s_waitcnt vmcnt(0) lgkmcnt(0)
	flat_store_dword v[2:3], v54
.LBB47_6171:
	s_or_b64 exec, exec, s[52:53]
                                        ; implicit-def: $vgpr54
                                        ; implicit-def: $vgpr2_vgpr3
.LBB47_6172:
	s_andn2_saveexec_b64 s[50:51], s[50:51]
	s_cbranch_execz .LBB47_6174
; %bb.6173:
	s_waitcnt vmcnt(0) lgkmcnt(0)
	v_cvt_f16_f32_e32 v1, v54
	flat_store_short v[2:3], v1
.LBB47_6174:
	s_or_b64 exec, exec, s[50:51]
.LBB47_6175:
	s_or_b64 exec, exec, s[48:49]
                                        ; implicit-def: $vgpr54
                                        ; implicit-def: $vgpr2_vgpr3
.LBB47_6176:
	s_andn2_saveexec_b64 s[48:49], vcc
	s_cbranch_execz .LBB47_6194
; %bb.6177:
	v_mov_b32_e32 v1, 1
	v_cmp_gt_i16_sdwa vcc, v11, v1 src0_sel:BYTE_0 src1_sel:DWORD
	s_and_saveexec_b64 s[50:51], vcc
	s_xor_b64 s[50:51], exec, s[50:51]
	s_cbranch_execz .LBB47_6187
; %bb.6178:
	v_mov_b32_e32 v1, 2
	v_cmp_gt_i16_sdwa vcc, v11, v1 src0_sel:BYTE_0 src1_sel:DWORD
	s_and_saveexec_b64 s[52:53], vcc
	s_xor_b64 s[52:53], exec, s[52:53]
	;; [unrolled: 6-line block ×3, first 2 shown]
	s_cbranch_execz .LBB47_6181
; %bb.6180:
	s_waitcnt vmcnt(0) lgkmcnt(0)
	v_trunc_f32_e32 v1, v54
	s_mov_b32 s56, 0x2f800000
	v_mul_f32_e64 v4, |v1|, s56
	v_floor_f32_e32 v4, v4
	s_mov_b32 s56, 0xcf800000
	v_cvt_u32_f32_e32 v5, v4
	v_fma_f32 v4, v4, s56, |v1|
	v_cvt_u32_f32_e32 v4, v4
	v_ashrrev_i32_e32 v1, 31, v1
	v_xor_b32_e32 v5, v5, v1
                                        ; implicit-def: $vgpr54
	v_xor_b32_e32 v4, v4, v1
	v_sub_co_u32_e32 v4, vcc, v4, v1
	v_subb_co_u32_e32 v5, vcc, v5, v1, vcc
	flat_store_dwordx2 v[2:3], v[4:5]
                                        ; implicit-def: $vgpr2_vgpr3
.LBB47_6181:
	s_andn2_saveexec_b64 vcc, s[54:55]
	s_cbranch_execz .LBB47_6183
; %bb.6182:
	s_waitcnt vmcnt(0) lgkmcnt(0)
	v_cvt_i32_f32_e32 v1, v54
	flat_store_dword v[2:3], v1
.LBB47_6183:
	s_or_b64 exec, exec, vcc
                                        ; implicit-def: $vgpr54
                                        ; implicit-def: $vgpr2_vgpr3
.LBB47_6184:
	s_andn2_saveexec_b64 vcc, s[52:53]
	s_cbranch_execz .LBB47_6186
; %bb.6185:
	s_waitcnt vmcnt(0) lgkmcnt(0)
	v_cvt_i32_f32_e32 v1, v54
	flat_store_short v[2:3], v1
.LBB47_6186:
	s_or_b64 exec, exec, vcc
                                        ; implicit-def: $vgpr54
                                        ; implicit-def: $vgpr2_vgpr3
.LBB47_6187:
	s_andn2_saveexec_b64 vcc, s[50:51]
	s_cbranch_execz .LBB47_6193
; %bb.6188:
	v_mov_b32_e32 v1, 0
	v_cmp_gt_i16_sdwa s[50:51], v11, v1 src0_sel:BYTE_0 src1_sel:DWORD
	s_and_saveexec_b64 s[52:53], s[50:51]
	s_xor_b64 s[50:51], exec, s[52:53]
	s_cbranch_execz .LBB47_6190
; %bb.6189:
	s_waitcnt vmcnt(0) lgkmcnt(0)
	v_cvt_i32_f32_e32 v1, v54
                                        ; implicit-def: $vgpr54
	flat_store_byte v[2:3], v1
                                        ; implicit-def: $vgpr2_vgpr3
.LBB47_6190:
	s_andn2_saveexec_b64 s[50:51], s[50:51]
	s_cbranch_execz .LBB47_6192
; %bb.6191:
	s_waitcnt vmcnt(0) lgkmcnt(0)
	v_trunc_f32_e32 v1, v54
	s_mov_b32 s52, 0x2f800000
	v_mul_f32_e64 v4, |v1|, s52
	v_floor_f32_e32 v4, v4
	s_mov_b32 s52, 0xcf800000
	v_fma_f32 v4, v4, s52, |v1|
	v_cvt_u32_f32_e32 v4, v4
	v_ashrrev_i32_e32 v1, 31, v1
	v_xor_b32_e32 v4, v4, v1
	v_sub_u32_e32 v1, v4, v1
	flat_store_byte v[2:3], v1
.LBB47_6192:
	s_or_b64 exec, exec, s[50:51]
.LBB47_6193:
	s_or_b64 exec, exec, vcc
.LBB47_6194:
	s_or_b64 exec, exec, s[48:49]
	s_or_b64 s[4:5], s[4:5], exec
	s_or_b64 exec, exec, s[40:41]
	s_mov_b64 vcc, 0
	s_and_saveexec_b64 s[40:41], s[4:5]
	s_cbranch_execnz .LBB47_3924
	s_branch .LBB47_3925
.LBB47_6195:
	v_bfe_u32 v1, v82, 21, 1
	s_mov_b32 s50, 0x88fffff
	v_add3_u32 v1, v82, v1, s50
	s_mov_b64 s[48:49], exec
	v_lshrrev_b32_e32 v1, 21, v1
	s_or_saveexec_b64 s[50:51], vcc
                                        ; implicit-def: $sgpr52
	s_xor_b64 exec, exec, s[50:51]
	s_cbranch_execz .LBB47_5364
.LBB47_6196:
	s_mov_b32 s52, 0x42800000
	v_add_f32_e64 v1, |v82|, s52
	v_and_b32_e32 v1, 0xff, v1
	v_cmp_ne_u32_e32 vcc, 0, v1
	s_andn2_b64 s[48:49], s[48:49], exec
	s_and_b64 vcc, vcc, exec
	s_mov_b32 s52, 0
	s_or_b64 s[48:49], s[48:49], vcc
	s_or_b64 exec, exec, s[50:51]
	v_mov_b32_e32 v4, s52
	s_and_saveexec_b64 vcc, s[48:49]
	s_cbranch_execnz .LBB47_5365
	s_branch .LBB47_5366
.LBB47_6197:
	v_bfe_u32 v1, v80, 20, 1
	s_mov_b32 s52, 0x487ffff
	v_add3_u32 v1, v80, v1, s52
	s_mov_b64 s[50:51], exec
	v_lshrrev_b32_e32 v1, 20, v1
	s_or_saveexec_b64 s[52:53], vcc
                                        ; implicit-def: $sgpr54
	s_xor_b64 exec, exec, s[52:53]
	s_cbranch_execz .LBB47_5475
.LBB47_6198:
	s_mov_b32 s54, 0x46000000
	v_add_f32_e64 v1, |v80|, s54
	v_and_b32_e32 v1, 0xff, v1
	v_cmp_ne_u32_e32 vcc, 0, v1
	s_andn2_b64 s[50:51], s[50:51], exec
	s_and_b64 vcc, vcc, exec
	s_mov_b32 s54, 0
	s_or_b64 s[50:51], s[50:51], vcc
	s_or_b64 exec, exec, s[52:53]
	v_mov_b32_e32 v4, s54
	s_and_saveexec_b64 vcc, s[50:51]
	s_cbranch_execnz .LBB47_5476
	s_branch .LBB47_5477
.LBB47_6199:
	v_mov_b32_e32 v1, 25
	v_cmp_gt_i16_sdwa vcc, v11, v1 src0_sel:BYTE_0 src1_sel:DWORD
	s_mov_b64 s[46:47], s[40:41]
	s_and_saveexec_b64 s[48:49], vcc
	s_xor_b64 s[48:49], exec, s[48:49]
	s_cbranch_execz .LBB47_6235
; %bb.6200:
	v_mov_b32_e32 v1, 28
	v_cmp_gt_i16_sdwa vcc, v11, v1 src0_sel:BYTE_0 src1_sel:DWORD
	s_mov_b64 s[50:51], s[40:41]
	s_and_saveexec_b64 s[46:47], vcc
	s_xor_b64 s[46:47], exec, s[46:47]
	s_cbranch_execz .LBB47_6218
; %bb.6201:
	v_mov_b32_e32 v1, 43
	v_cmp_gt_i16_sdwa s[50:51], v11, v1 src0_sel:BYTE_0 src1_sel:DWORD
	s_mov_b64 vcc, s[40:41]
	s_and_saveexec_b64 s[52:53], s[50:51]
	s_xor_b64 s[50:51], exec, s[52:53]
	s_cbranch_execz .LBB47_6213
; %bb.6202:
	v_mov_b32_e32 v1, 45
	v_cmp_gt_i16_sdwa s[4:5], v11, v1 src0_sel:BYTE_0 src1_sel:DWORD
	s_mov_b64 s[52:53], 0
	s_mov_b64 s[54:55], s[40:41]
	s_and_saveexec_b64 vcc, s[4:5]
	s_xor_b64 s[4:5], exec, vcc
	s_cbranch_execz .LBB47_6206
; %bb.6203:
	v_mov_b32_e32 v1, 46
	v_cmp_eq_u16_sdwa s[56:57], v11, v1 src0_sel:BYTE_0 src1_sel:DWORD
	s_mov_b64 vcc, -1
	s_and_saveexec_b64 s[54:55], s[56:57]
	s_cbranch_execz .LBB47_6205
; %bb.6204:
	v_bfe_u32 v1, v52, 16, 1
	s_movk_i32 vcc_lo, 0x7fff
	v_add3_u32 v1, v52, v1, vcc_lo
	v_lshrrev_b32_e32 v1, 16, v1
	v_mov_b32_e32 v4, 0x7fc0
	v_cmp_o_f32_e32 vcc, v52, v52
	v_cndmask_b32_e32 v1, v4, v1, vcc
	s_mov_b64 s[52:53], exec
	flat_store_dword v[2:3], v1
	s_xor_b64 vcc, exec, -1
.LBB47_6205:
	s_or_b64 exec, exec, s[54:55]
	s_andn2_b64 s[54:55], s[40:41], exec
	s_and_b64 vcc, vcc, exec
	s_or_b64 s[54:55], s[54:55], vcc
	s_and_b64 s[52:53], s[52:53], exec
                                        ; implicit-def: $vgpr2_vgpr3
                                        ; implicit-def: $vgpr52
.LBB47_6206:
	s_andn2_saveexec_b64 s[56:57], s[4:5]
	s_cbranch_execz .LBB47_6212
; %bb.6207:
	v_mov_b32_e32 v1, 44
	v_cmp_eq_u16_sdwa s[60:61], v11, v1 src0_sel:BYTE_0 src1_sel:DWORD
	s_mov_b64 vcc, -1
	s_mov_b64 s[4:5], s[52:53]
	s_and_saveexec_b64 s[58:59], s[60:61]
	s_cbranch_execz .LBB47_6211
; %bb.6208:
	v_bfe_u32 v1, v52, 23, 8
	s_movk_i32 s4, 0xff
	v_cmp_ne_u32_e32 vcc, s4, v1
	v_mov_b32_e32 v4, 0xff
	s_and_saveexec_b64 s[60:61], vcc
; %bb.6209:
	s_mov_b32 s4, 0x3fffff
	v_and_b32_e32 v5, 0x400000, v52
	v_and_or_b32 v1, v52, s4, v1
	v_cmp_ne_u32_e32 vcc, 0, v5
	v_cmp_ne_u32_e64 s[4:5], 0, v1
	s_and_b64 s[4:5], vcc, s[4:5]
	v_lshrrev_b32_e32 v4, 23, v52
	v_cndmask_b32_e64 v1, 0, 1, s[4:5]
	v_add_u32_e32 v4, v4, v1
; %bb.6210:
	s_or_b64 exec, exec, s[60:61]
	s_xor_b64 vcc, exec, -1
	s_or_b64 s[4:5], s[52:53], exec
	flat_store_byte v[2:3], v4
.LBB47_6211:
	s_or_b64 exec, exec, s[58:59]
	s_andn2_b64 s[54:55], s[54:55], exec
	s_and_b64 vcc, vcc, exec
	s_or_b64 s[54:55], s[54:55], vcc
	s_andn2_b64 vcc, s[52:53], exec
	s_and_b64 s[4:5], s[4:5], exec
	s_or_b64 s[52:53], vcc, s[4:5]
.LBB47_6212:
	s_or_b64 exec, exec, s[56:57]
	s_andn2_b64 s[4:5], s[40:41], exec
	s_and_b64 vcc, s[54:55], exec
	s_or_b64 vcc, s[4:5], vcc
	s_and_b64 s[4:5], s[52:53], exec
                                        ; implicit-def: $vgpr52
                                        ; implicit-def: $vgpr2_vgpr3
.LBB47_6213:
	s_andn2_saveexec_b64 s[50:51], s[50:51]
	s_cbranch_execz .LBB47_6217
; %bb.6214:
	v_mov_b32_e32 v1, 29
	v_cmp_eq_u16_sdwa s[58:59], v11, v1 src0_sel:BYTE_0 src1_sel:DWORD
	s_mov_b64 s[56:57], -1
	s_mov_b64 s[54:55], s[4:5]
	s_and_saveexec_b64 s[52:53], s[58:59]
	s_cbranch_execz .LBB47_6216
; %bb.6215:
	v_trunc_f32_e32 v1, v52
	v_mul_f32_e32 v4, 0x2f800000, v1
	v_floor_f32_e32 v4, v4
	v_fmac_f32_e32 v1, 0xcf800000, v4
	v_cvt_u32_f32_e32 v5, v4
	v_cvt_u32_f32_e32 v4, v1
	s_xor_b64 s[56:57], exec, -1
	s_or_b64 s[54:55], s[4:5], exec
	flat_store_dwordx2 v[2:3], v[4:5]
.LBB47_6216:
	s_or_b64 exec, exec, s[52:53]
	s_andn2_b64 vcc, vcc, exec
	s_and_b64 s[52:53], s[56:57], exec
	s_or_b64 vcc, vcc, s[52:53]
	s_andn2_b64 s[4:5], s[4:5], exec
	s_and_b64 s[52:53], s[54:55], exec
	s_or_b64 s[4:5], s[4:5], s[52:53]
.LBB47_6217:
	s_or_b64 exec, exec, s[50:51]
	s_andn2_b64 s[50:51], s[40:41], exec
	s_and_b64 vcc, vcc, exec
	s_or_b64 s[50:51], s[50:51], vcc
	s_and_b64 s[4:5], s[4:5], exec
                                        ; implicit-def: $vgpr2_vgpr3
                                        ; implicit-def: $vgpr52
.LBB47_6218:
	s_andn2_saveexec_b64 s[46:47], s[46:47]
	s_cbranch_execz .LBB47_6234
; %bb.6219:
	v_mov_b32_e32 v1, 26
	v_cmp_gt_i16_sdwa vcc, v11, v1 src0_sel:BYTE_0 src1_sel:DWORD
	s_and_saveexec_b64 s[52:53], vcc
	s_xor_b64 vcc, exec, s[52:53]
	s_cbranch_execz .LBB47_6225
; %bb.6220:
	v_cvt_u32_f32_e32 v1, v52
	v_mov_b32_e32 v4, 27
	v_cmp_gt_i16_sdwa s[52:53], v11, v4 src0_sel:BYTE_0 src1_sel:DWORD
	s_and_saveexec_b64 s[54:55], s[52:53]
	s_xor_b64 s[52:53], exec, s[54:55]
	s_cbranch_execz .LBB47_6222
; %bb.6221:
	flat_store_dword v[2:3], v1
                                        ; implicit-def: $vgpr2_vgpr3
                                        ; implicit-def: $vgpr1
.LBB47_6222:
	s_andn2_saveexec_b64 s[52:53], s[52:53]
	s_cbranch_execz .LBB47_6224
; %bb.6223:
	flat_store_short v[2:3], v1
.LBB47_6224:
	s_or_b64 exec, exec, s[52:53]
                                        ; implicit-def: $vgpr2_vgpr3
                                        ; implicit-def: $vgpr52
.LBB47_6225:
	s_andn2_saveexec_b64 s[52:53], vcc
	s_cbranch_execz .LBB47_6233
; %bb.6226:
	v_and_b32_e32 v1, 0x7fffffff, v52
	s_mov_b32 vcc_lo, 0x43800000
	v_cmp_gt_u32_e32 vcc, vcc_lo, v1
	v_mov_b32_e32 v4, 0x80
	s_and_saveexec_b64 s[54:55], vcc
	s_cbranch_execz .LBB47_6232
; %bb.6227:
	s_mov_b32 vcc_lo, 0x3bffffff
	v_cmp_lt_u32_e32 vcc, vcc_lo, v1
	s_mov_b64 s[56:57], 0
                                        ; implicit-def: $vgpr1
	s_and_saveexec_b64 s[58:59], vcc
	s_xor_b64 vcc, exec, s[58:59]
	s_cbranch_execnz .LBB47_6953
; %bb.6228:
	s_or_saveexec_b64 s[58:59], vcc
                                        ; implicit-def: $sgpr60
	s_xor_b64 exec, exec, s[58:59]
	s_cbranch_execnz .LBB47_6954
.LBB47_6229:
	s_or_b64 exec, exec, s[58:59]
	v_mov_b32_e32 v4, s60
	s_and_saveexec_b64 vcc, s[56:57]
.LBB47_6230:
	v_lshrrev_b32_e32 v4, 24, v52
	s_movk_i32 s56, 0x80
	v_and_or_b32 v4, v4, s56, v1
.LBB47_6231:
	s_or_b64 exec, exec, vcc
.LBB47_6232:
	s_or_b64 exec, exec, s[54:55]
	flat_store_byte v[2:3], v4
.LBB47_6233:
	s_or_b64 exec, exec, s[52:53]
	s_or_b64 s[4:5], s[4:5], exec
.LBB47_6234:
	s_or_b64 exec, exec, s[46:47]
	s_andn2_b64 vcc, s[40:41], exec
	s_and_b64 s[46:47], s[50:51], exec
	s_or_b64 s[46:47], vcc, s[46:47]
	s_and_b64 s[4:5], s[4:5], exec
                                        ; implicit-def: $vgpr52
                                        ; implicit-def: $vgpr2_vgpr3
.LBB47_6235:
	s_andn2_saveexec_b64 s[48:49], s[48:49]
	s_cbranch_execz .LBB47_6279
; %bb.6236:
	v_mov_b32_e32 v1, 22
	v_cmp_gt_i16_sdwa vcc, v11, v1 src0_sel:BYTE_0 src1_sel:DWORD
	s_mov_b64 s[52:53], s[4:5]
	s_and_saveexec_b64 s[50:51], vcc
	s_xor_b64 s[50:51], exec, s[50:51]
	s_cbranch_execz .LBB47_6268
; %bb.6237:
	v_mov_b32_e32 v1, 23
	v_cmp_gt_i16_sdwa vcc, v11, v1 src0_sel:BYTE_0 src1_sel:DWORD
	s_and_saveexec_b64 s[52:53], vcc
	s_xor_b64 s[52:53], exec, s[52:53]
	s_cbranch_execz .LBB47_6257
; %bb.6238:
	v_mov_b32_e32 v1, 24
	v_cmp_gt_i16_sdwa vcc, v11, v1 src0_sel:BYTE_0 src1_sel:DWORD
	s_and_saveexec_b64 s[54:55], vcc
	s_xor_b64 s[54:55], exec, s[54:55]
	s_cbranch_execz .LBB47_6246
; %bb.6239:
	v_and_b32_e32 v1, 0x7fffffff, v52
	s_mov_b32 vcc_lo, 0x47800000
	v_cmp_gt_u32_e32 vcc, vcc_lo, v1
	v_mov_b32_e32 v4, 0x80
	s_and_saveexec_b64 s[56:57], vcc
	s_cbranch_execz .LBB47_6245
; %bb.6240:
	s_mov_b32 vcc_lo, 0x37ffffff
	v_cmp_lt_u32_e32 vcc, vcc_lo, v1
	s_mov_b64 s[58:59], 0
                                        ; implicit-def: $vgpr1
	s_and_saveexec_b64 s[60:61], vcc
	s_xor_b64 vcc, exec, s[60:61]
	s_cbranch_execnz .LBB47_7077
; %bb.6241:
	s_or_saveexec_b64 s[60:61], vcc
                                        ; implicit-def: $sgpr62
	s_xor_b64 exec, exec, s[60:61]
	s_cbranch_execnz .LBB47_7078
.LBB47_6242:
	s_or_b64 exec, exec, s[60:61]
	v_mov_b32_e32 v4, s62
	s_and_saveexec_b64 vcc, s[58:59]
.LBB47_6243:
	v_lshrrev_b32_e32 v4, 24, v52
	s_movk_i32 s58, 0x80
	v_and_or_b32 v4, v4, s58, v1
.LBB47_6244:
	s_or_b64 exec, exec, vcc
.LBB47_6245:
	s_or_b64 exec, exec, s[56:57]
	flat_store_byte v[2:3], v4
                                        ; implicit-def: $vgpr52
                                        ; implicit-def: $vgpr2_vgpr3
.LBB47_6246:
	s_andn2_saveexec_b64 s[54:55], s[54:55]
	s_cbranch_execz .LBB47_6256
; %bb.6247:
	v_and_b32_e32 v4, 0x7fffffff, v52
	s_mov_b32 vcc_lo, 0x43f00000
	v_cmp_gt_u32_e32 vcc, vcc_lo, v4
                                        ; implicit-def: $vgpr1
	s_and_saveexec_b64 s[56:57], vcc
	s_xor_b64 s[56:57], exec, s[56:57]
	s_cbranch_execz .LBB47_6253
; %bb.6248:
	s_mov_b32 vcc_lo, 0x3c7fffff
	v_cmp_lt_u32_e32 vcc, vcc_lo, v4
                                        ; implicit-def: $vgpr1
	s_and_saveexec_b64 s[58:59], vcc
	s_xor_b64 s[58:59], exec, s[58:59]
; %bb.6249:
	v_bfe_u32 v1, v52, 20, 1
	s_mov_b32 vcc_lo, 0x407ffff
	v_add3_u32 v1, v52, v1, vcc_lo
	v_lshrrev_b32_e32 v4, 20, v1
	v_and_b32_e32 v1, 0xff00000, v1
	s_mov_b32 vcc_lo, 0x7f00000
	v_mov_b32_e32 v5, 0x7e
	v_cmp_ne_u32_e32 vcc, vcc_lo, v1
	v_cndmask_b32_e32 v1, v5, v4, vcc
; %bb.6250:
	s_andn2_saveexec_b64 vcc, s[58:59]
; %bb.6251:
	s_mov_b32 s58, 0x46800000
	v_add_f32_e64 v1, |v52|, s58
; %bb.6252:
	s_or_b64 exec, exec, vcc
                                        ; implicit-def: $vgpr4
.LBB47_6253:
	s_andn2_saveexec_b64 s[56:57], s[56:57]
; %bb.6254:
	s_mov_b32 vcc_lo, 0x7f800000
	v_mov_b32_e32 v1, 0x7e
	v_mov_b32_e32 v5, 0x7f
	v_cmp_lt_u32_e32 vcc, vcc_lo, v4
	v_cndmask_b32_e32 v1, v1, v5, vcc
; %bb.6255:
	s_or_b64 exec, exec, s[56:57]
	v_lshrrev_b32_e32 v4, 24, v52
	s_movk_i32 vcc_lo, 0x80
	v_and_or_b32 v1, v4, vcc_lo, v1
	flat_store_byte v[2:3], v1
.LBB47_6256:
	s_or_b64 exec, exec, s[54:55]
                                        ; implicit-def: $vgpr52
                                        ; implicit-def: $vgpr2_vgpr3
.LBB47_6257:
	s_andn2_saveexec_b64 s[52:53], s[52:53]
	s_cbranch_execz .LBB47_6267
; %bb.6258:
	v_and_b32_e32 v4, 0x7fffffff, v52
	s_mov_b32 vcc_lo, 0x47800000
	v_cmp_gt_u32_e32 vcc, vcc_lo, v4
                                        ; implicit-def: $vgpr1
	s_and_saveexec_b64 s[54:55], vcc
	s_xor_b64 s[54:55], exec, s[54:55]
	s_cbranch_execz .LBB47_6264
; %bb.6259:
	s_mov_b32 vcc_lo, 0x387fffff
	v_cmp_lt_u32_e32 vcc, vcc_lo, v4
                                        ; implicit-def: $vgpr1
	s_and_saveexec_b64 s[56:57], vcc
	s_xor_b64 vcc, exec, s[56:57]
; %bb.6260:
	v_bfe_u32 v1, v52, 21, 1
	s_mov_b32 s56, 0x80fffff
	v_add3_u32 v1, v52, v1, s56
	v_lshrrev_b32_e32 v1, 21, v1
; %bb.6261:
	s_andn2_saveexec_b64 vcc, vcc
; %bb.6262:
	s_mov_b32 s56, 0x43000000
	v_add_f32_e64 v1, |v52|, s56
; %bb.6263:
	s_or_b64 exec, exec, vcc
                                        ; implicit-def: $vgpr4
.LBB47_6264:
	s_andn2_saveexec_b64 s[54:55], s[54:55]
; %bb.6265:
	s_mov_b32 vcc_lo, 0x7f800000
	v_mov_b32_e32 v1, 0x7c
	v_mov_b32_e32 v5, 0x7f
	v_cmp_lt_u32_e32 vcc, vcc_lo, v4
	v_cndmask_b32_e32 v1, v1, v5, vcc
; %bb.6266:
	s_or_b64 exec, exec, s[54:55]
	v_lshrrev_b32_e32 v4, 24, v52
	s_movk_i32 vcc_lo, 0x80
	v_and_or_b32 v1, v4, vcc_lo, v1
	flat_store_byte v[2:3], v1
.LBB47_6267:
	s_or_b64 exec, exec, s[52:53]
	s_or_b64 s[52:53], s[4:5], exec
                                        ; implicit-def: $vgpr52
                                        ; implicit-def: $vgpr2_vgpr3
.LBB47_6268:
	s_or_saveexec_b64 s[50:51], s[50:51]
	s_mov_b64 vcc, s[46:47]
	s_xor_b64 exec, exec, s[50:51]
	s_cbranch_execz .LBB47_6278
; %bb.6269:
	v_mov_b32_e32 v1, 14
	v_cmp_gt_i16_sdwa vcc, v11, v1 src0_sel:BYTE_0 src1_sel:DWORD
	s_mov_b64 s[54:55], s[52:53]
	s_mov_b64 s[56:57], s[46:47]
	s_and_saveexec_b64 s[58:59], vcc
	s_xor_b64 s[58:59], exec, s[58:59]
	s_cbranch_execz .LBB47_6273
; %bb.6270:
	v_mov_b32_e32 v1, 15
	v_cmp_eq_u16_sdwa s[60:61], v11, v1 src0_sel:BYTE_0 src1_sel:DWORD
	s_mov_b64 s[56:57], -1
	s_mov_b64 vcc, s[52:53]
	s_and_saveexec_b64 s[54:55], s[60:61]
	s_cbranch_execz .LBB47_6272
; %bb.6271:
	v_bfe_u32 v1, v52, 16, 1
	s_movk_i32 vcc_lo, 0x7fff
	v_add3_u32 v1, v52, v1, vcc_lo
	v_lshrrev_b32_e32 v1, 16, v1
	v_mov_b32_e32 v4, 0x7fc0
	v_cmp_o_f32_e32 vcc, v52, v52
	v_cndmask_b32_e32 v1, v4, v1, vcc
	flat_store_short v[2:3], v1
	s_xor_b64 s[56:57], exec, -1
	s_or_b64 vcc, s[52:53], exec
.LBB47_6272:
	s_or_b64 exec, exec, s[54:55]
	s_andn2_b64 s[54:55], s[46:47], exec
	s_and_b64 s[56:57], s[56:57], exec
	s_or_b64 s[56:57], s[54:55], s[56:57]
	s_andn2_b64 s[54:55], s[52:53], exec
	s_and_b64 vcc, vcc, exec
	s_or_b64 s[54:55], s[54:55], vcc
                                        ; implicit-def: $vgpr52
                                        ; implicit-def: $vgpr2_vgpr3
.LBB47_6273:
	s_andn2_saveexec_b64 s[58:59], s[58:59]
	s_cbranch_execz .LBB47_6277
; %bb.6274:
	v_mov_b32_e32 v1, 11
	v_cmp_eq_u16_sdwa s[64:65], v11, v1 src0_sel:BYTE_0 src1_sel:DWORD
	s_mov_b64 s[60:61], -1
	s_mov_b64 vcc, s[54:55]
	s_and_saveexec_b64 s[62:63], s[64:65]
	s_cbranch_execz .LBB47_6276
; %bb.6275:
	v_cmp_neq_f32_e32 vcc, 0, v52
	v_cndmask_b32_e64 v1, 0, 1, vcc
	flat_store_byte v[2:3], v1
	s_xor_b64 s[60:61], exec, -1
	s_or_b64 vcc, s[54:55], exec
.LBB47_6276:
	s_or_b64 exec, exec, s[62:63]
	s_andn2_b64 s[56:57], s[56:57], exec
	s_and_b64 s[60:61], s[60:61], exec
	s_andn2_b64 s[54:55], s[54:55], exec
	s_and_b64 vcc, vcc, exec
	s_or_b64 s[56:57], s[56:57], s[60:61]
	s_or_b64 s[54:55], s[54:55], vcc
.LBB47_6277:
	s_or_b64 exec, exec, s[58:59]
	s_andn2_b64 vcc, s[46:47], exec
	s_and_b64 s[56:57], s[56:57], exec
	s_andn2_b64 s[52:53], s[52:53], exec
	s_and_b64 s[54:55], s[54:55], exec
	s_or_b64 vcc, vcc, s[56:57]
	s_or_b64 s[52:53], s[52:53], s[54:55]
.LBB47_6278:
	s_or_b64 exec, exec, s[50:51]
	s_andn2_b64 s[46:47], s[46:47], exec
	s_and_b64 vcc, vcc, exec
	s_or_b64 s[46:47], s[46:47], vcc
	s_andn2_b64 s[4:5], s[4:5], exec
	s_and_b64 vcc, s[52:53], exec
	s_or_b64 s[4:5], s[4:5], vcc
.LBB47_6279:
	s_or_b64 exec, exec, s[48:49]
	s_andn2_b64 vcc, s[40:41], exec
	s_and_b64 s[46:47], s[46:47], exec
	s_or_b64 s[46:47], vcc, s[46:47]
	s_and_b64 s[4:5], s[4:5], exec
                                        ; implicit-def: $vgpr52
                                        ; implicit-def: $vgpr2_vgpr3
	s_andn2_saveexec_b64 s[42:43], s[42:43]
	s_cbranch_execz .LBB47_3930
.LBB47_6280:
	v_mov_b32_e32 v1, 4
	v_cmp_gt_i16_sdwa vcc, v11, v1 src0_sel:BYTE_0 src1_sel:DWORD
	s_and_saveexec_b64 s[48:49], vcc
	s_xor_b64 vcc, exec, s[48:49]
	s_cbranch_execz .LBB47_6302
; %bb.6281:
	v_mov_b32_e32 v1, 7
	v_cmp_gt_i16_sdwa s[48:49], v11, v1 src0_sel:BYTE_0 src1_sel:DWORD
	s_and_saveexec_b64 s[50:51], s[48:49]
	s_xor_b64 s[48:49], exec, s[50:51]
	s_cbranch_execz .LBB47_6291
; %bb.6282:
	v_mov_b32_e32 v1, 8
	v_cmp_gt_i16_sdwa s[50:51], v11, v1 src0_sel:BYTE_0 src1_sel:DWORD
	s_and_saveexec_b64 s[52:53], s[50:51]
	s_xor_b64 s[50:51], exec, s[52:53]
	;; [unrolled: 6-line block ×3, first 2 shown]
	s_cbranch_execz .LBB47_6285
; %bb.6284:
	s_waitcnt vmcnt(0) lgkmcnt(0)
	v_mov_b32_e32 v54, 0
	v_cvt_f64_f32_e32 v[52:53], v52
	v_mov_b32_e32 v55, v54
	flat_store_dwordx4 v[2:3], v[52:55]
                                        ; implicit-def: $vgpr52
                                        ; implicit-def: $vgpr2_vgpr3
.LBB47_6285:
	s_andn2_saveexec_b64 s[52:53], s[52:53]
	s_cbranch_execz .LBB47_6287
; %bb.6286:
	v_mov_b32_e32 v53, 0
	flat_store_dwordx2 v[2:3], v[52:53]
.LBB47_6287:
	s_or_b64 exec, exec, s[52:53]
                                        ; implicit-def: $vgpr52
                                        ; implicit-def: $vgpr2_vgpr3
.LBB47_6288:
	s_andn2_saveexec_b64 s[50:51], s[50:51]
	s_cbranch_execz .LBB47_6290
; %bb.6289:
	v_cvt_f16_f32_e32 v1, v52
	flat_store_dword v[2:3], v1
.LBB47_6290:
	s_or_b64 exec, exec, s[50:51]
                                        ; implicit-def: $vgpr52
                                        ; implicit-def: $vgpr2_vgpr3
.LBB47_6291:
	s_andn2_saveexec_b64 s[48:49], s[48:49]
	s_cbranch_execz .LBB47_6301
; %bb.6292:
	v_mov_b32_e32 v1, 5
	v_cmp_gt_i16_sdwa s[50:51], v11, v1 src0_sel:BYTE_0 src1_sel:DWORD
	s_and_saveexec_b64 s[52:53], s[50:51]
	s_xor_b64 s[50:51], exec, s[52:53]
	s_cbranch_execz .LBB47_6298
; %bb.6293:
	v_mov_b32_e32 v1, 6
	v_cmp_gt_i16_sdwa s[52:53], v11, v1 src0_sel:BYTE_0 src1_sel:DWORD
	s_and_saveexec_b64 s[54:55], s[52:53]
	s_xor_b64 s[52:53], exec, s[54:55]
	s_cbranch_execz .LBB47_6295
; %bb.6294:
	v_cvt_f64_f32_e32 v[4:5], v52
	flat_store_dwordx2 v[2:3], v[4:5]
                                        ; implicit-def: $vgpr2_vgpr3
                                        ; implicit-def: $vgpr52
.LBB47_6295:
	s_andn2_saveexec_b64 s[52:53], s[52:53]
	s_cbranch_execz .LBB47_6297
; %bb.6296:
	flat_store_dword v[2:3], v52
.LBB47_6297:
	s_or_b64 exec, exec, s[52:53]
                                        ; implicit-def: $vgpr52
                                        ; implicit-def: $vgpr2_vgpr3
.LBB47_6298:
	s_andn2_saveexec_b64 s[50:51], s[50:51]
	s_cbranch_execz .LBB47_6300
; %bb.6299:
	v_cvt_f16_f32_e32 v1, v52
	flat_store_short v[2:3], v1
.LBB47_6300:
	s_or_b64 exec, exec, s[50:51]
.LBB47_6301:
	s_or_b64 exec, exec, s[48:49]
                                        ; implicit-def: $vgpr52
                                        ; implicit-def: $vgpr2_vgpr3
.LBB47_6302:
	s_andn2_saveexec_b64 s[48:49], vcc
	s_cbranch_execz .LBB47_6320
; %bb.6303:
	v_mov_b32_e32 v1, 1
	v_cmp_gt_i16_sdwa vcc, v11, v1 src0_sel:BYTE_0 src1_sel:DWORD
	s_and_saveexec_b64 s[50:51], vcc
	s_xor_b64 s[50:51], exec, s[50:51]
	s_cbranch_execz .LBB47_6313
; %bb.6304:
	v_mov_b32_e32 v1, 2
	v_cmp_gt_i16_sdwa vcc, v11, v1 src0_sel:BYTE_0 src1_sel:DWORD
	s_and_saveexec_b64 s[52:53], vcc
	s_xor_b64 s[52:53], exec, s[52:53]
	;; [unrolled: 6-line block ×3, first 2 shown]
	s_cbranch_execz .LBB47_6307
; %bb.6306:
	v_trunc_f32_e32 v1, v52
	s_mov_b32 s56, 0x2f800000
	v_mul_f32_e64 v4, |v1|, s56
	v_floor_f32_e32 v4, v4
	s_mov_b32 s56, 0xcf800000
	v_cvt_u32_f32_e32 v5, v4
	v_fma_f32 v4, v4, s56, |v1|
	v_cvt_u32_f32_e32 v4, v4
	v_ashrrev_i32_e32 v1, 31, v1
	v_xor_b32_e32 v5, v5, v1
                                        ; implicit-def: $vgpr52
	v_xor_b32_e32 v4, v4, v1
	v_sub_co_u32_e32 v4, vcc, v4, v1
	v_subb_co_u32_e32 v5, vcc, v5, v1, vcc
	flat_store_dwordx2 v[2:3], v[4:5]
                                        ; implicit-def: $vgpr2_vgpr3
.LBB47_6307:
	s_andn2_saveexec_b64 vcc, s[54:55]
	s_cbranch_execz .LBB47_6309
; %bb.6308:
	v_cvt_i32_f32_e32 v1, v52
	flat_store_dword v[2:3], v1
.LBB47_6309:
	s_or_b64 exec, exec, vcc
                                        ; implicit-def: $vgpr52
                                        ; implicit-def: $vgpr2_vgpr3
.LBB47_6310:
	s_andn2_saveexec_b64 vcc, s[52:53]
	s_cbranch_execz .LBB47_6312
; %bb.6311:
	v_cvt_i32_f32_e32 v1, v52
	flat_store_short v[2:3], v1
.LBB47_6312:
	s_or_b64 exec, exec, vcc
                                        ; implicit-def: $vgpr52
                                        ; implicit-def: $vgpr2_vgpr3
.LBB47_6313:
	s_andn2_saveexec_b64 vcc, s[50:51]
	s_cbranch_execz .LBB47_6319
; %bb.6314:
	v_mov_b32_e32 v1, 0
	v_cmp_gt_i16_sdwa s[50:51], v11, v1 src0_sel:BYTE_0 src1_sel:DWORD
	s_and_saveexec_b64 s[52:53], s[50:51]
	s_xor_b64 s[50:51], exec, s[52:53]
	s_cbranch_execz .LBB47_6316
; %bb.6315:
	v_cvt_i32_f32_e32 v1, v52
                                        ; implicit-def: $vgpr52
	flat_store_byte v[2:3], v1
                                        ; implicit-def: $vgpr2_vgpr3
.LBB47_6316:
	s_andn2_saveexec_b64 s[50:51], s[50:51]
	s_cbranch_execz .LBB47_6318
; %bb.6317:
	v_trunc_f32_e32 v1, v52
	s_mov_b32 s52, 0x2f800000
	v_mul_f32_e64 v4, |v1|, s52
	v_floor_f32_e32 v4, v4
	s_mov_b32 s52, 0xcf800000
	v_fma_f32 v4, v4, s52, |v1|
	v_cvt_u32_f32_e32 v4, v4
	v_ashrrev_i32_e32 v1, 31, v1
	v_xor_b32_e32 v4, v4, v1
	v_sub_u32_e32 v1, v4, v1
	flat_store_byte v[2:3], v1
.LBB47_6318:
	s_or_b64 exec, exec, s[50:51]
.LBB47_6319:
	s_or_b64 exec, exec, vcc
.LBB47_6320:
	s_or_b64 exec, exec, s[48:49]
	s_or_b64 s[4:5], s[4:5], exec
	s_or_b64 exec, exec, s[42:43]
	s_mov_b64 vcc, 0
	s_and_saveexec_b64 s[42:43], s[4:5]
	s_cbranch_execnz .LBB47_3931
	s_branch .LBB47_3932
.LBB47_6321:
	v_bfe_u32 v1, v80, 21, 1
	s_mov_b32 s54, 0x88fffff
	v_add3_u32 v1, v80, v1, s54
	s_mov_b64 s[52:53], exec
	v_lshrrev_b32_e32 v1, 21, v1
	s_or_saveexec_b64 s[54:55], vcc
                                        ; implicit-def: $sgpr56
	s_xor_b64 exec, exec, s[54:55]
	s_cbranch_execz .LBB47_5488
.LBB47_6322:
	s_mov_b32 s56, 0x42800000
	v_add_f32_e64 v1, |v80|, s56
	v_and_b32_e32 v1, 0xff, v1
	v_cmp_ne_u32_e32 vcc, 0, v1
	s_andn2_b64 s[52:53], s[52:53], exec
	s_and_b64 vcc, vcc, exec
	s_mov_b32 s56, 0
	s_or_b64 s[52:53], s[52:53], vcc
	s_or_b64 exec, exec, s[54:55]
	v_mov_b32_e32 v4, s56
	s_and_saveexec_b64 vcc, s[52:53]
	s_cbranch_execnz .LBB47_5489
	s_branch .LBB47_5490
.LBB47_6323:
	v_bfe_u32 v1, v70, 20, 1
	s_mov_b32 s56, 0x487ffff
	v_add3_u32 v1, v70, v1, s56
	s_mov_b64 s[54:55], exec
	v_lshrrev_b32_e32 v1, 20, v1
	s_or_saveexec_b64 s[56:57], vcc
                                        ; implicit-def: $sgpr58
	s_xor_b64 exec, exec, s[56:57]
	s_cbranch_execz .LBB47_5599
.LBB47_6324:
	s_mov_b32 s58, 0x46000000
	v_add_f32_e64 v1, |v70|, s58
	v_and_b32_e32 v1, 0xff, v1
	v_cmp_ne_u32_e32 vcc, 0, v1
	s_andn2_b64 s[54:55], s[54:55], exec
	s_and_b64 vcc, vcc, exec
	s_mov_b32 s58, 0
	s_or_b64 s[54:55], s[54:55], vcc
	s_or_b64 exec, exec, s[56:57]
	v_mov_b32_e32 v4, s58
	s_and_saveexec_b64 vcc, s[54:55]
	s_cbranch_execnz .LBB47_5600
	s_branch .LBB47_5601
.LBB47_6325:
	v_mov_b32_e32 v1, 25
	v_cmp_gt_i16_sdwa vcc, v11, v1 src0_sel:BYTE_0 src1_sel:DWORD
	s_mov_b64 s[50:51], s[42:43]
	s_and_saveexec_b64 s[52:53], vcc
	s_xor_b64 s[52:53], exec, s[52:53]
	s_cbranch_execz .LBB47_6361
; %bb.6326:
	v_mov_b32_e32 v1, 28
	v_cmp_gt_i16_sdwa vcc, v11, v1 src0_sel:BYTE_0 src1_sel:DWORD
	s_mov_b64 s[54:55], s[42:43]
	s_and_saveexec_b64 s[50:51], vcc
	s_xor_b64 s[50:51], exec, s[50:51]
	s_cbranch_execz .LBB47_6344
; %bb.6327:
	v_mov_b32_e32 v1, 43
	v_cmp_gt_i16_sdwa s[54:55], v11, v1 src0_sel:BYTE_0 src1_sel:DWORD
	s_mov_b64 vcc, s[42:43]
	s_and_saveexec_b64 s[56:57], s[54:55]
	s_xor_b64 s[54:55], exec, s[56:57]
	s_cbranch_execz .LBB47_6339
; %bb.6328:
	v_mov_b32_e32 v1, 45
	v_cmp_gt_i16_sdwa s[4:5], v11, v1 src0_sel:BYTE_0 src1_sel:DWORD
	s_mov_b64 s[56:57], 0
	s_mov_b64 s[58:59], s[42:43]
	s_and_saveexec_b64 vcc, s[4:5]
	s_xor_b64 s[4:5], exec, vcc
	s_cbranch_execz .LBB47_6332
; %bb.6329:
	v_mov_b32_e32 v1, 46
	v_cmp_eq_u16_sdwa s[60:61], v11, v1 src0_sel:BYTE_0 src1_sel:DWORD
	s_mov_b64 vcc, -1
	s_and_saveexec_b64 s[58:59], s[60:61]
	s_cbranch_execz .LBB47_6331
; %bb.6330:
	v_bfe_u32 v1, v50, 16, 1
	s_movk_i32 vcc_lo, 0x7fff
	v_add3_u32 v1, v50, v1, vcc_lo
	v_lshrrev_b32_e32 v1, 16, v1
	v_mov_b32_e32 v4, 0x7fc0
	v_cmp_o_f32_e32 vcc, v50, v50
	v_cndmask_b32_e32 v1, v4, v1, vcc
	s_mov_b64 s[56:57], exec
	flat_store_dword v[2:3], v1
	s_xor_b64 vcc, exec, -1
.LBB47_6331:
	s_or_b64 exec, exec, s[58:59]
	s_andn2_b64 s[58:59], s[42:43], exec
	s_and_b64 vcc, vcc, exec
	s_or_b64 s[58:59], s[58:59], vcc
	s_and_b64 s[56:57], s[56:57], exec
                                        ; implicit-def: $vgpr2_vgpr3
                                        ; implicit-def: $vgpr50
.LBB47_6332:
	s_andn2_saveexec_b64 s[60:61], s[4:5]
	s_cbranch_execz .LBB47_6338
; %bb.6333:
	v_mov_b32_e32 v1, 44
	v_cmp_eq_u16_sdwa s[64:65], v11, v1 src0_sel:BYTE_0 src1_sel:DWORD
	s_mov_b64 vcc, -1
	s_mov_b64 s[4:5], s[56:57]
	s_and_saveexec_b64 s[62:63], s[64:65]
	s_cbranch_execz .LBB47_6337
; %bb.6334:
	v_bfe_u32 v1, v50, 23, 8
	s_movk_i32 s4, 0xff
	v_cmp_ne_u32_e32 vcc, s4, v1
	v_mov_b32_e32 v4, 0xff
	s_and_saveexec_b64 s[64:65], vcc
; %bb.6335:
	s_mov_b32 s4, 0x3fffff
	v_and_b32_e32 v5, 0x400000, v50
	v_and_or_b32 v1, v50, s4, v1
	v_cmp_ne_u32_e32 vcc, 0, v5
	v_cmp_ne_u32_e64 s[4:5], 0, v1
	s_and_b64 s[4:5], vcc, s[4:5]
	v_lshrrev_b32_e32 v4, 23, v50
	v_cndmask_b32_e64 v1, 0, 1, s[4:5]
	v_add_u32_e32 v4, v4, v1
; %bb.6336:
	s_or_b64 exec, exec, s[64:65]
	s_xor_b64 vcc, exec, -1
	s_or_b64 s[4:5], s[56:57], exec
	flat_store_byte v[2:3], v4
.LBB47_6337:
	s_or_b64 exec, exec, s[62:63]
	s_andn2_b64 s[58:59], s[58:59], exec
	s_and_b64 vcc, vcc, exec
	s_or_b64 s[58:59], s[58:59], vcc
	s_andn2_b64 vcc, s[56:57], exec
	s_and_b64 s[4:5], s[4:5], exec
	s_or_b64 s[56:57], vcc, s[4:5]
.LBB47_6338:
	s_or_b64 exec, exec, s[60:61]
	s_andn2_b64 s[4:5], s[42:43], exec
	s_and_b64 vcc, s[58:59], exec
	s_or_b64 vcc, s[4:5], vcc
	s_and_b64 s[4:5], s[56:57], exec
                                        ; implicit-def: $vgpr50
                                        ; implicit-def: $vgpr2_vgpr3
.LBB47_6339:
	s_andn2_saveexec_b64 s[54:55], s[54:55]
	s_cbranch_execz .LBB47_6343
; %bb.6340:
	v_mov_b32_e32 v1, 29
	v_cmp_eq_u16_sdwa s[62:63], v11, v1 src0_sel:BYTE_0 src1_sel:DWORD
	s_mov_b64 s[60:61], -1
	s_mov_b64 s[58:59], s[4:5]
	s_and_saveexec_b64 s[56:57], s[62:63]
	s_cbranch_execz .LBB47_6342
; %bb.6341:
	v_trunc_f32_e32 v1, v50
	v_mul_f32_e32 v4, 0x2f800000, v1
	v_floor_f32_e32 v4, v4
	v_fmac_f32_e32 v1, 0xcf800000, v4
	v_cvt_u32_f32_e32 v5, v4
	v_cvt_u32_f32_e32 v4, v1
	s_xor_b64 s[60:61], exec, -1
	s_or_b64 s[58:59], s[4:5], exec
	flat_store_dwordx2 v[2:3], v[4:5]
.LBB47_6342:
	s_or_b64 exec, exec, s[56:57]
	s_andn2_b64 vcc, vcc, exec
	s_and_b64 s[56:57], s[60:61], exec
	s_or_b64 vcc, vcc, s[56:57]
	s_andn2_b64 s[4:5], s[4:5], exec
	s_and_b64 s[56:57], s[58:59], exec
	s_or_b64 s[4:5], s[4:5], s[56:57]
.LBB47_6343:
	s_or_b64 exec, exec, s[54:55]
	s_andn2_b64 s[54:55], s[42:43], exec
	s_and_b64 vcc, vcc, exec
	s_or_b64 s[54:55], s[54:55], vcc
	s_and_b64 s[4:5], s[4:5], exec
                                        ; implicit-def: $vgpr2_vgpr3
                                        ; implicit-def: $vgpr50
.LBB47_6344:
	s_andn2_saveexec_b64 s[50:51], s[50:51]
	s_cbranch_execz .LBB47_6360
; %bb.6345:
	v_mov_b32_e32 v1, 26
	v_cmp_gt_i16_sdwa vcc, v11, v1 src0_sel:BYTE_0 src1_sel:DWORD
	s_and_saveexec_b64 s[56:57], vcc
	s_xor_b64 vcc, exec, s[56:57]
	s_cbranch_execz .LBB47_6351
; %bb.6346:
	v_cvt_u32_f32_e32 v1, v50
	v_mov_b32_e32 v4, 27
	v_cmp_gt_i16_sdwa s[56:57], v11, v4 src0_sel:BYTE_0 src1_sel:DWORD
	s_and_saveexec_b64 s[58:59], s[56:57]
	s_xor_b64 s[56:57], exec, s[58:59]
	s_cbranch_execz .LBB47_6348
; %bb.6347:
	flat_store_dword v[2:3], v1
                                        ; implicit-def: $vgpr2_vgpr3
                                        ; implicit-def: $vgpr1
.LBB47_6348:
	s_andn2_saveexec_b64 s[56:57], s[56:57]
	s_cbranch_execz .LBB47_6350
; %bb.6349:
	flat_store_short v[2:3], v1
.LBB47_6350:
	s_or_b64 exec, exec, s[56:57]
                                        ; implicit-def: $vgpr2_vgpr3
                                        ; implicit-def: $vgpr50
.LBB47_6351:
	s_andn2_saveexec_b64 s[56:57], vcc
	s_cbranch_execz .LBB47_6359
; %bb.6352:
	v_and_b32_e32 v1, 0x7fffffff, v50
	s_mov_b32 vcc_lo, 0x43800000
	v_cmp_gt_u32_e32 vcc, vcc_lo, v1
	v_mov_b32_e32 v4, 0x80
	s_and_saveexec_b64 s[58:59], vcc
	s_cbranch_execz .LBB47_6358
; %bb.6353:
	s_mov_b32 vcc_lo, 0x3bffffff
	v_cmp_lt_u32_e32 vcc, vcc_lo, v1
	s_mov_b64 s[60:61], 0
                                        ; implicit-def: $vgpr1
	s_and_saveexec_b64 s[62:63], vcc
	s_xor_b64 vcc, exec, s[62:63]
	s_cbranch_execnz .LBB47_7079
; %bb.6354:
	s_or_saveexec_b64 s[62:63], vcc
                                        ; implicit-def: $sgpr64
	s_xor_b64 exec, exec, s[62:63]
	s_cbranch_execnz .LBB47_7080
.LBB47_6355:
	s_or_b64 exec, exec, s[62:63]
	v_mov_b32_e32 v4, s64
	s_and_saveexec_b64 vcc, s[60:61]
.LBB47_6356:
	v_lshrrev_b32_e32 v4, 24, v50
	s_movk_i32 s60, 0x80
	v_and_or_b32 v4, v4, s60, v1
.LBB47_6357:
	s_or_b64 exec, exec, vcc
.LBB47_6358:
	s_or_b64 exec, exec, s[58:59]
	flat_store_byte v[2:3], v4
.LBB47_6359:
	s_or_b64 exec, exec, s[56:57]
	s_or_b64 s[4:5], s[4:5], exec
.LBB47_6360:
	s_or_b64 exec, exec, s[50:51]
	s_andn2_b64 vcc, s[42:43], exec
	s_and_b64 s[50:51], s[54:55], exec
	s_or_b64 s[50:51], vcc, s[50:51]
	s_and_b64 s[4:5], s[4:5], exec
                                        ; implicit-def: $vgpr50
                                        ; implicit-def: $vgpr2_vgpr3
.LBB47_6361:
	s_andn2_saveexec_b64 s[52:53], s[52:53]
	s_cbranch_execz .LBB47_6405
; %bb.6362:
	v_mov_b32_e32 v1, 22
	v_cmp_gt_i16_sdwa vcc, v11, v1 src0_sel:BYTE_0 src1_sel:DWORD
	s_mov_b64 s[56:57], s[4:5]
	s_and_saveexec_b64 s[54:55], vcc
	s_xor_b64 s[54:55], exec, s[54:55]
	s_cbranch_execz .LBB47_6394
; %bb.6363:
	v_mov_b32_e32 v1, 23
	v_cmp_gt_i16_sdwa vcc, v11, v1 src0_sel:BYTE_0 src1_sel:DWORD
	s_and_saveexec_b64 s[56:57], vcc
	s_xor_b64 s[56:57], exec, s[56:57]
	s_cbranch_execz .LBB47_6383
; %bb.6364:
	v_mov_b32_e32 v1, 24
	v_cmp_gt_i16_sdwa vcc, v11, v1 src0_sel:BYTE_0 src1_sel:DWORD
	s_and_saveexec_b64 s[58:59], vcc
	s_xor_b64 s[58:59], exec, s[58:59]
	s_cbranch_execz .LBB47_6372
; %bb.6365:
	v_and_b32_e32 v1, 0x7fffffff, v50
	s_mov_b32 vcc_lo, 0x47800000
	v_cmp_gt_u32_e32 vcc, vcc_lo, v1
	v_mov_b32_e32 v4, 0x80
	s_and_saveexec_b64 s[60:61], vcc
	s_cbranch_execz .LBB47_6371
; %bb.6366:
	s_mov_b32 vcc_lo, 0x37ffffff
	v_cmp_lt_u32_e32 vcc, vcc_lo, v1
	s_mov_b64 s[62:63], 0
                                        ; implicit-def: $vgpr1
	s_and_saveexec_b64 s[64:65], vcc
	s_xor_b64 vcc, exec, s[64:65]
	s_cbranch_execnz .LBB47_7203
; %bb.6367:
	s_or_saveexec_b64 s[64:65], vcc
                                        ; implicit-def: $sgpr66
	s_xor_b64 exec, exec, s[64:65]
	s_cbranch_execnz .LBB47_7204
.LBB47_6368:
	s_or_b64 exec, exec, s[64:65]
	v_mov_b32_e32 v4, s66
	s_and_saveexec_b64 vcc, s[62:63]
.LBB47_6369:
	v_lshrrev_b32_e32 v4, 24, v50
	s_movk_i32 s62, 0x80
	v_and_or_b32 v4, v4, s62, v1
.LBB47_6370:
	s_or_b64 exec, exec, vcc
.LBB47_6371:
	s_or_b64 exec, exec, s[60:61]
	flat_store_byte v[2:3], v4
                                        ; implicit-def: $vgpr50
                                        ; implicit-def: $vgpr2_vgpr3
.LBB47_6372:
	s_andn2_saveexec_b64 s[58:59], s[58:59]
	s_cbranch_execz .LBB47_6382
; %bb.6373:
	v_and_b32_e32 v4, 0x7fffffff, v50
	s_mov_b32 vcc_lo, 0x43f00000
	v_cmp_gt_u32_e32 vcc, vcc_lo, v4
                                        ; implicit-def: $vgpr1
	s_and_saveexec_b64 s[60:61], vcc
	s_xor_b64 s[60:61], exec, s[60:61]
	s_cbranch_execz .LBB47_6379
; %bb.6374:
	s_mov_b32 vcc_lo, 0x3c7fffff
	v_cmp_lt_u32_e32 vcc, vcc_lo, v4
                                        ; implicit-def: $vgpr1
	s_and_saveexec_b64 s[62:63], vcc
	s_xor_b64 s[62:63], exec, s[62:63]
; %bb.6375:
	v_bfe_u32 v1, v50, 20, 1
	s_mov_b32 vcc_lo, 0x407ffff
	v_add3_u32 v1, v50, v1, vcc_lo
	v_lshrrev_b32_e32 v4, 20, v1
	v_and_b32_e32 v1, 0xff00000, v1
	s_mov_b32 vcc_lo, 0x7f00000
	v_mov_b32_e32 v5, 0x7e
	v_cmp_ne_u32_e32 vcc, vcc_lo, v1
	v_cndmask_b32_e32 v1, v5, v4, vcc
; %bb.6376:
	s_andn2_saveexec_b64 vcc, s[62:63]
; %bb.6377:
	s_mov_b32 s62, 0x46800000
	v_add_f32_e64 v1, |v50|, s62
; %bb.6378:
	s_or_b64 exec, exec, vcc
                                        ; implicit-def: $vgpr4
.LBB47_6379:
	s_andn2_saveexec_b64 s[60:61], s[60:61]
; %bb.6380:
	s_mov_b32 vcc_lo, 0x7f800000
	v_mov_b32_e32 v1, 0x7e
	v_mov_b32_e32 v5, 0x7f
	v_cmp_lt_u32_e32 vcc, vcc_lo, v4
	v_cndmask_b32_e32 v1, v1, v5, vcc
; %bb.6381:
	s_or_b64 exec, exec, s[60:61]
	v_lshrrev_b32_e32 v4, 24, v50
	s_movk_i32 vcc_lo, 0x80
	v_and_or_b32 v1, v4, vcc_lo, v1
	flat_store_byte v[2:3], v1
.LBB47_6382:
	s_or_b64 exec, exec, s[58:59]
                                        ; implicit-def: $vgpr50
                                        ; implicit-def: $vgpr2_vgpr3
.LBB47_6383:
	s_andn2_saveexec_b64 s[56:57], s[56:57]
	s_cbranch_execz .LBB47_6393
; %bb.6384:
	v_and_b32_e32 v4, 0x7fffffff, v50
	s_mov_b32 vcc_lo, 0x47800000
	v_cmp_gt_u32_e32 vcc, vcc_lo, v4
                                        ; implicit-def: $vgpr1
	s_and_saveexec_b64 s[58:59], vcc
	s_xor_b64 s[58:59], exec, s[58:59]
	s_cbranch_execz .LBB47_6390
; %bb.6385:
	s_mov_b32 vcc_lo, 0x387fffff
	v_cmp_lt_u32_e32 vcc, vcc_lo, v4
                                        ; implicit-def: $vgpr1
	s_and_saveexec_b64 s[60:61], vcc
	s_xor_b64 vcc, exec, s[60:61]
; %bb.6386:
	v_bfe_u32 v1, v50, 21, 1
	s_mov_b32 s60, 0x80fffff
	v_add3_u32 v1, v50, v1, s60
	v_lshrrev_b32_e32 v1, 21, v1
; %bb.6387:
	s_andn2_saveexec_b64 vcc, vcc
; %bb.6388:
	s_mov_b32 s60, 0x43000000
	v_add_f32_e64 v1, |v50|, s60
; %bb.6389:
	s_or_b64 exec, exec, vcc
                                        ; implicit-def: $vgpr4
.LBB47_6390:
	s_andn2_saveexec_b64 s[58:59], s[58:59]
; %bb.6391:
	s_mov_b32 vcc_lo, 0x7f800000
	v_mov_b32_e32 v1, 0x7c
	v_mov_b32_e32 v5, 0x7f
	v_cmp_lt_u32_e32 vcc, vcc_lo, v4
	v_cndmask_b32_e32 v1, v1, v5, vcc
; %bb.6392:
	s_or_b64 exec, exec, s[58:59]
	v_lshrrev_b32_e32 v4, 24, v50
	s_movk_i32 vcc_lo, 0x80
	v_and_or_b32 v1, v4, vcc_lo, v1
	flat_store_byte v[2:3], v1
.LBB47_6393:
	s_or_b64 exec, exec, s[56:57]
	s_or_b64 s[56:57], s[4:5], exec
                                        ; implicit-def: $vgpr50
                                        ; implicit-def: $vgpr2_vgpr3
.LBB47_6394:
	s_or_saveexec_b64 s[54:55], s[54:55]
	s_mov_b64 vcc, s[50:51]
	s_xor_b64 exec, exec, s[54:55]
	s_cbranch_execz .LBB47_6404
; %bb.6395:
	v_mov_b32_e32 v1, 14
	v_cmp_gt_i16_sdwa vcc, v11, v1 src0_sel:BYTE_0 src1_sel:DWORD
	s_mov_b64 s[58:59], s[56:57]
	s_mov_b64 s[60:61], s[50:51]
	s_and_saveexec_b64 s[62:63], vcc
	s_xor_b64 s[62:63], exec, s[62:63]
	s_cbranch_execz .LBB47_6399
; %bb.6396:
	v_mov_b32_e32 v1, 15
	v_cmp_eq_u16_sdwa s[64:65], v11, v1 src0_sel:BYTE_0 src1_sel:DWORD
	s_mov_b64 s[60:61], -1
	s_mov_b64 vcc, s[56:57]
	s_and_saveexec_b64 s[58:59], s[64:65]
	s_cbranch_execz .LBB47_6398
; %bb.6397:
	v_bfe_u32 v1, v50, 16, 1
	s_movk_i32 vcc_lo, 0x7fff
	v_add3_u32 v1, v50, v1, vcc_lo
	v_lshrrev_b32_e32 v1, 16, v1
	v_mov_b32_e32 v4, 0x7fc0
	v_cmp_o_f32_e32 vcc, v50, v50
	v_cndmask_b32_e32 v1, v4, v1, vcc
	flat_store_short v[2:3], v1
	s_xor_b64 s[60:61], exec, -1
	s_or_b64 vcc, s[56:57], exec
.LBB47_6398:
	s_or_b64 exec, exec, s[58:59]
	s_andn2_b64 s[58:59], s[50:51], exec
	s_and_b64 s[60:61], s[60:61], exec
	s_or_b64 s[60:61], s[58:59], s[60:61]
	s_andn2_b64 s[58:59], s[56:57], exec
	s_and_b64 vcc, vcc, exec
	s_or_b64 s[58:59], s[58:59], vcc
                                        ; implicit-def: $vgpr50
                                        ; implicit-def: $vgpr2_vgpr3
.LBB47_6399:
	s_andn2_saveexec_b64 s[62:63], s[62:63]
	s_cbranch_execz .LBB47_6403
; %bb.6400:
	v_mov_b32_e32 v1, 11
	v_cmp_eq_u16_sdwa s[68:69], v11, v1 src0_sel:BYTE_0 src1_sel:DWORD
	s_mov_b64 s[64:65], -1
	s_mov_b64 vcc, s[58:59]
	s_and_saveexec_b64 s[66:67], s[68:69]
	s_cbranch_execz .LBB47_6402
; %bb.6401:
	v_cmp_neq_f32_e32 vcc, 0, v50
	v_cndmask_b32_e64 v1, 0, 1, vcc
	flat_store_byte v[2:3], v1
	s_xor_b64 s[64:65], exec, -1
	s_or_b64 vcc, s[58:59], exec
.LBB47_6402:
	s_or_b64 exec, exec, s[66:67]
	s_andn2_b64 s[60:61], s[60:61], exec
	s_and_b64 s[64:65], s[64:65], exec
	s_andn2_b64 s[58:59], s[58:59], exec
	s_and_b64 vcc, vcc, exec
	s_or_b64 s[60:61], s[60:61], s[64:65]
	s_or_b64 s[58:59], s[58:59], vcc
.LBB47_6403:
	s_or_b64 exec, exec, s[62:63]
	s_andn2_b64 vcc, s[50:51], exec
	s_and_b64 s[60:61], s[60:61], exec
	s_andn2_b64 s[56:57], s[56:57], exec
	s_and_b64 s[58:59], s[58:59], exec
	s_or_b64 vcc, vcc, s[60:61]
	s_or_b64 s[56:57], s[56:57], s[58:59]
.LBB47_6404:
	s_or_b64 exec, exec, s[54:55]
	s_andn2_b64 s[50:51], s[50:51], exec
	s_and_b64 vcc, vcc, exec
	s_or_b64 s[50:51], s[50:51], vcc
	s_andn2_b64 s[4:5], s[4:5], exec
	s_and_b64 vcc, s[56:57], exec
	s_or_b64 s[4:5], s[4:5], vcc
.LBB47_6405:
	s_or_b64 exec, exec, s[52:53]
	s_andn2_b64 vcc, s[42:43], exec
	s_and_b64 s[50:51], s[50:51], exec
	s_or_b64 s[50:51], vcc, s[50:51]
	s_and_b64 s[4:5], s[4:5], exec
                                        ; implicit-def: $vgpr50
                                        ; implicit-def: $vgpr2_vgpr3
	s_andn2_saveexec_b64 s[46:47], s[46:47]
	s_cbranch_execz .LBB47_3937
.LBB47_6406:
	v_mov_b32_e32 v1, 4
	v_cmp_gt_i16_sdwa vcc, v11, v1 src0_sel:BYTE_0 src1_sel:DWORD
	s_and_saveexec_b64 s[52:53], vcc
	s_xor_b64 vcc, exec, s[52:53]
	s_cbranch_execz .LBB47_6428
; %bb.6407:
	v_mov_b32_e32 v1, 7
	v_cmp_gt_i16_sdwa s[52:53], v11, v1 src0_sel:BYTE_0 src1_sel:DWORD
	s_and_saveexec_b64 s[54:55], s[52:53]
	s_xor_b64 s[52:53], exec, s[54:55]
	s_cbranch_execz .LBB47_6417
; %bb.6408:
	v_mov_b32_e32 v1, 8
	v_cmp_gt_i16_sdwa s[54:55], v11, v1 src0_sel:BYTE_0 src1_sel:DWORD
	s_and_saveexec_b64 s[56:57], s[54:55]
	s_xor_b64 s[54:55], exec, s[56:57]
	;; [unrolled: 6-line block ×3, first 2 shown]
	s_cbranch_execz .LBB47_6411
; %bb.6410:
	v_mov_b32_e32 v52, 0
	v_cvt_f64_f32_e32 v[50:51], v50
	v_mov_b32_e32 v53, v52
	flat_store_dwordx4 v[2:3], v[50:53]
                                        ; implicit-def: $vgpr50
                                        ; implicit-def: $vgpr2_vgpr3
.LBB47_6411:
	s_andn2_saveexec_b64 s[56:57], s[56:57]
	s_cbranch_execz .LBB47_6413
; %bb.6412:
	v_mov_b32_e32 v51, 0
	flat_store_dwordx2 v[2:3], v[50:51]
.LBB47_6413:
	s_or_b64 exec, exec, s[56:57]
                                        ; implicit-def: $vgpr50
                                        ; implicit-def: $vgpr2_vgpr3
.LBB47_6414:
	s_andn2_saveexec_b64 s[54:55], s[54:55]
	s_cbranch_execz .LBB47_6416
; %bb.6415:
	v_cvt_f16_f32_e32 v1, v50
	flat_store_dword v[2:3], v1
.LBB47_6416:
	s_or_b64 exec, exec, s[54:55]
                                        ; implicit-def: $vgpr50
                                        ; implicit-def: $vgpr2_vgpr3
.LBB47_6417:
	s_andn2_saveexec_b64 s[52:53], s[52:53]
	s_cbranch_execz .LBB47_6427
; %bb.6418:
	v_mov_b32_e32 v1, 5
	v_cmp_gt_i16_sdwa s[54:55], v11, v1 src0_sel:BYTE_0 src1_sel:DWORD
	s_and_saveexec_b64 s[56:57], s[54:55]
	s_xor_b64 s[54:55], exec, s[56:57]
	s_cbranch_execz .LBB47_6424
; %bb.6419:
	v_mov_b32_e32 v1, 6
	v_cmp_gt_i16_sdwa s[56:57], v11, v1 src0_sel:BYTE_0 src1_sel:DWORD
	s_and_saveexec_b64 s[58:59], s[56:57]
	s_xor_b64 s[56:57], exec, s[58:59]
	s_cbranch_execz .LBB47_6421
; %bb.6420:
	v_cvt_f64_f32_e32 v[4:5], v50
	flat_store_dwordx2 v[2:3], v[4:5]
                                        ; implicit-def: $vgpr2_vgpr3
                                        ; implicit-def: $vgpr50
.LBB47_6421:
	s_andn2_saveexec_b64 s[56:57], s[56:57]
	s_cbranch_execz .LBB47_6423
; %bb.6422:
	flat_store_dword v[2:3], v50
.LBB47_6423:
	s_or_b64 exec, exec, s[56:57]
                                        ; implicit-def: $vgpr50
                                        ; implicit-def: $vgpr2_vgpr3
.LBB47_6424:
	s_andn2_saveexec_b64 s[54:55], s[54:55]
	s_cbranch_execz .LBB47_6426
; %bb.6425:
	v_cvt_f16_f32_e32 v1, v50
	flat_store_short v[2:3], v1
.LBB47_6426:
	s_or_b64 exec, exec, s[54:55]
.LBB47_6427:
	s_or_b64 exec, exec, s[52:53]
                                        ; implicit-def: $vgpr50
                                        ; implicit-def: $vgpr2_vgpr3
.LBB47_6428:
	s_andn2_saveexec_b64 s[52:53], vcc
	s_cbranch_execz .LBB47_6446
; %bb.6429:
	v_mov_b32_e32 v1, 1
	v_cmp_gt_i16_sdwa vcc, v11, v1 src0_sel:BYTE_0 src1_sel:DWORD
	s_and_saveexec_b64 s[54:55], vcc
	s_xor_b64 s[54:55], exec, s[54:55]
	s_cbranch_execz .LBB47_6439
; %bb.6430:
	v_mov_b32_e32 v1, 2
	v_cmp_gt_i16_sdwa vcc, v11, v1 src0_sel:BYTE_0 src1_sel:DWORD
	s_and_saveexec_b64 s[56:57], vcc
	s_xor_b64 s[56:57], exec, s[56:57]
	;; [unrolled: 6-line block ×3, first 2 shown]
	s_cbranch_execz .LBB47_6433
; %bb.6432:
	v_trunc_f32_e32 v1, v50
	s_mov_b32 s60, 0x2f800000
	v_mul_f32_e64 v4, |v1|, s60
	v_floor_f32_e32 v4, v4
	s_mov_b32 s60, 0xcf800000
	v_cvt_u32_f32_e32 v5, v4
	v_fma_f32 v4, v4, s60, |v1|
	v_cvt_u32_f32_e32 v4, v4
	v_ashrrev_i32_e32 v1, 31, v1
	v_xor_b32_e32 v5, v5, v1
                                        ; implicit-def: $vgpr50
	v_xor_b32_e32 v4, v4, v1
	v_sub_co_u32_e32 v4, vcc, v4, v1
	v_subb_co_u32_e32 v5, vcc, v5, v1, vcc
	flat_store_dwordx2 v[2:3], v[4:5]
                                        ; implicit-def: $vgpr2_vgpr3
.LBB47_6433:
	s_andn2_saveexec_b64 vcc, s[58:59]
	s_cbranch_execz .LBB47_6435
; %bb.6434:
	v_cvt_i32_f32_e32 v1, v50
	flat_store_dword v[2:3], v1
.LBB47_6435:
	s_or_b64 exec, exec, vcc
                                        ; implicit-def: $vgpr50
                                        ; implicit-def: $vgpr2_vgpr3
.LBB47_6436:
	s_andn2_saveexec_b64 vcc, s[56:57]
	s_cbranch_execz .LBB47_6438
; %bb.6437:
	v_cvt_i32_f32_e32 v1, v50
	flat_store_short v[2:3], v1
.LBB47_6438:
	s_or_b64 exec, exec, vcc
                                        ; implicit-def: $vgpr50
                                        ; implicit-def: $vgpr2_vgpr3
.LBB47_6439:
	s_andn2_saveexec_b64 vcc, s[54:55]
	s_cbranch_execz .LBB47_6445
; %bb.6440:
	v_mov_b32_e32 v1, 0
	v_cmp_gt_i16_sdwa s[54:55], v11, v1 src0_sel:BYTE_0 src1_sel:DWORD
	s_and_saveexec_b64 s[56:57], s[54:55]
	s_xor_b64 s[54:55], exec, s[56:57]
	s_cbranch_execz .LBB47_6442
; %bb.6441:
	v_cvt_i32_f32_e32 v1, v50
                                        ; implicit-def: $vgpr50
	flat_store_byte v[2:3], v1
                                        ; implicit-def: $vgpr2_vgpr3
.LBB47_6442:
	s_andn2_saveexec_b64 s[54:55], s[54:55]
	s_cbranch_execz .LBB47_6444
; %bb.6443:
	v_trunc_f32_e32 v1, v50
	s_mov_b32 s56, 0x2f800000
	v_mul_f32_e64 v4, |v1|, s56
	v_floor_f32_e32 v4, v4
	s_mov_b32 s56, 0xcf800000
	v_fma_f32 v4, v4, s56, |v1|
	v_cvt_u32_f32_e32 v4, v4
	v_ashrrev_i32_e32 v1, 31, v1
	v_xor_b32_e32 v4, v4, v1
	v_sub_u32_e32 v1, v4, v1
	flat_store_byte v[2:3], v1
.LBB47_6444:
	s_or_b64 exec, exec, s[54:55]
.LBB47_6445:
	s_or_b64 exec, exec, vcc
.LBB47_6446:
	s_or_b64 exec, exec, s[52:53]
	s_or_b64 s[4:5], s[4:5], exec
	s_or_b64 exec, exec, s[46:47]
	s_mov_b64 vcc, 0
	s_and_saveexec_b64 s[46:47], s[4:5]
	s_cbranch_execnz .LBB47_3938
	s_branch .LBB47_3939
.LBB47_6447:
	v_bfe_u32 v1, v70, 21, 1
	s_mov_b32 s58, 0x88fffff
	v_add3_u32 v1, v70, v1, s58
	s_mov_b64 s[56:57], exec
	v_lshrrev_b32_e32 v1, 21, v1
	s_or_saveexec_b64 s[58:59], vcc
                                        ; implicit-def: $sgpr60
	s_xor_b64 exec, exec, s[58:59]
	s_cbranch_execz .LBB47_5612
.LBB47_6448:
	s_mov_b32 s60, 0x42800000
	v_add_f32_e64 v1, |v70|, s60
	v_and_b32_e32 v1, 0xff, v1
	v_cmp_ne_u32_e32 vcc, 0, v1
	s_andn2_b64 s[56:57], s[56:57], exec
	s_and_b64 vcc, vcc, exec
	s_mov_b32 s60, 0
	s_or_b64 s[56:57], s[56:57], vcc
	s_or_b64 exec, exec, s[58:59]
	v_mov_b32_e32 v4, s60
	s_and_saveexec_b64 vcc, s[56:57]
	s_cbranch_execnz .LBB47_5613
	s_branch .LBB47_5614
.LBB47_6449:
	v_bfe_u32 v1, v68, 20, 1
	s_mov_b32 s58, 0x487ffff
	v_add3_u32 v1, v68, v1, s58
	s_mov_b64 s[56:57], exec
	v_lshrrev_b32_e32 v1, 20, v1
	s_or_saveexec_b64 s[58:59], vcc
                                        ; implicit-def: $sgpr60
	s_xor_b64 exec, exec, s[58:59]
	s_cbranch_execz .LBB47_5725
.LBB47_6450:
	s_mov_b32 s60, 0x46000000
	v_add_f32_e64 v1, |v68|, s60
	v_and_b32_e32 v1, 0xff, v1
	v_cmp_ne_u32_e32 vcc, 0, v1
	s_andn2_b64 s[56:57], s[56:57], exec
	s_and_b64 vcc, vcc, exec
	s_mov_b32 s60, 0
	s_or_b64 s[56:57], s[56:57], vcc
	s_or_b64 exec, exec, s[58:59]
	v_mov_b32_e32 v4, s60
	s_and_saveexec_b64 vcc, s[56:57]
	s_cbranch_execnz .LBB47_5726
	s_branch .LBB47_5727
.LBB47_6451:
	v_mov_b32_e32 v1, 25
	v_cmp_gt_i16_sdwa vcc, v11, v1 src0_sel:BYTE_0 src1_sel:DWORD
	s_mov_b64 s[54:55], s[46:47]
	s_and_saveexec_b64 s[56:57], vcc
	s_xor_b64 s[56:57], exec, s[56:57]
	s_cbranch_execz .LBB47_6487
; %bb.6452:
	v_mov_b32_e32 v1, 28
	v_cmp_gt_i16_sdwa vcc, v11, v1 src0_sel:BYTE_0 src1_sel:DWORD
	s_mov_b64 s[58:59], s[46:47]
	s_and_saveexec_b64 s[54:55], vcc
	s_xor_b64 s[54:55], exec, s[54:55]
	s_cbranch_execz .LBB47_6470
; %bb.6453:
	v_mov_b32_e32 v1, 43
	v_cmp_gt_i16_sdwa s[58:59], v11, v1 src0_sel:BYTE_0 src1_sel:DWORD
	s_mov_b64 vcc, s[46:47]
	s_and_saveexec_b64 s[60:61], s[58:59]
	s_xor_b64 s[58:59], exec, s[60:61]
	s_cbranch_execz .LBB47_6465
; %bb.6454:
	v_mov_b32_e32 v1, 45
	v_cmp_gt_i16_sdwa s[4:5], v11, v1 src0_sel:BYTE_0 src1_sel:DWORD
	s_mov_b64 s[60:61], 0
	s_mov_b64 s[62:63], s[46:47]
	s_and_saveexec_b64 vcc, s[4:5]
	s_xor_b64 s[4:5], exec, vcc
	s_cbranch_execz .LBB47_6458
; %bb.6455:
	v_mov_b32_e32 v1, 46
	v_cmp_eq_u16_sdwa s[64:65], v11, v1 src0_sel:BYTE_0 src1_sel:DWORD
	s_mov_b64 vcc, -1
	s_and_saveexec_b64 s[62:63], s[64:65]
	s_cbranch_execz .LBB47_6457
; %bb.6456:
	v_bfe_u32 v1, v48, 16, 1
	s_movk_i32 vcc_lo, 0x7fff
	v_add3_u32 v1, v48, v1, vcc_lo
	v_lshrrev_b32_e32 v1, 16, v1
	v_mov_b32_e32 v4, 0x7fc0
	v_cmp_o_f32_e32 vcc, v48, v48
	v_cndmask_b32_e32 v1, v4, v1, vcc
	s_mov_b64 s[60:61], exec
	flat_store_dword v[2:3], v1
	s_xor_b64 vcc, exec, -1
.LBB47_6457:
	s_or_b64 exec, exec, s[62:63]
	s_andn2_b64 s[62:63], s[46:47], exec
	s_and_b64 vcc, vcc, exec
	s_or_b64 s[62:63], s[62:63], vcc
	s_and_b64 s[60:61], s[60:61], exec
                                        ; implicit-def: $vgpr2_vgpr3
                                        ; implicit-def: $vgpr48
.LBB47_6458:
	s_andn2_saveexec_b64 s[64:65], s[4:5]
	s_cbranch_execz .LBB47_6464
; %bb.6459:
	v_mov_b32_e32 v1, 44
	v_cmp_eq_u16_sdwa s[68:69], v11, v1 src0_sel:BYTE_0 src1_sel:DWORD
	s_mov_b64 vcc, -1
	s_mov_b64 s[4:5], s[60:61]
	s_and_saveexec_b64 s[66:67], s[68:69]
	s_cbranch_execz .LBB47_6463
; %bb.6460:
	v_bfe_u32 v1, v48, 23, 8
	s_movk_i32 s4, 0xff
	v_cmp_ne_u32_e32 vcc, s4, v1
	v_mov_b32_e32 v4, 0xff
	s_and_saveexec_b64 s[68:69], vcc
; %bb.6461:
	s_mov_b32 s4, 0x3fffff
	v_and_b32_e32 v5, 0x400000, v48
	v_and_or_b32 v1, v48, s4, v1
	v_cmp_ne_u32_e32 vcc, 0, v5
	v_cmp_ne_u32_e64 s[4:5], 0, v1
	s_and_b64 s[4:5], vcc, s[4:5]
	v_lshrrev_b32_e32 v4, 23, v48
	v_cndmask_b32_e64 v1, 0, 1, s[4:5]
	v_add_u32_e32 v4, v4, v1
; %bb.6462:
	s_or_b64 exec, exec, s[68:69]
	s_xor_b64 vcc, exec, -1
	s_or_b64 s[4:5], s[60:61], exec
	flat_store_byte v[2:3], v4
.LBB47_6463:
	s_or_b64 exec, exec, s[66:67]
	s_andn2_b64 s[62:63], s[62:63], exec
	s_and_b64 vcc, vcc, exec
	s_or_b64 s[62:63], s[62:63], vcc
	s_andn2_b64 vcc, s[60:61], exec
	s_and_b64 s[4:5], s[4:5], exec
	s_or_b64 s[60:61], vcc, s[4:5]
.LBB47_6464:
	s_or_b64 exec, exec, s[64:65]
	s_andn2_b64 s[4:5], s[46:47], exec
	s_and_b64 vcc, s[62:63], exec
	s_or_b64 vcc, s[4:5], vcc
	s_and_b64 s[4:5], s[60:61], exec
                                        ; implicit-def: $vgpr48
                                        ; implicit-def: $vgpr2_vgpr3
.LBB47_6465:
	s_andn2_saveexec_b64 s[58:59], s[58:59]
	s_cbranch_execz .LBB47_6469
; %bb.6466:
	v_mov_b32_e32 v1, 29
	v_cmp_eq_u16_sdwa s[66:67], v11, v1 src0_sel:BYTE_0 src1_sel:DWORD
	s_mov_b64 s[64:65], -1
	s_mov_b64 s[62:63], s[4:5]
	s_and_saveexec_b64 s[60:61], s[66:67]
	s_cbranch_execz .LBB47_6468
; %bb.6467:
	v_trunc_f32_e32 v1, v48
	v_mul_f32_e32 v4, 0x2f800000, v1
	v_floor_f32_e32 v4, v4
	v_fmac_f32_e32 v1, 0xcf800000, v4
	v_cvt_u32_f32_e32 v5, v4
	v_cvt_u32_f32_e32 v4, v1
	s_xor_b64 s[64:65], exec, -1
	s_or_b64 s[62:63], s[4:5], exec
	flat_store_dwordx2 v[2:3], v[4:5]
.LBB47_6468:
	s_or_b64 exec, exec, s[60:61]
	s_andn2_b64 vcc, vcc, exec
	s_and_b64 s[60:61], s[64:65], exec
	s_or_b64 vcc, vcc, s[60:61]
	s_andn2_b64 s[4:5], s[4:5], exec
	s_and_b64 s[60:61], s[62:63], exec
	s_or_b64 s[4:5], s[4:5], s[60:61]
.LBB47_6469:
	s_or_b64 exec, exec, s[58:59]
	s_andn2_b64 s[58:59], s[46:47], exec
	s_and_b64 vcc, vcc, exec
	s_or_b64 s[58:59], s[58:59], vcc
	s_and_b64 s[4:5], s[4:5], exec
                                        ; implicit-def: $vgpr2_vgpr3
                                        ; implicit-def: $vgpr48
.LBB47_6470:
	s_andn2_saveexec_b64 s[54:55], s[54:55]
	s_cbranch_execz .LBB47_6486
; %bb.6471:
	v_mov_b32_e32 v1, 26
	v_cmp_gt_i16_sdwa vcc, v11, v1 src0_sel:BYTE_0 src1_sel:DWORD
	s_and_saveexec_b64 s[60:61], vcc
	s_xor_b64 vcc, exec, s[60:61]
	s_cbranch_execz .LBB47_6477
; %bb.6472:
	v_cvt_u32_f32_e32 v1, v48
	v_mov_b32_e32 v4, 27
	v_cmp_gt_i16_sdwa s[60:61], v11, v4 src0_sel:BYTE_0 src1_sel:DWORD
	s_and_saveexec_b64 s[62:63], s[60:61]
	s_xor_b64 s[60:61], exec, s[62:63]
	s_cbranch_execz .LBB47_6474
; %bb.6473:
	flat_store_dword v[2:3], v1
                                        ; implicit-def: $vgpr2_vgpr3
                                        ; implicit-def: $vgpr1
.LBB47_6474:
	s_andn2_saveexec_b64 s[60:61], s[60:61]
	s_cbranch_execz .LBB47_6476
; %bb.6475:
	flat_store_short v[2:3], v1
.LBB47_6476:
	s_or_b64 exec, exec, s[60:61]
                                        ; implicit-def: $vgpr2_vgpr3
                                        ; implicit-def: $vgpr48
.LBB47_6477:
	s_andn2_saveexec_b64 s[60:61], vcc
	s_cbranch_execz .LBB47_6485
; %bb.6478:
	v_and_b32_e32 v1, 0x7fffffff, v48
	s_mov_b32 vcc_lo, 0x43800000
	v_cmp_gt_u32_e32 vcc, vcc_lo, v1
	v_mov_b32_e32 v4, 0x80
	s_and_saveexec_b64 s[62:63], vcc
	s_cbranch_execz .LBB47_6484
; %bb.6479:
	s_mov_b32 vcc_lo, 0x3bffffff
	v_cmp_lt_u32_e32 vcc, vcc_lo, v1
	s_mov_b64 s[64:65], 0
                                        ; implicit-def: $vgpr1
	s_and_saveexec_b64 s[66:67], vcc
	s_xor_b64 vcc, exec, s[66:67]
	s_cbranch_execnz .LBB47_7205
; %bb.6480:
	s_or_saveexec_b64 s[66:67], vcc
                                        ; implicit-def: $sgpr68
	s_xor_b64 exec, exec, s[66:67]
	s_cbranch_execnz .LBB47_7206
.LBB47_6481:
	s_or_b64 exec, exec, s[66:67]
	v_mov_b32_e32 v4, s68
	s_and_saveexec_b64 vcc, s[64:65]
.LBB47_6482:
	v_lshrrev_b32_e32 v4, 24, v48
	s_movk_i32 s64, 0x80
	v_and_or_b32 v4, v4, s64, v1
.LBB47_6483:
	s_or_b64 exec, exec, vcc
.LBB47_6484:
	s_or_b64 exec, exec, s[62:63]
	flat_store_byte v[2:3], v4
.LBB47_6485:
	s_or_b64 exec, exec, s[60:61]
	s_or_b64 s[4:5], s[4:5], exec
.LBB47_6486:
	s_or_b64 exec, exec, s[54:55]
	s_andn2_b64 vcc, s[46:47], exec
	s_and_b64 s[54:55], s[58:59], exec
	s_or_b64 s[54:55], vcc, s[54:55]
	s_and_b64 s[4:5], s[4:5], exec
                                        ; implicit-def: $vgpr48
                                        ; implicit-def: $vgpr2_vgpr3
.LBB47_6487:
	s_andn2_saveexec_b64 s[56:57], s[56:57]
	s_cbranch_execz .LBB47_6531
; %bb.6488:
	v_mov_b32_e32 v1, 22
	v_cmp_gt_i16_sdwa vcc, v11, v1 src0_sel:BYTE_0 src1_sel:DWORD
	s_mov_b64 s[60:61], s[4:5]
	s_and_saveexec_b64 s[58:59], vcc
	s_xor_b64 s[58:59], exec, s[58:59]
	s_cbranch_execz .LBB47_6520
; %bb.6489:
	v_mov_b32_e32 v1, 23
	v_cmp_gt_i16_sdwa vcc, v11, v1 src0_sel:BYTE_0 src1_sel:DWORD
	s_and_saveexec_b64 s[60:61], vcc
	s_xor_b64 s[60:61], exec, s[60:61]
	s_cbranch_execz .LBB47_6509
; %bb.6490:
	v_mov_b32_e32 v1, 24
	v_cmp_gt_i16_sdwa vcc, v11, v1 src0_sel:BYTE_0 src1_sel:DWORD
	s_and_saveexec_b64 s[62:63], vcc
	s_xor_b64 s[62:63], exec, s[62:63]
	s_cbranch_execz .LBB47_6498
; %bb.6491:
	v_and_b32_e32 v1, 0x7fffffff, v48
	s_mov_b32 vcc_lo, 0x47800000
	v_cmp_gt_u32_e32 vcc, vcc_lo, v1
	v_mov_b32_e32 v4, 0x80
	s_and_saveexec_b64 s[64:65], vcc
	s_cbranch_execz .LBB47_6497
; %bb.6492:
	s_mov_b32 vcc_lo, 0x37ffffff
	v_cmp_lt_u32_e32 vcc, vcc_lo, v1
	s_mov_b64 s[66:67], 0
                                        ; implicit-def: $vgpr1
	s_and_saveexec_b64 s[68:69], vcc
	s_xor_b64 vcc, exec, s[68:69]
	s_cbranch_execnz .LBB47_7329
; %bb.6493:
	s_or_saveexec_b64 s[68:69], vcc
                                        ; implicit-def: $sgpr70
	s_xor_b64 exec, exec, s[68:69]
	s_cbranch_execnz .LBB47_7330
.LBB47_6494:
	s_or_b64 exec, exec, s[68:69]
	v_mov_b32_e32 v4, s70
	s_and_saveexec_b64 vcc, s[66:67]
.LBB47_6495:
	v_lshrrev_b32_e32 v4, 24, v48
	s_movk_i32 s66, 0x80
	v_and_or_b32 v4, v4, s66, v1
.LBB47_6496:
	s_or_b64 exec, exec, vcc
.LBB47_6497:
	s_or_b64 exec, exec, s[64:65]
	flat_store_byte v[2:3], v4
                                        ; implicit-def: $vgpr48
                                        ; implicit-def: $vgpr2_vgpr3
.LBB47_6498:
	s_andn2_saveexec_b64 s[62:63], s[62:63]
	s_cbranch_execz .LBB47_6508
; %bb.6499:
	v_and_b32_e32 v4, 0x7fffffff, v48
	s_mov_b32 vcc_lo, 0x43f00000
	v_cmp_gt_u32_e32 vcc, vcc_lo, v4
                                        ; implicit-def: $vgpr1
	s_and_saveexec_b64 s[64:65], vcc
	s_xor_b64 s[64:65], exec, s[64:65]
	s_cbranch_execz .LBB47_6505
; %bb.6500:
	s_mov_b32 vcc_lo, 0x3c7fffff
	v_cmp_lt_u32_e32 vcc, vcc_lo, v4
                                        ; implicit-def: $vgpr1
	s_and_saveexec_b64 s[66:67], vcc
	s_xor_b64 s[66:67], exec, s[66:67]
; %bb.6501:
	v_bfe_u32 v1, v48, 20, 1
	s_mov_b32 vcc_lo, 0x407ffff
	v_add3_u32 v1, v48, v1, vcc_lo
	v_lshrrev_b32_e32 v4, 20, v1
	v_and_b32_e32 v1, 0xff00000, v1
	s_mov_b32 vcc_lo, 0x7f00000
	v_mov_b32_e32 v5, 0x7e
	v_cmp_ne_u32_e32 vcc, vcc_lo, v1
	v_cndmask_b32_e32 v1, v5, v4, vcc
; %bb.6502:
	s_andn2_saveexec_b64 vcc, s[66:67]
; %bb.6503:
	s_mov_b32 s66, 0x46800000
	v_add_f32_e64 v1, |v48|, s66
; %bb.6504:
	s_or_b64 exec, exec, vcc
                                        ; implicit-def: $vgpr4
.LBB47_6505:
	s_andn2_saveexec_b64 s[64:65], s[64:65]
; %bb.6506:
	s_mov_b32 vcc_lo, 0x7f800000
	v_mov_b32_e32 v1, 0x7e
	v_mov_b32_e32 v5, 0x7f
	v_cmp_lt_u32_e32 vcc, vcc_lo, v4
	v_cndmask_b32_e32 v1, v1, v5, vcc
; %bb.6507:
	s_or_b64 exec, exec, s[64:65]
	v_lshrrev_b32_e32 v4, 24, v48
	s_movk_i32 vcc_lo, 0x80
	v_and_or_b32 v1, v4, vcc_lo, v1
	flat_store_byte v[2:3], v1
.LBB47_6508:
	s_or_b64 exec, exec, s[62:63]
                                        ; implicit-def: $vgpr48
                                        ; implicit-def: $vgpr2_vgpr3
.LBB47_6509:
	s_andn2_saveexec_b64 s[60:61], s[60:61]
	s_cbranch_execz .LBB47_6519
; %bb.6510:
	v_and_b32_e32 v4, 0x7fffffff, v48
	s_mov_b32 vcc_lo, 0x47800000
	v_cmp_gt_u32_e32 vcc, vcc_lo, v4
                                        ; implicit-def: $vgpr1
	s_and_saveexec_b64 s[62:63], vcc
	s_xor_b64 s[62:63], exec, s[62:63]
	s_cbranch_execz .LBB47_6516
; %bb.6511:
	s_mov_b32 vcc_lo, 0x387fffff
	v_cmp_lt_u32_e32 vcc, vcc_lo, v4
                                        ; implicit-def: $vgpr1
	s_and_saveexec_b64 s[64:65], vcc
	s_xor_b64 vcc, exec, s[64:65]
; %bb.6512:
	v_bfe_u32 v1, v48, 21, 1
	s_mov_b32 s64, 0x80fffff
	v_add3_u32 v1, v48, v1, s64
	v_lshrrev_b32_e32 v1, 21, v1
; %bb.6513:
	s_andn2_saveexec_b64 vcc, vcc
; %bb.6514:
	s_mov_b32 s64, 0x43000000
	v_add_f32_e64 v1, |v48|, s64
; %bb.6515:
	s_or_b64 exec, exec, vcc
                                        ; implicit-def: $vgpr4
.LBB47_6516:
	s_andn2_saveexec_b64 s[62:63], s[62:63]
; %bb.6517:
	s_mov_b32 vcc_lo, 0x7f800000
	v_mov_b32_e32 v1, 0x7c
	v_mov_b32_e32 v5, 0x7f
	v_cmp_lt_u32_e32 vcc, vcc_lo, v4
	v_cndmask_b32_e32 v1, v1, v5, vcc
; %bb.6518:
	s_or_b64 exec, exec, s[62:63]
	v_lshrrev_b32_e32 v4, 24, v48
	s_movk_i32 vcc_lo, 0x80
	v_and_or_b32 v1, v4, vcc_lo, v1
	flat_store_byte v[2:3], v1
.LBB47_6519:
	s_or_b64 exec, exec, s[60:61]
	s_or_b64 s[60:61], s[4:5], exec
                                        ; implicit-def: $vgpr48
                                        ; implicit-def: $vgpr2_vgpr3
.LBB47_6520:
	s_or_saveexec_b64 s[58:59], s[58:59]
	s_mov_b64 vcc, s[54:55]
	s_xor_b64 exec, exec, s[58:59]
	s_cbranch_execz .LBB47_6530
; %bb.6521:
	v_mov_b32_e32 v1, 14
	v_cmp_gt_i16_sdwa vcc, v11, v1 src0_sel:BYTE_0 src1_sel:DWORD
	s_mov_b64 s[62:63], s[60:61]
	s_mov_b64 s[64:65], s[54:55]
	s_and_saveexec_b64 s[66:67], vcc
	s_xor_b64 s[66:67], exec, s[66:67]
	s_cbranch_execz .LBB47_6525
; %bb.6522:
	v_mov_b32_e32 v1, 15
	v_cmp_eq_u16_sdwa s[68:69], v11, v1 src0_sel:BYTE_0 src1_sel:DWORD
	s_mov_b64 s[64:65], -1
	s_mov_b64 vcc, s[60:61]
	s_and_saveexec_b64 s[62:63], s[68:69]
	s_cbranch_execz .LBB47_6524
; %bb.6523:
	v_bfe_u32 v1, v48, 16, 1
	s_movk_i32 vcc_lo, 0x7fff
	v_add3_u32 v1, v48, v1, vcc_lo
	v_lshrrev_b32_e32 v1, 16, v1
	v_mov_b32_e32 v4, 0x7fc0
	v_cmp_o_f32_e32 vcc, v48, v48
	v_cndmask_b32_e32 v1, v4, v1, vcc
	flat_store_short v[2:3], v1
	s_xor_b64 s[64:65], exec, -1
	s_or_b64 vcc, s[60:61], exec
.LBB47_6524:
	s_or_b64 exec, exec, s[62:63]
	s_andn2_b64 s[62:63], s[54:55], exec
	s_and_b64 s[64:65], s[64:65], exec
	s_or_b64 s[64:65], s[62:63], s[64:65]
	s_andn2_b64 s[62:63], s[60:61], exec
	s_and_b64 vcc, vcc, exec
	s_or_b64 s[62:63], s[62:63], vcc
                                        ; implicit-def: $vgpr48
                                        ; implicit-def: $vgpr2_vgpr3
.LBB47_6525:
	s_andn2_saveexec_b64 s[66:67], s[66:67]
	s_cbranch_execz .LBB47_6529
; %bb.6526:
	v_mov_b32_e32 v1, 11
	v_cmp_eq_u16_sdwa s[72:73], v11, v1 src0_sel:BYTE_0 src1_sel:DWORD
	s_mov_b64 s[68:69], -1
	s_mov_b64 vcc, s[62:63]
	s_and_saveexec_b64 s[70:71], s[72:73]
	s_cbranch_execz .LBB47_6528
; %bb.6527:
	v_cmp_neq_f32_e32 vcc, 0, v48
	v_cndmask_b32_e64 v1, 0, 1, vcc
	flat_store_byte v[2:3], v1
	s_xor_b64 s[68:69], exec, -1
	s_or_b64 vcc, s[62:63], exec
.LBB47_6528:
	s_or_b64 exec, exec, s[70:71]
	s_andn2_b64 s[64:65], s[64:65], exec
	s_and_b64 s[68:69], s[68:69], exec
	s_andn2_b64 s[62:63], s[62:63], exec
	s_and_b64 vcc, vcc, exec
	s_or_b64 s[64:65], s[64:65], s[68:69]
	s_or_b64 s[62:63], s[62:63], vcc
.LBB47_6529:
	s_or_b64 exec, exec, s[66:67]
	s_andn2_b64 vcc, s[54:55], exec
	s_and_b64 s[64:65], s[64:65], exec
	s_andn2_b64 s[60:61], s[60:61], exec
	s_and_b64 s[62:63], s[62:63], exec
	s_or_b64 vcc, vcc, s[64:65]
	s_or_b64 s[60:61], s[60:61], s[62:63]
.LBB47_6530:
	s_or_b64 exec, exec, s[58:59]
	s_andn2_b64 s[54:55], s[54:55], exec
	s_and_b64 vcc, vcc, exec
	s_or_b64 s[54:55], s[54:55], vcc
	s_andn2_b64 s[4:5], s[4:5], exec
	s_and_b64 vcc, s[60:61], exec
	s_or_b64 s[4:5], s[4:5], vcc
.LBB47_6531:
	s_or_b64 exec, exec, s[56:57]
	s_andn2_b64 vcc, s[46:47], exec
	s_and_b64 s[54:55], s[54:55], exec
	s_or_b64 s[54:55], vcc, s[54:55]
	s_and_b64 s[4:5], s[4:5], exec
                                        ; implicit-def: $vgpr48
                                        ; implicit-def: $vgpr2_vgpr3
	s_andn2_saveexec_b64 s[50:51], s[50:51]
	s_cbranch_execz .LBB47_3944
.LBB47_6532:
	v_mov_b32_e32 v1, 4
	v_cmp_gt_i16_sdwa vcc, v11, v1 src0_sel:BYTE_0 src1_sel:DWORD
	s_and_saveexec_b64 s[56:57], vcc
	s_xor_b64 vcc, exec, s[56:57]
	s_cbranch_execz .LBB47_6554
; %bb.6533:
	v_mov_b32_e32 v1, 7
	v_cmp_gt_i16_sdwa s[56:57], v11, v1 src0_sel:BYTE_0 src1_sel:DWORD
	s_and_saveexec_b64 s[58:59], s[56:57]
	s_xor_b64 s[56:57], exec, s[58:59]
	s_cbranch_execz .LBB47_6543
; %bb.6534:
	v_mov_b32_e32 v1, 8
	v_cmp_gt_i16_sdwa s[58:59], v11, v1 src0_sel:BYTE_0 src1_sel:DWORD
	s_and_saveexec_b64 s[60:61], s[58:59]
	s_xor_b64 s[58:59], exec, s[60:61]
	s_cbranch_execz .LBB47_6540
; %bb.6535:
	v_mov_b32_e32 v1, 9
	v_cmp_gt_i16_sdwa s[60:61], v11, v1 src0_sel:BYTE_0 src1_sel:DWORD
	s_and_saveexec_b64 s[62:63], s[60:61]
	s_xor_b64 s[60:61], exec, s[62:63]
	s_cbranch_execz .LBB47_6537
; %bb.6536:
	v_mov_b32_e32 v50, 0
	v_cvt_f64_f32_e32 v[48:49], v48
	v_mov_b32_e32 v51, v50
	flat_store_dwordx4 v[2:3], v[48:51]
                                        ; implicit-def: $vgpr48
                                        ; implicit-def: $vgpr2_vgpr3
.LBB47_6537:
	s_andn2_saveexec_b64 s[60:61], s[60:61]
	s_cbranch_execz .LBB47_6539
; %bb.6538:
	v_mov_b32_e32 v49, 0
	flat_store_dwordx2 v[2:3], v[48:49]
.LBB47_6539:
	s_or_b64 exec, exec, s[60:61]
                                        ; implicit-def: $vgpr48
                                        ; implicit-def: $vgpr2_vgpr3
.LBB47_6540:
	s_andn2_saveexec_b64 s[58:59], s[58:59]
	s_cbranch_execz .LBB47_6542
; %bb.6541:
	v_cvt_f16_f32_e32 v1, v48
	flat_store_dword v[2:3], v1
.LBB47_6542:
	s_or_b64 exec, exec, s[58:59]
                                        ; implicit-def: $vgpr48
                                        ; implicit-def: $vgpr2_vgpr3
.LBB47_6543:
	s_andn2_saveexec_b64 s[56:57], s[56:57]
	s_cbranch_execz .LBB47_6553
; %bb.6544:
	v_mov_b32_e32 v1, 5
	v_cmp_gt_i16_sdwa s[58:59], v11, v1 src0_sel:BYTE_0 src1_sel:DWORD
	s_and_saveexec_b64 s[60:61], s[58:59]
	s_xor_b64 s[58:59], exec, s[60:61]
	s_cbranch_execz .LBB47_6550
; %bb.6545:
	v_mov_b32_e32 v1, 6
	v_cmp_gt_i16_sdwa s[60:61], v11, v1 src0_sel:BYTE_0 src1_sel:DWORD
	s_and_saveexec_b64 s[62:63], s[60:61]
	s_xor_b64 s[60:61], exec, s[62:63]
	s_cbranch_execz .LBB47_6547
; %bb.6546:
	v_cvt_f64_f32_e32 v[4:5], v48
	flat_store_dwordx2 v[2:3], v[4:5]
                                        ; implicit-def: $vgpr2_vgpr3
                                        ; implicit-def: $vgpr48
.LBB47_6547:
	s_andn2_saveexec_b64 s[60:61], s[60:61]
	s_cbranch_execz .LBB47_6549
; %bb.6548:
	flat_store_dword v[2:3], v48
.LBB47_6549:
	s_or_b64 exec, exec, s[60:61]
                                        ; implicit-def: $vgpr48
                                        ; implicit-def: $vgpr2_vgpr3
.LBB47_6550:
	s_andn2_saveexec_b64 s[58:59], s[58:59]
	s_cbranch_execz .LBB47_6552
; %bb.6551:
	v_cvt_f16_f32_e32 v1, v48
	flat_store_short v[2:3], v1
.LBB47_6552:
	s_or_b64 exec, exec, s[58:59]
.LBB47_6553:
	s_or_b64 exec, exec, s[56:57]
                                        ; implicit-def: $vgpr48
                                        ; implicit-def: $vgpr2_vgpr3
.LBB47_6554:
	s_andn2_saveexec_b64 s[56:57], vcc
	s_cbranch_execz .LBB47_6572
; %bb.6555:
	v_mov_b32_e32 v1, 1
	v_cmp_gt_i16_sdwa vcc, v11, v1 src0_sel:BYTE_0 src1_sel:DWORD
	s_and_saveexec_b64 s[58:59], vcc
	s_xor_b64 s[58:59], exec, s[58:59]
	s_cbranch_execz .LBB47_6565
; %bb.6556:
	v_mov_b32_e32 v1, 2
	v_cmp_gt_i16_sdwa vcc, v11, v1 src0_sel:BYTE_0 src1_sel:DWORD
	s_and_saveexec_b64 s[60:61], vcc
	s_xor_b64 s[60:61], exec, s[60:61]
	;; [unrolled: 6-line block ×3, first 2 shown]
	s_cbranch_execz .LBB47_6559
; %bb.6558:
	v_trunc_f32_e32 v1, v48
	s_mov_b32 s64, 0x2f800000
	v_mul_f32_e64 v4, |v1|, s64
	v_floor_f32_e32 v4, v4
	s_mov_b32 s64, 0xcf800000
	v_cvt_u32_f32_e32 v5, v4
	v_fma_f32 v4, v4, s64, |v1|
	v_cvt_u32_f32_e32 v4, v4
	v_ashrrev_i32_e32 v1, 31, v1
	v_xor_b32_e32 v5, v5, v1
                                        ; implicit-def: $vgpr48
	v_xor_b32_e32 v4, v4, v1
	v_sub_co_u32_e32 v4, vcc, v4, v1
	v_subb_co_u32_e32 v5, vcc, v5, v1, vcc
	flat_store_dwordx2 v[2:3], v[4:5]
                                        ; implicit-def: $vgpr2_vgpr3
.LBB47_6559:
	s_andn2_saveexec_b64 vcc, s[62:63]
	s_cbranch_execz .LBB47_6561
; %bb.6560:
	v_cvt_i32_f32_e32 v1, v48
	flat_store_dword v[2:3], v1
.LBB47_6561:
	s_or_b64 exec, exec, vcc
                                        ; implicit-def: $vgpr48
                                        ; implicit-def: $vgpr2_vgpr3
.LBB47_6562:
	s_andn2_saveexec_b64 vcc, s[60:61]
	s_cbranch_execz .LBB47_6564
; %bb.6563:
	v_cvt_i32_f32_e32 v1, v48
	flat_store_short v[2:3], v1
.LBB47_6564:
	s_or_b64 exec, exec, vcc
                                        ; implicit-def: $vgpr48
                                        ; implicit-def: $vgpr2_vgpr3
.LBB47_6565:
	s_andn2_saveexec_b64 vcc, s[58:59]
	s_cbranch_execz .LBB47_6571
; %bb.6566:
	v_mov_b32_e32 v1, 0
	v_cmp_gt_i16_sdwa s[58:59], v11, v1 src0_sel:BYTE_0 src1_sel:DWORD
	s_and_saveexec_b64 s[60:61], s[58:59]
	s_xor_b64 s[58:59], exec, s[60:61]
	s_cbranch_execz .LBB47_6568
; %bb.6567:
	v_cvt_i32_f32_e32 v1, v48
                                        ; implicit-def: $vgpr48
	flat_store_byte v[2:3], v1
                                        ; implicit-def: $vgpr2_vgpr3
.LBB47_6568:
	s_andn2_saveexec_b64 s[58:59], s[58:59]
	s_cbranch_execz .LBB47_6570
; %bb.6569:
	v_trunc_f32_e32 v1, v48
	s_mov_b32 s60, 0x2f800000
	v_mul_f32_e64 v4, |v1|, s60
	v_floor_f32_e32 v4, v4
	s_mov_b32 s60, 0xcf800000
	v_fma_f32 v4, v4, s60, |v1|
	v_cvt_u32_f32_e32 v4, v4
	v_ashrrev_i32_e32 v1, 31, v1
	v_xor_b32_e32 v4, v4, v1
	v_sub_u32_e32 v1, v4, v1
	flat_store_byte v[2:3], v1
.LBB47_6570:
	s_or_b64 exec, exec, s[58:59]
.LBB47_6571:
	s_or_b64 exec, exec, vcc
.LBB47_6572:
	s_or_b64 exec, exec, s[56:57]
	s_or_b64 s[4:5], s[4:5], exec
	s_or_b64 exec, exec, s[50:51]
	s_mov_b64 vcc, 0
	s_and_saveexec_b64 s[50:51], s[4:5]
	s_cbranch_execnz .LBB47_3945
	s_branch .LBB47_3946
.LBB47_6573:
	v_bfe_u32 v1, v68, 21, 1
	s_mov_b32 s60, 0x88fffff
	v_add3_u32 v1, v68, v1, s60
	s_mov_b64 s[58:59], exec
	v_lshrrev_b32_e32 v1, 21, v1
	s_or_saveexec_b64 s[60:61], vcc
                                        ; implicit-def: $sgpr62
	s_xor_b64 exec, exec, s[60:61]
	s_cbranch_execz .LBB47_5738
.LBB47_6574:
	s_mov_b32 s62, 0x42800000
	v_add_f32_e64 v1, |v68|, s62
	v_and_b32_e32 v1, 0xff, v1
	v_cmp_ne_u32_e32 vcc, 0, v1
	s_andn2_b64 s[58:59], s[58:59], exec
	s_and_b64 vcc, vcc, exec
	s_mov_b32 s62, 0
	s_or_b64 s[58:59], s[58:59], vcc
	s_or_b64 exec, exec, s[60:61]
	v_mov_b32_e32 v4, s62
	s_and_saveexec_b64 vcc, s[58:59]
	s_cbranch_execnz .LBB47_5739
	s_branch .LBB47_5740
.LBB47_6575:
	v_bfe_u32 v1, v66, 20, 1
	s_mov_b32 s58, 0x487ffff
	v_add3_u32 v1, v66, v1, s58
	s_mov_b64 s[56:57], exec
	v_lshrrev_b32_e32 v1, 20, v1
	s_or_saveexec_b64 s[58:59], vcc
                                        ; implicit-def: $sgpr60
	s_xor_b64 exec, exec, s[58:59]
	s_cbranch_execz .LBB47_5851
.LBB47_6576:
	s_mov_b32 s60, 0x46000000
	v_add_f32_e64 v1, |v66|, s60
	v_and_b32_e32 v1, 0xff, v1
	v_cmp_ne_u32_e32 vcc, 0, v1
	s_andn2_b64 s[56:57], s[56:57], exec
	s_and_b64 vcc, vcc, exec
	s_mov_b32 s60, 0
	s_or_b64 s[56:57], s[56:57], vcc
	s_or_b64 exec, exec, s[58:59]
	v_mov_b32_e32 v4, s60
	s_and_saveexec_b64 vcc, s[56:57]
	s_cbranch_execnz .LBB47_5852
	s_branch .LBB47_5853
.LBB47_6577:
	v_mov_b32_e32 v1, 25
	v_cmp_gt_i16_sdwa vcc, v11, v1 src0_sel:BYTE_0 src1_sel:DWORD
	s_mov_b64 s[58:59], s[50:51]
	s_and_saveexec_b64 s[60:61], vcc
	s_xor_b64 s[60:61], exec, s[60:61]
	s_cbranch_execz .LBB47_6613
; %bb.6578:
	v_mov_b32_e32 v1, 28
	v_cmp_gt_i16_sdwa vcc, v11, v1 src0_sel:BYTE_0 src1_sel:DWORD
	s_mov_b64 s[62:63], s[50:51]
	s_and_saveexec_b64 s[58:59], vcc
	s_xor_b64 s[58:59], exec, s[58:59]
	s_cbranch_execz .LBB47_6596
; %bb.6579:
	v_mov_b32_e32 v1, 43
	v_cmp_gt_i16_sdwa s[62:63], v11, v1 src0_sel:BYTE_0 src1_sel:DWORD
	s_mov_b64 vcc, s[50:51]
	s_and_saveexec_b64 s[64:65], s[62:63]
	s_xor_b64 s[62:63], exec, s[64:65]
	s_cbranch_execz .LBB47_6591
; %bb.6580:
	v_mov_b32_e32 v1, 45
	v_cmp_gt_i16_sdwa s[4:5], v11, v1 src0_sel:BYTE_0 src1_sel:DWORD
	s_mov_b64 s[64:65], 0
	s_mov_b64 s[66:67], s[50:51]
	s_and_saveexec_b64 vcc, s[4:5]
	s_xor_b64 s[4:5], exec, vcc
	s_cbranch_execz .LBB47_6584
; %bb.6581:
	v_mov_b32_e32 v1, 46
	v_cmp_eq_u16_sdwa s[68:69], v11, v1 src0_sel:BYTE_0 src1_sel:DWORD
	s_mov_b64 vcc, -1
	s_and_saveexec_b64 s[66:67], s[68:69]
	s_cbranch_execz .LBB47_6583
; %bb.6582:
	v_bfe_u32 v1, v38, 16, 1
	s_movk_i32 vcc_lo, 0x7fff
	v_add3_u32 v1, v38, v1, vcc_lo
	v_lshrrev_b32_e32 v1, 16, v1
	v_mov_b32_e32 v4, 0x7fc0
	v_cmp_o_f32_e32 vcc, v38, v38
	v_cndmask_b32_e32 v1, v4, v1, vcc
	s_mov_b64 s[64:65], exec
	flat_store_dword v[2:3], v1
	s_xor_b64 vcc, exec, -1
.LBB47_6583:
	s_or_b64 exec, exec, s[66:67]
	s_andn2_b64 s[66:67], s[50:51], exec
	s_and_b64 vcc, vcc, exec
	s_or_b64 s[66:67], s[66:67], vcc
	s_and_b64 s[64:65], s[64:65], exec
                                        ; implicit-def: $vgpr2_vgpr3
                                        ; implicit-def: $vgpr38
.LBB47_6584:
	s_andn2_saveexec_b64 s[68:69], s[4:5]
	s_cbranch_execz .LBB47_6590
; %bb.6585:
	v_mov_b32_e32 v1, 44
	v_cmp_eq_u16_sdwa s[72:73], v11, v1 src0_sel:BYTE_0 src1_sel:DWORD
	s_mov_b64 vcc, -1
	s_mov_b64 s[4:5], s[64:65]
	s_and_saveexec_b64 s[70:71], s[72:73]
	s_cbranch_execz .LBB47_6589
; %bb.6586:
	v_bfe_u32 v1, v38, 23, 8
	s_movk_i32 s4, 0xff
	v_cmp_ne_u32_e32 vcc, s4, v1
	v_mov_b32_e32 v4, 0xff
	s_and_saveexec_b64 s[72:73], vcc
; %bb.6587:
	s_mov_b32 s4, 0x3fffff
	v_and_b32_e32 v5, 0x400000, v38
	v_and_or_b32 v1, v38, s4, v1
	v_cmp_ne_u32_e32 vcc, 0, v5
	v_cmp_ne_u32_e64 s[4:5], 0, v1
	s_and_b64 s[4:5], vcc, s[4:5]
	v_lshrrev_b32_e32 v4, 23, v38
	v_cndmask_b32_e64 v1, 0, 1, s[4:5]
	v_add_u32_e32 v4, v4, v1
; %bb.6588:
	s_or_b64 exec, exec, s[72:73]
	s_xor_b64 vcc, exec, -1
	s_or_b64 s[4:5], s[64:65], exec
	flat_store_byte v[2:3], v4
.LBB47_6589:
	s_or_b64 exec, exec, s[70:71]
	s_andn2_b64 s[66:67], s[66:67], exec
	s_and_b64 vcc, vcc, exec
	s_or_b64 s[66:67], s[66:67], vcc
	s_andn2_b64 vcc, s[64:65], exec
	s_and_b64 s[4:5], s[4:5], exec
	s_or_b64 s[64:65], vcc, s[4:5]
.LBB47_6590:
	s_or_b64 exec, exec, s[68:69]
	s_andn2_b64 s[4:5], s[50:51], exec
	s_and_b64 vcc, s[66:67], exec
	s_or_b64 vcc, s[4:5], vcc
	s_and_b64 s[4:5], s[64:65], exec
                                        ; implicit-def: $vgpr38
                                        ; implicit-def: $vgpr2_vgpr3
.LBB47_6591:
	s_andn2_saveexec_b64 s[62:63], s[62:63]
	s_cbranch_execz .LBB47_6595
; %bb.6592:
	v_mov_b32_e32 v1, 29
	v_cmp_eq_u16_sdwa s[70:71], v11, v1 src0_sel:BYTE_0 src1_sel:DWORD
	s_mov_b64 s[68:69], -1
	s_mov_b64 s[66:67], s[4:5]
	s_and_saveexec_b64 s[64:65], s[70:71]
	s_cbranch_execz .LBB47_6594
; %bb.6593:
	v_trunc_f32_e32 v1, v38
	v_mul_f32_e32 v4, 0x2f800000, v1
	v_floor_f32_e32 v4, v4
	v_fmac_f32_e32 v1, 0xcf800000, v4
	v_cvt_u32_f32_e32 v5, v4
	v_cvt_u32_f32_e32 v4, v1
	s_xor_b64 s[68:69], exec, -1
	s_or_b64 s[66:67], s[4:5], exec
	flat_store_dwordx2 v[2:3], v[4:5]
.LBB47_6594:
	s_or_b64 exec, exec, s[64:65]
	s_andn2_b64 vcc, vcc, exec
	s_and_b64 s[64:65], s[68:69], exec
	s_or_b64 vcc, vcc, s[64:65]
	s_andn2_b64 s[4:5], s[4:5], exec
	s_and_b64 s[64:65], s[66:67], exec
	s_or_b64 s[4:5], s[4:5], s[64:65]
.LBB47_6595:
	s_or_b64 exec, exec, s[62:63]
	s_andn2_b64 s[62:63], s[50:51], exec
	s_and_b64 vcc, vcc, exec
	s_or_b64 s[62:63], s[62:63], vcc
	s_and_b64 s[4:5], s[4:5], exec
                                        ; implicit-def: $vgpr2_vgpr3
                                        ; implicit-def: $vgpr38
.LBB47_6596:
	s_andn2_saveexec_b64 s[58:59], s[58:59]
	s_cbranch_execz .LBB47_6612
; %bb.6597:
	v_mov_b32_e32 v1, 26
	v_cmp_gt_i16_sdwa vcc, v11, v1 src0_sel:BYTE_0 src1_sel:DWORD
	s_and_saveexec_b64 s[64:65], vcc
	s_xor_b64 vcc, exec, s[64:65]
	s_cbranch_execz .LBB47_6603
; %bb.6598:
	v_cvt_u32_f32_e32 v1, v38
	v_mov_b32_e32 v4, 27
	v_cmp_gt_i16_sdwa s[64:65], v11, v4 src0_sel:BYTE_0 src1_sel:DWORD
	s_and_saveexec_b64 s[66:67], s[64:65]
	s_xor_b64 s[64:65], exec, s[66:67]
	s_cbranch_execz .LBB47_6600
; %bb.6599:
	flat_store_dword v[2:3], v1
                                        ; implicit-def: $vgpr2_vgpr3
                                        ; implicit-def: $vgpr1
.LBB47_6600:
	s_andn2_saveexec_b64 s[64:65], s[64:65]
	s_cbranch_execz .LBB47_6602
; %bb.6601:
	flat_store_short v[2:3], v1
.LBB47_6602:
	s_or_b64 exec, exec, s[64:65]
                                        ; implicit-def: $vgpr2_vgpr3
                                        ; implicit-def: $vgpr38
.LBB47_6603:
	s_andn2_saveexec_b64 s[64:65], vcc
	s_cbranch_execz .LBB47_6611
; %bb.6604:
	v_and_b32_e32 v1, 0x7fffffff, v38
	s_mov_b32 vcc_lo, 0x43800000
	v_cmp_gt_u32_e32 vcc, vcc_lo, v1
	v_mov_b32_e32 v4, 0x80
	s_and_saveexec_b64 s[66:67], vcc
	s_cbranch_execz .LBB47_6610
; %bb.6605:
	s_mov_b32 vcc_lo, 0x3bffffff
	v_cmp_lt_u32_e32 vcc, vcc_lo, v1
	s_mov_b64 s[68:69], 0
                                        ; implicit-def: $vgpr1
	s_and_saveexec_b64 s[70:71], vcc
	s_xor_b64 vcc, exec, s[70:71]
	s_cbranch_execnz .LBB47_7331
; %bb.6606:
	s_or_saveexec_b64 s[70:71], vcc
                                        ; implicit-def: $sgpr72
	s_xor_b64 exec, exec, s[70:71]
	s_cbranch_execnz .LBB47_7332
.LBB47_6607:
	s_or_b64 exec, exec, s[70:71]
	v_mov_b32_e32 v4, s72
	s_and_saveexec_b64 vcc, s[68:69]
.LBB47_6608:
	v_lshrrev_b32_e32 v4, 24, v38
	s_movk_i32 s68, 0x80
	v_and_or_b32 v4, v4, s68, v1
.LBB47_6609:
	s_or_b64 exec, exec, vcc
.LBB47_6610:
	s_or_b64 exec, exec, s[66:67]
	flat_store_byte v[2:3], v4
.LBB47_6611:
	s_or_b64 exec, exec, s[64:65]
	s_or_b64 s[4:5], s[4:5], exec
.LBB47_6612:
	s_or_b64 exec, exec, s[58:59]
	s_andn2_b64 vcc, s[50:51], exec
	s_and_b64 s[58:59], s[62:63], exec
	s_or_b64 s[58:59], vcc, s[58:59]
	s_and_b64 s[4:5], s[4:5], exec
                                        ; implicit-def: $vgpr38
                                        ; implicit-def: $vgpr2_vgpr3
.LBB47_6613:
	s_andn2_saveexec_b64 s[60:61], s[60:61]
	s_cbranch_execz .LBB47_6657
; %bb.6614:
	v_mov_b32_e32 v1, 22
	v_cmp_gt_i16_sdwa vcc, v11, v1 src0_sel:BYTE_0 src1_sel:DWORD
	s_mov_b64 s[64:65], s[4:5]
	s_and_saveexec_b64 s[62:63], vcc
	s_xor_b64 s[62:63], exec, s[62:63]
	s_cbranch_execz .LBB47_6646
; %bb.6615:
	v_mov_b32_e32 v1, 23
	v_cmp_gt_i16_sdwa vcc, v11, v1 src0_sel:BYTE_0 src1_sel:DWORD
	s_and_saveexec_b64 s[64:65], vcc
	s_xor_b64 s[64:65], exec, s[64:65]
	s_cbranch_execz .LBB47_6635
; %bb.6616:
	v_mov_b32_e32 v1, 24
	v_cmp_gt_i16_sdwa vcc, v11, v1 src0_sel:BYTE_0 src1_sel:DWORD
	s_and_saveexec_b64 s[66:67], vcc
	s_xor_b64 s[66:67], exec, s[66:67]
	s_cbranch_execz .LBB47_6624
; %bb.6617:
	v_and_b32_e32 v1, 0x7fffffff, v38
	s_mov_b32 vcc_lo, 0x47800000
	v_cmp_gt_u32_e32 vcc, vcc_lo, v1
	v_mov_b32_e32 v4, 0x80
	s_and_saveexec_b64 s[68:69], vcc
	s_cbranch_execz .LBB47_6623
; %bb.6618:
	s_mov_b32 vcc_lo, 0x37ffffff
	v_cmp_lt_u32_e32 vcc, vcc_lo, v1
	s_mov_b64 s[70:71], 0
                                        ; implicit-def: $vgpr1
	s_and_saveexec_b64 s[72:73], vcc
	s_xor_b64 vcc, exec, s[72:73]
	s_cbranch_execnz .LBB47_7455
; %bb.6619:
	s_or_saveexec_b64 s[72:73], vcc
                                        ; implicit-def: $sgpr74
	s_xor_b64 exec, exec, s[72:73]
	s_cbranch_execnz .LBB47_7456
.LBB47_6620:
	s_or_b64 exec, exec, s[72:73]
	v_mov_b32_e32 v4, s74
	s_and_saveexec_b64 vcc, s[70:71]
.LBB47_6621:
	v_lshrrev_b32_e32 v4, 24, v38
	s_movk_i32 s70, 0x80
	v_and_or_b32 v4, v4, s70, v1
.LBB47_6622:
	s_or_b64 exec, exec, vcc
.LBB47_6623:
	s_or_b64 exec, exec, s[68:69]
	flat_store_byte v[2:3], v4
                                        ; implicit-def: $vgpr38
                                        ; implicit-def: $vgpr2_vgpr3
.LBB47_6624:
	s_andn2_saveexec_b64 s[66:67], s[66:67]
	s_cbranch_execz .LBB47_6634
; %bb.6625:
	v_and_b32_e32 v4, 0x7fffffff, v38
	s_mov_b32 vcc_lo, 0x43f00000
	v_cmp_gt_u32_e32 vcc, vcc_lo, v4
                                        ; implicit-def: $vgpr1
	s_and_saveexec_b64 s[68:69], vcc
	s_xor_b64 s[68:69], exec, s[68:69]
	s_cbranch_execz .LBB47_6631
; %bb.6626:
	s_mov_b32 vcc_lo, 0x3c7fffff
	v_cmp_lt_u32_e32 vcc, vcc_lo, v4
                                        ; implicit-def: $vgpr1
	s_and_saveexec_b64 s[70:71], vcc
	s_xor_b64 s[70:71], exec, s[70:71]
; %bb.6627:
	v_bfe_u32 v1, v38, 20, 1
	s_mov_b32 vcc_lo, 0x407ffff
	v_add3_u32 v1, v38, v1, vcc_lo
	v_lshrrev_b32_e32 v4, 20, v1
	v_and_b32_e32 v1, 0xff00000, v1
	s_mov_b32 vcc_lo, 0x7f00000
	v_mov_b32_e32 v5, 0x7e
	v_cmp_ne_u32_e32 vcc, vcc_lo, v1
	v_cndmask_b32_e32 v1, v5, v4, vcc
; %bb.6628:
	s_andn2_saveexec_b64 vcc, s[70:71]
; %bb.6629:
	s_mov_b32 s70, 0x46800000
	v_add_f32_e64 v1, |v38|, s70
; %bb.6630:
	s_or_b64 exec, exec, vcc
                                        ; implicit-def: $vgpr4
.LBB47_6631:
	s_andn2_saveexec_b64 s[68:69], s[68:69]
; %bb.6632:
	s_mov_b32 vcc_lo, 0x7f800000
	v_mov_b32_e32 v1, 0x7e
	v_mov_b32_e32 v5, 0x7f
	v_cmp_lt_u32_e32 vcc, vcc_lo, v4
	v_cndmask_b32_e32 v1, v1, v5, vcc
; %bb.6633:
	s_or_b64 exec, exec, s[68:69]
	v_lshrrev_b32_e32 v4, 24, v38
	s_movk_i32 vcc_lo, 0x80
	v_and_or_b32 v1, v4, vcc_lo, v1
	flat_store_byte v[2:3], v1
.LBB47_6634:
	s_or_b64 exec, exec, s[66:67]
                                        ; implicit-def: $vgpr38
                                        ; implicit-def: $vgpr2_vgpr3
.LBB47_6635:
	s_andn2_saveexec_b64 s[64:65], s[64:65]
	s_cbranch_execz .LBB47_6645
; %bb.6636:
	v_and_b32_e32 v4, 0x7fffffff, v38
	s_mov_b32 vcc_lo, 0x47800000
	v_cmp_gt_u32_e32 vcc, vcc_lo, v4
                                        ; implicit-def: $vgpr1
	s_and_saveexec_b64 s[66:67], vcc
	s_xor_b64 s[66:67], exec, s[66:67]
	s_cbranch_execz .LBB47_6642
; %bb.6637:
	s_mov_b32 vcc_lo, 0x387fffff
	v_cmp_lt_u32_e32 vcc, vcc_lo, v4
                                        ; implicit-def: $vgpr1
	s_and_saveexec_b64 s[68:69], vcc
	s_xor_b64 vcc, exec, s[68:69]
; %bb.6638:
	v_bfe_u32 v1, v38, 21, 1
	s_mov_b32 s68, 0x80fffff
	v_add3_u32 v1, v38, v1, s68
	v_lshrrev_b32_e32 v1, 21, v1
; %bb.6639:
	s_andn2_saveexec_b64 vcc, vcc
; %bb.6640:
	s_mov_b32 s68, 0x43000000
	v_add_f32_e64 v1, |v38|, s68
; %bb.6641:
	s_or_b64 exec, exec, vcc
                                        ; implicit-def: $vgpr4
.LBB47_6642:
	s_andn2_saveexec_b64 s[66:67], s[66:67]
; %bb.6643:
	s_mov_b32 vcc_lo, 0x7f800000
	v_mov_b32_e32 v1, 0x7c
	v_mov_b32_e32 v5, 0x7f
	v_cmp_lt_u32_e32 vcc, vcc_lo, v4
	v_cndmask_b32_e32 v1, v1, v5, vcc
; %bb.6644:
	s_or_b64 exec, exec, s[66:67]
	v_lshrrev_b32_e32 v4, 24, v38
	s_movk_i32 vcc_lo, 0x80
	v_and_or_b32 v1, v4, vcc_lo, v1
	flat_store_byte v[2:3], v1
.LBB47_6645:
	s_or_b64 exec, exec, s[64:65]
	s_or_b64 s[64:65], s[4:5], exec
                                        ; implicit-def: $vgpr38
                                        ; implicit-def: $vgpr2_vgpr3
.LBB47_6646:
	s_or_saveexec_b64 s[62:63], s[62:63]
	s_mov_b64 vcc, s[58:59]
	s_xor_b64 exec, exec, s[62:63]
	s_cbranch_execz .LBB47_6656
; %bb.6647:
	v_mov_b32_e32 v1, 14
	v_cmp_gt_i16_sdwa vcc, v11, v1 src0_sel:BYTE_0 src1_sel:DWORD
	s_mov_b64 s[66:67], s[64:65]
	s_mov_b64 s[68:69], s[58:59]
	s_and_saveexec_b64 s[70:71], vcc
	s_xor_b64 s[70:71], exec, s[70:71]
	s_cbranch_execz .LBB47_6651
; %bb.6648:
	v_mov_b32_e32 v1, 15
	v_cmp_eq_u16_sdwa s[72:73], v11, v1 src0_sel:BYTE_0 src1_sel:DWORD
	s_mov_b64 s[68:69], -1
	s_mov_b64 vcc, s[64:65]
	s_and_saveexec_b64 s[66:67], s[72:73]
	s_cbranch_execz .LBB47_6650
; %bb.6649:
	v_bfe_u32 v1, v38, 16, 1
	s_movk_i32 vcc_lo, 0x7fff
	v_add3_u32 v1, v38, v1, vcc_lo
	v_lshrrev_b32_e32 v1, 16, v1
	v_mov_b32_e32 v4, 0x7fc0
	v_cmp_o_f32_e32 vcc, v38, v38
	v_cndmask_b32_e32 v1, v4, v1, vcc
	flat_store_short v[2:3], v1
	s_xor_b64 s[68:69], exec, -1
	s_or_b64 vcc, s[64:65], exec
.LBB47_6650:
	s_or_b64 exec, exec, s[66:67]
	s_andn2_b64 s[66:67], s[58:59], exec
	s_and_b64 s[68:69], s[68:69], exec
	s_or_b64 s[68:69], s[66:67], s[68:69]
	s_andn2_b64 s[66:67], s[64:65], exec
	s_and_b64 vcc, vcc, exec
	s_or_b64 s[66:67], s[66:67], vcc
                                        ; implicit-def: $vgpr38
                                        ; implicit-def: $vgpr2_vgpr3
.LBB47_6651:
	s_andn2_saveexec_b64 s[70:71], s[70:71]
	s_cbranch_execz .LBB47_6655
; %bb.6652:
	v_mov_b32_e32 v1, 11
	v_cmp_eq_u16_sdwa s[76:77], v11, v1 src0_sel:BYTE_0 src1_sel:DWORD
	s_mov_b64 s[72:73], -1
	s_mov_b64 vcc, s[66:67]
	s_and_saveexec_b64 s[74:75], s[76:77]
	s_cbranch_execz .LBB47_6654
; %bb.6653:
	v_cmp_neq_f32_e32 vcc, 0, v38
	v_cndmask_b32_e64 v1, 0, 1, vcc
	flat_store_byte v[2:3], v1
	s_xor_b64 s[72:73], exec, -1
	s_or_b64 vcc, s[66:67], exec
.LBB47_6654:
	s_or_b64 exec, exec, s[74:75]
	s_andn2_b64 s[68:69], s[68:69], exec
	s_and_b64 s[72:73], s[72:73], exec
	s_andn2_b64 s[66:67], s[66:67], exec
	s_and_b64 vcc, vcc, exec
	s_or_b64 s[68:69], s[68:69], s[72:73]
	s_or_b64 s[66:67], s[66:67], vcc
.LBB47_6655:
	s_or_b64 exec, exec, s[70:71]
	s_andn2_b64 vcc, s[58:59], exec
	s_and_b64 s[68:69], s[68:69], exec
	s_andn2_b64 s[64:65], s[64:65], exec
	s_and_b64 s[66:67], s[66:67], exec
	s_or_b64 vcc, vcc, s[68:69]
	s_or_b64 s[64:65], s[64:65], s[66:67]
.LBB47_6656:
	s_or_b64 exec, exec, s[62:63]
	s_andn2_b64 s[58:59], s[58:59], exec
	s_and_b64 vcc, vcc, exec
	s_or_b64 s[58:59], s[58:59], vcc
	s_andn2_b64 s[4:5], s[4:5], exec
	s_and_b64 vcc, s[64:65], exec
	s_or_b64 s[4:5], s[4:5], vcc
.LBB47_6657:
	s_or_b64 exec, exec, s[60:61]
	s_andn2_b64 vcc, s[50:51], exec
	s_and_b64 s[58:59], s[58:59], exec
	s_or_b64 s[58:59], vcc, s[58:59]
	s_and_b64 s[4:5], s[4:5], exec
                                        ; implicit-def: $vgpr38
                                        ; implicit-def: $vgpr2_vgpr3
	s_andn2_saveexec_b64 s[54:55], s[54:55]
	s_cbranch_execz .LBB47_3951
.LBB47_6658:
	v_mov_b32_e32 v1, 4
	v_cmp_gt_i16_sdwa vcc, v11, v1 src0_sel:BYTE_0 src1_sel:DWORD
	s_and_saveexec_b64 s[60:61], vcc
	s_xor_b64 vcc, exec, s[60:61]
	s_cbranch_execz .LBB47_6680
; %bb.6659:
	v_mov_b32_e32 v1, 7
	v_cmp_gt_i16_sdwa s[60:61], v11, v1 src0_sel:BYTE_0 src1_sel:DWORD
	s_and_saveexec_b64 s[62:63], s[60:61]
	s_xor_b64 s[60:61], exec, s[62:63]
	s_cbranch_execz .LBB47_6669
; %bb.6660:
	v_mov_b32_e32 v1, 8
	v_cmp_gt_i16_sdwa s[62:63], v11, v1 src0_sel:BYTE_0 src1_sel:DWORD
	s_and_saveexec_b64 s[64:65], s[62:63]
	s_xor_b64 s[62:63], exec, s[64:65]
	s_cbranch_execz .LBB47_6666
; %bb.6661:
	v_mov_b32_e32 v1, 9
	v_cmp_gt_i16_sdwa s[64:65], v11, v1 src0_sel:BYTE_0 src1_sel:DWORD
	s_and_saveexec_b64 s[66:67], s[64:65]
	s_xor_b64 s[64:65], exec, s[66:67]
	s_cbranch_execz .LBB47_6663
; %bb.6662:
	v_mov_b32_e32 v50, 0
	v_cvt_f64_f32_e32 v[48:49], v38
	v_mov_b32_e32 v51, v50
	flat_store_dwordx4 v[2:3], v[48:51]
                                        ; implicit-def: $vgpr38
                                        ; implicit-def: $vgpr2_vgpr3
.LBB47_6663:
	s_andn2_saveexec_b64 s[64:65], s[64:65]
	s_cbranch_execz .LBB47_6665
; %bb.6664:
	v_mov_b32_e32 v39, 0
	flat_store_dwordx2 v[2:3], v[38:39]
.LBB47_6665:
	s_or_b64 exec, exec, s[64:65]
                                        ; implicit-def: $vgpr38
                                        ; implicit-def: $vgpr2_vgpr3
.LBB47_6666:
	s_andn2_saveexec_b64 s[62:63], s[62:63]
	s_cbranch_execz .LBB47_6668
; %bb.6667:
	v_cvt_f16_f32_e32 v1, v38
	flat_store_dword v[2:3], v1
.LBB47_6668:
	s_or_b64 exec, exec, s[62:63]
                                        ; implicit-def: $vgpr38
                                        ; implicit-def: $vgpr2_vgpr3
.LBB47_6669:
	s_andn2_saveexec_b64 s[60:61], s[60:61]
	s_cbranch_execz .LBB47_6679
; %bb.6670:
	v_mov_b32_e32 v1, 5
	v_cmp_gt_i16_sdwa s[62:63], v11, v1 src0_sel:BYTE_0 src1_sel:DWORD
	s_and_saveexec_b64 s[64:65], s[62:63]
	s_xor_b64 s[62:63], exec, s[64:65]
	s_cbranch_execz .LBB47_6676
; %bb.6671:
	v_mov_b32_e32 v1, 6
	v_cmp_gt_i16_sdwa s[64:65], v11, v1 src0_sel:BYTE_0 src1_sel:DWORD
	s_and_saveexec_b64 s[66:67], s[64:65]
	s_xor_b64 s[64:65], exec, s[66:67]
	s_cbranch_execz .LBB47_6673
; %bb.6672:
	v_cvt_f64_f32_e32 v[4:5], v38
	flat_store_dwordx2 v[2:3], v[4:5]
                                        ; implicit-def: $vgpr2_vgpr3
                                        ; implicit-def: $vgpr38
.LBB47_6673:
	s_andn2_saveexec_b64 s[64:65], s[64:65]
	s_cbranch_execz .LBB47_6675
; %bb.6674:
	flat_store_dword v[2:3], v38
.LBB47_6675:
	s_or_b64 exec, exec, s[64:65]
                                        ; implicit-def: $vgpr38
                                        ; implicit-def: $vgpr2_vgpr3
.LBB47_6676:
	s_andn2_saveexec_b64 s[62:63], s[62:63]
	s_cbranch_execz .LBB47_6678
; %bb.6677:
	v_cvt_f16_f32_e32 v1, v38
	flat_store_short v[2:3], v1
.LBB47_6678:
	s_or_b64 exec, exec, s[62:63]
.LBB47_6679:
	s_or_b64 exec, exec, s[60:61]
                                        ; implicit-def: $vgpr38
                                        ; implicit-def: $vgpr2_vgpr3
.LBB47_6680:
	s_andn2_saveexec_b64 s[60:61], vcc
	s_cbranch_execz .LBB47_6698
; %bb.6681:
	v_mov_b32_e32 v1, 1
	v_cmp_gt_i16_sdwa vcc, v11, v1 src0_sel:BYTE_0 src1_sel:DWORD
	s_and_saveexec_b64 s[62:63], vcc
	s_xor_b64 s[62:63], exec, s[62:63]
	s_cbranch_execz .LBB47_6691
; %bb.6682:
	v_mov_b32_e32 v1, 2
	v_cmp_gt_i16_sdwa vcc, v11, v1 src0_sel:BYTE_0 src1_sel:DWORD
	s_and_saveexec_b64 s[64:65], vcc
	s_xor_b64 s[64:65], exec, s[64:65]
	;; [unrolled: 6-line block ×3, first 2 shown]
	s_cbranch_execz .LBB47_6685
; %bb.6684:
	v_trunc_f32_e32 v1, v38
	s_mov_b32 s68, 0x2f800000
	v_mul_f32_e64 v4, |v1|, s68
	v_floor_f32_e32 v4, v4
	s_mov_b32 s68, 0xcf800000
	v_cvt_u32_f32_e32 v5, v4
	v_fma_f32 v4, v4, s68, |v1|
	v_cvt_u32_f32_e32 v4, v4
	v_ashrrev_i32_e32 v1, 31, v1
	v_xor_b32_e32 v5, v5, v1
                                        ; implicit-def: $vgpr38
	v_xor_b32_e32 v4, v4, v1
	v_sub_co_u32_e32 v4, vcc, v4, v1
	v_subb_co_u32_e32 v5, vcc, v5, v1, vcc
	flat_store_dwordx2 v[2:3], v[4:5]
                                        ; implicit-def: $vgpr2_vgpr3
.LBB47_6685:
	s_andn2_saveexec_b64 vcc, s[66:67]
	s_cbranch_execz .LBB47_6687
; %bb.6686:
	v_cvt_i32_f32_e32 v1, v38
	flat_store_dword v[2:3], v1
.LBB47_6687:
	s_or_b64 exec, exec, vcc
                                        ; implicit-def: $vgpr38
                                        ; implicit-def: $vgpr2_vgpr3
.LBB47_6688:
	s_andn2_saveexec_b64 vcc, s[64:65]
	s_cbranch_execz .LBB47_6690
; %bb.6689:
	v_cvt_i32_f32_e32 v1, v38
	flat_store_short v[2:3], v1
.LBB47_6690:
	s_or_b64 exec, exec, vcc
                                        ; implicit-def: $vgpr38
                                        ; implicit-def: $vgpr2_vgpr3
.LBB47_6691:
	s_andn2_saveexec_b64 vcc, s[62:63]
	s_cbranch_execz .LBB47_6697
; %bb.6692:
	v_mov_b32_e32 v1, 0
	v_cmp_gt_i16_sdwa s[62:63], v11, v1 src0_sel:BYTE_0 src1_sel:DWORD
	s_and_saveexec_b64 s[64:65], s[62:63]
	s_xor_b64 s[62:63], exec, s[64:65]
	s_cbranch_execz .LBB47_6694
; %bb.6693:
	v_cvt_i32_f32_e32 v1, v38
                                        ; implicit-def: $vgpr38
	flat_store_byte v[2:3], v1
                                        ; implicit-def: $vgpr2_vgpr3
.LBB47_6694:
	s_andn2_saveexec_b64 s[62:63], s[62:63]
	s_cbranch_execz .LBB47_6696
; %bb.6695:
	v_trunc_f32_e32 v1, v38
	s_mov_b32 s64, 0x2f800000
	v_mul_f32_e64 v4, |v1|, s64
	v_floor_f32_e32 v4, v4
	s_mov_b32 s64, 0xcf800000
	v_fma_f32 v4, v4, s64, |v1|
	v_cvt_u32_f32_e32 v4, v4
	v_ashrrev_i32_e32 v1, 31, v1
	v_xor_b32_e32 v4, v4, v1
	v_sub_u32_e32 v1, v4, v1
	flat_store_byte v[2:3], v1
.LBB47_6696:
	s_or_b64 exec, exec, s[62:63]
.LBB47_6697:
	s_or_b64 exec, exec, vcc
.LBB47_6698:
	s_or_b64 exec, exec, s[60:61]
	s_or_b64 s[4:5], s[4:5], exec
	s_or_b64 exec, exec, s[54:55]
	s_mov_b64 vcc, 0
	s_and_saveexec_b64 s[54:55], s[4:5]
	s_cbranch_execnz .LBB47_3952
	s_branch .LBB47_3953
.LBB47_6699:
	v_bfe_u32 v1, v66, 21, 1
	s_mov_b32 s60, 0x88fffff
	v_add3_u32 v1, v66, v1, s60
	s_mov_b64 s[58:59], exec
	v_lshrrev_b32_e32 v1, 21, v1
	s_or_saveexec_b64 s[60:61], vcc
                                        ; implicit-def: $sgpr62
	s_xor_b64 exec, exec, s[60:61]
	s_cbranch_execz .LBB47_5864
.LBB47_6700:
	s_mov_b32 s62, 0x42800000
	v_add_f32_e64 v1, |v66|, s62
	v_and_b32_e32 v1, 0xff, v1
	v_cmp_ne_u32_e32 vcc, 0, v1
	s_andn2_b64 s[58:59], s[58:59], exec
	s_and_b64 vcc, vcc, exec
	s_mov_b32 s62, 0
	s_or_b64 s[58:59], s[58:59], vcc
	s_or_b64 exec, exec, s[60:61]
	v_mov_b32_e32 v4, s62
	s_and_saveexec_b64 vcc, s[58:59]
	s_cbranch_execnz .LBB47_5865
	s_branch .LBB47_5866
.LBB47_6701:
	v_bfe_u32 v1, v64, 20, 1
	s_mov_b32 s58, 0x487ffff
	v_add3_u32 v1, v64, v1, s58
	s_mov_b64 s[56:57], exec
	v_lshrrev_b32_e32 v1, 20, v1
	s_or_saveexec_b64 s[58:59], vcc
                                        ; implicit-def: $sgpr60
	s_xor_b64 exec, exec, s[58:59]
	s_cbranch_execz .LBB47_5977
.LBB47_6702:
	s_mov_b32 s60, 0x46000000
	v_add_f32_e64 v1, |v64|, s60
	v_and_b32_e32 v1, 0xff, v1
	v_cmp_ne_u32_e32 vcc, 0, v1
	s_andn2_b64 s[56:57], s[56:57], exec
	s_and_b64 vcc, vcc, exec
	s_mov_b32 s60, 0
	s_or_b64 s[56:57], s[56:57], vcc
	s_or_b64 exec, exec, s[58:59]
	v_mov_b32_e32 v4, s60
	s_and_saveexec_b64 vcc, s[56:57]
	s_cbranch_execnz .LBB47_5978
	s_branch .LBB47_5979
.LBB47_6703:
	v_mov_b32_e32 v1, 25
	v_cmp_gt_i16_sdwa vcc, v11, v1 src0_sel:BYTE_0 src1_sel:DWORD
	s_mov_b64 s[62:63], s[54:55]
	s_and_saveexec_b64 s[64:65], vcc
	s_xor_b64 s[64:65], exec, s[64:65]
	s_cbranch_execz .LBB47_6739
; %bb.6704:
	v_mov_b32_e32 v1, 28
	v_cmp_gt_i16_sdwa vcc, v11, v1 src0_sel:BYTE_0 src1_sel:DWORD
	s_mov_b64 s[66:67], s[54:55]
	s_and_saveexec_b64 s[62:63], vcc
	s_xor_b64 s[62:63], exec, s[62:63]
	s_cbranch_execz .LBB47_6722
; %bb.6705:
	v_mov_b32_e32 v1, 43
	v_cmp_gt_i16_sdwa s[66:67], v11, v1 src0_sel:BYTE_0 src1_sel:DWORD
	s_mov_b64 vcc, s[54:55]
	s_and_saveexec_b64 s[68:69], s[66:67]
	s_xor_b64 s[66:67], exec, s[68:69]
	s_cbranch_execz .LBB47_6717
; %bb.6706:
	v_mov_b32_e32 v1, 45
	v_cmp_gt_i16_sdwa s[4:5], v11, v1 src0_sel:BYTE_0 src1_sel:DWORD
	s_mov_b64 s[68:69], 0
	s_mov_b64 s[70:71], s[54:55]
	s_and_saveexec_b64 vcc, s[4:5]
	s_xor_b64 s[4:5], exec, vcc
	s_cbranch_execz .LBB47_6710
; %bb.6707:
	v_mov_b32_e32 v1, 46
	v_cmp_eq_u16_sdwa s[72:73], v11, v1 src0_sel:BYTE_0 src1_sel:DWORD
	s_mov_b64 vcc, -1
	s_and_saveexec_b64 s[70:71], s[72:73]
	s_cbranch_execz .LBB47_6709
; %bb.6708:
	v_bfe_u32 v1, v36, 16, 1
	s_movk_i32 vcc_lo, 0x7fff
	v_add3_u32 v1, v36, v1, vcc_lo
	v_lshrrev_b32_e32 v1, 16, v1
	v_mov_b32_e32 v4, 0x7fc0
	v_cmp_o_f32_e32 vcc, v36, v36
	v_cndmask_b32_e32 v1, v4, v1, vcc
	s_mov_b64 s[68:69], exec
	flat_store_dword v[2:3], v1
	s_xor_b64 vcc, exec, -1
.LBB47_6709:
	s_or_b64 exec, exec, s[70:71]
	s_andn2_b64 s[70:71], s[54:55], exec
	s_and_b64 vcc, vcc, exec
	s_or_b64 s[70:71], s[70:71], vcc
	s_and_b64 s[68:69], s[68:69], exec
                                        ; implicit-def: $vgpr2_vgpr3
                                        ; implicit-def: $vgpr36
.LBB47_6710:
	s_andn2_saveexec_b64 s[72:73], s[4:5]
	s_cbranch_execz .LBB47_6716
; %bb.6711:
	v_mov_b32_e32 v1, 44
	v_cmp_eq_u16_sdwa s[76:77], v11, v1 src0_sel:BYTE_0 src1_sel:DWORD
	s_mov_b64 vcc, -1
	s_mov_b64 s[4:5], s[68:69]
	s_and_saveexec_b64 s[74:75], s[76:77]
	s_cbranch_execz .LBB47_6715
; %bb.6712:
	v_bfe_u32 v1, v36, 23, 8
	s_movk_i32 s4, 0xff
	v_cmp_ne_u32_e32 vcc, s4, v1
	v_mov_b32_e32 v4, 0xff
	s_and_saveexec_b64 s[76:77], vcc
; %bb.6713:
	s_mov_b32 s4, 0x3fffff
	v_and_b32_e32 v5, 0x400000, v36
	v_and_or_b32 v1, v36, s4, v1
	v_cmp_ne_u32_e32 vcc, 0, v5
	v_cmp_ne_u32_e64 s[4:5], 0, v1
	s_and_b64 s[4:5], vcc, s[4:5]
	v_lshrrev_b32_e32 v4, 23, v36
	v_cndmask_b32_e64 v1, 0, 1, s[4:5]
	v_add_u32_e32 v4, v4, v1
; %bb.6714:
	s_or_b64 exec, exec, s[76:77]
	s_xor_b64 vcc, exec, -1
	s_or_b64 s[4:5], s[68:69], exec
	flat_store_byte v[2:3], v4
.LBB47_6715:
	s_or_b64 exec, exec, s[74:75]
	s_andn2_b64 s[70:71], s[70:71], exec
	s_and_b64 vcc, vcc, exec
	s_or_b64 s[70:71], s[70:71], vcc
	s_andn2_b64 vcc, s[68:69], exec
	s_and_b64 s[4:5], s[4:5], exec
	s_or_b64 s[68:69], vcc, s[4:5]
.LBB47_6716:
	s_or_b64 exec, exec, s[72:73]
	s_andn2_b64 s[4:5], s[54:55], exec
	s_and_b64 vcc, s[70:71], exec
	s_or_b64 vcc, s[4:5], vcc
	s_and_b64 s[4:5], s[68:69], exec
                                        ; implicit-def: $vgpr36
                                        ; implicit-def: $vgpr2_vgpr3
.LBB47_6717:
	s_andn2_saveexec_b64 s[66:67], s[66:67]
	s_cbranch_execz .LBB47_6721
; %bb.6718:
	v_mov_b32_e32 v1, 29
	v_cmp_eq_u16_sdwa s[74:75], v11, v1 src0_sel:BYTE_0 src1_sel:DWORD
	s_mov_b64 s[72:73], -1
	s_mov_b64 s[70:71], s[4:5]
	s_and_saveexec_b64 s[68:69], s[74:75]
	s_cbranch_execz .LBB47_6720
; %bb.6719:
	v_trunc_f32_e32 v1, v36
	v_mul_f32_e32 v4, 0x2f800000, v1
	v_floor_f32_e32 v4, v4
	v_fmac_f32_e32 v1, 0xcf800000, v4
	v_cvt_u32_f32_e32 v5, v4
	v_cvt_u32_f32_e32 v4, v1
	s_xor_b64 s[72:73], exec, -1
	s_or_b64 s[70:71], s[4:5], exec
	flat_store_dwordx2 v[2:3], v[4:5]
.LBB47_6720:
	s_or_b64 exec, exec, s[68:69]
	s_andn2_b64 vcc, vcc, exec
	s_and_b64 s[68:69], s[72:73], exec
	s_or_b64 vcc, vcc, s[68:69]
	s_andn2_b64 s[4:5], s[4:5], exec
	s_and_b64 s[68:69], s[70:71], exec
	s_or_b64 s[4:5], s[4:5], s[68:69]
.LBB47_6721:
	s_or_b64 exec, exec, s[66:67]
	s_andn2_b64 s[66:67], s[54:55], exec
	s_and_b64 vcc, vcc, exec
	s_or_b64 s[66:67], s[66:67], vcc
	s_and_b64 s[4:5], s[4:5], exec
                                        ; implicit-def: $vgpr2_vgpr3
                                        ; implicit-def: $vgpr36
.LBB47_6722:
	s_andn2_saveexec_b64 s[62:63], s[62:63]
	s_cbranch_execz .LBB47_6738
; %bb.6723:
	v_mov_b32_e32 v1, 26
	v_cmp_gt_i16_sdwa vcc, v11, v1 src0_sel:BYTE_0 src1_sel:DWORD
	s_and_saveexec_b64 s[68:69], vcc
	s_xor_b64 vcc, exec, s[68:69]
	s_cbranch_execz .LBB47_6729
; %bb.6724:
	v_cvt_u32_f32_e32 v1, v36
	v_mov_b32_e32 v4, 27
	v_cmp_gt_i16_sdwa s[68:69], v11, v4 src0_sel:BYTE_0 src1_sel:DWORD
	s_and_saveexec_b64 s[70:71], s[68:69]
	s_xor_b64 s[68:69], exec, s[70:71]
	s_cbranch_execz .LBB47_6726
; %bb.6725:
	flat_store_dword v[2:3], v1
                                        ; implicit-def: $vgpr2_vgpr3
                                        ; implicit-def: $vgpr1
.LBB47_6726:
	s_andn2_saveexec_b64 s[68:69], s[68:69]
	s_cbranch_execz .LBB47_6728
; %bb.6727:
	flat_store_short v[2:3], v1
.LBB47_6728:
	s_or_b64 exec, exec, s[68:69]
                                        ; implicit-def: $vgpr2_vgpr3
                                        ; implicit-def: $vgpr36
.LBB47_6729:
	s_andn2_saveexec_b64 s[68:69], vcc
	s_cbranch_execz .LBB47_6737
; %bb.6730:
	v_and_b32_e32 v1, 0x7fffffff, v36
	s_mov_b32 vcc_lo, 0x43800000
	v_cmp_gt_u32_e32 vcc, vcc_lo, v1
	v_mov_b32_e32 v4, 0x80
	s_and_saveexec_b64 s[70:71], vcc
	s_cbranch_execz .LBB47_6736
; %bb.6731:
	s_mov_b32 vcc_lo, 0x3bffffff
	v_cmp_lt_u32_e32 vcc, vcc_lo, v1
	s_mov_b64 s[72:73], 0
                                        ; implicit-def: $vgpr1
	s_and_saveexec_b64 s[74:75], vcc
	s_xor_b64 vcc, exec, s[74:75]
	s_cbranch_execnz .LBB47_7457
; %bb.6732:
	s_or_saveexec_b64 s[74:75], vcc
                                        ; implicit-def: $sgpr76
	s_xor_b64 exec, exec, s[74:75]
	s_cbranch_execnz .LBB47_7458
.LBB47_6733:
	s_or_b64 exec, exec, s[74:75]
	v_mov_b32_e32 v4, s76
	s_and_saveexec_b64 vcc, s[72:73]
.LBB47_6734:
	v_lshrrev_b32_e32 v4, 24, v36
	s_movk_i32 s72, 0x80
	v_and_or_b32 v4, v4, s72, v1
.LBB47_6735:
	s_or_b64 exec, exec, vcc
.LBB47_6736:
	s_or_b64 exec, exec, s[70:71]
	flat_store_byte v[2:3], v4
.LBB47_6737:
	s_or_b64 exec, exec, s[68:69]
	s_or_b64 s[4:5], s[4:5], exec
.LBB47_6738:
	s_or_b64 exec, exec, s[62:63]
	s_andn2_b64 vcc, s[54:55], exec
	s_and_b64 s[62:63], s[66:67], exec
	s_or_b64 s[62:63], vcc, s[62:63]
	s_and_b64 s[4:5], s[4:5], exec
                                        ; implicit-def: $vgpr36
                                        ; implicit-def: $vgpr2_vgpr3
.LBB47_6739:
	s_andn2_saveexec_b64 s[64:65], s[64:65]
	s_cbranch_execz .LBB47_6783
; %bb.6740:
	v_mov_b32_e32 v1, 22
	v_cmp_gt_i16_sdwa vcc, v11, v1 src0_sel:BYTE_0 src1_sel:DWORD
	s_mov_b64 s[68:69], s[4:5]
	s_and_saveexec_b64 s[66:67], vcc
	s_xor_b64 s[66:67], exec, s[66:67]
	s_cbranch_execz .LBB47_6772
; %bb.6741:
	v_mov_b32_e32 v1, 23
	v_cmp_gt_i16_sdwa vcc, v11, v1 src0_sel:BYTE_0 src1_sel:DWORD
	s_and_saveexec_b64 s[68:69], vcc
	s_xor_b64 s[68:69], exec, s[68:69]
	s_cbranch_execz .LBB47_6761
; %bb.6742:
	v_mov_b32_e32 v1, 24
	v_cmp_gt_i16_sdwa vcc, v11, v1 src0_sel:BYTE_0 src1_sel:DWORD
	s_and_saveexec_b64 s[70:71], vcc
	s_xor_b64 s[70:71], exec, s[70:71]
	s_cbranch_execz .LBB47_6750
; %bb.6743:
	v_and_b32_e32 v1, 0x7fffffff, v36
	s_mov_b32 vcc_lo, 0x47800000
	v_cmp_gt_u32_e32 vcc, vcc_lo, v1
	v_mov_b32_e32 v4, 0x80
	s_and_saveexec_b64 s[72:73], vcc
	s_cbranch_execz .LBB47_6749
; %bb.6744:
	s_mov_b32 vcc_lo, 0x37ffffff
	v_cmp_lt_u32_e32 vcc, vcc_lo, v1
	s_mov_b64 s[74:75], 0
                                        ; implicit-def: $vgpr1
	s_and_saveexec_b64 s[76:77], vcc
	s_xor_b64 vcc, exec, s[76:77]
	s_cbranch_execnz .LBB47_7581
; %bb.6745:
	s_or_saveexec_b64 s[76:77], vcc
                                        ; implicit-def: $sgpr78
	s_xor_b64 exec, exec, s[76:77]
	s_cbranch_execnz .LBB47_7582
.LBB47_6746:
	s_or_b64 exec, exec, s[76:77]
	v_mov_b32_e32 v4, s78
	s_and_saveexec_b64 vcc, s[74:75]
.LBB47_6747:
	v_lshrrev_b32_e32 v4, 24, v36
	s_movk_i32 s74, 0x80
	v_and_or_b32 v4, v4, s74, v1
.LBB47_6748:
	s_or_b64 exec, exec, vcc
.LBB47_6749:
	s_or_b64 exec, exec, s[72:73]
	flat_store_byte v[2:3], v4
                                        ; implicit-def: $vgpr36
                                        ; implicit-def: $vgpr2_vgpr3
.LBB47_6750:
	s_andn2_saveexec_b64 s[70:71], s[70:71]
	s_cbranch_execz .LBB47_6760
; %bb.6751:
	v_and_b32_e32 v4, 0x7fffffff, v36
	s_mov_b32 vcc_lo, 0x43f00000
	v_cmp_gt_u32_e32 vcc, vcc_lo, v4
                                        ; implicit-def: $vgpr1
	s_and_saveexec_b64 s[72:73], vcc
	s_xor_b64 s[72:73], exec, s[72:73]
	s_cbranch_execz .LBB47_6757
; %bb.6752:
	s_mov_b32 vcc_lo, 0x3c7fffff
	v_cmp_lt_u32_e32 vcc, vcc_lo, v4
                                        ; implicit-def: $vgpr1
	s_and_saveexec_b64 s[74:75], vcc
	s_xor_b64 s[74:75], exec, s[74:75]
; %bb.6753:
	v_bfe_u32 v1, v36, 20, 1
	s_mov_b32 vcc_lo, 0x407ffff
	v_add3_u32 v1, v36, v1, vcc_lo
	v_lshrrev_b32_e32 v4, 20, v1
	v_and_b32_e32 v1, 0xff00000, v1
	s_mov_b32 vcc_lo, 0x7f00000
	v_mov_b32_e32 v5, 0x7e
	v_cmp_ne_u32_e32 vcc, vcc_lo, v1
	v_cndmask_b32_e32 v1, v5, v4, vcc
; %bb.6754:
	s_andn2_saveexec_b64 vcc, s[74:75]
; %bb.6755:
	s_mov_b32 s74, 0x46800000
	v_add_f32_e64 v1, |v36|, s74
; %bb.6756:
	s_or_b64 exec, exec, vcc
                                        ; implicit-def: $vgpr4
.LBB47_6757:
	s_andn2_saveexec_b64 s[72:73], s[72:73]
; %bb.6758:
	s_mov_b32 vcc_lo, 0x7f800000
	v_mov_b32_e32 v1, 0x7e
	v_mov_b32_e32 v5, 0x7f
	v_cmp_lt_u32_e32 vcc, vcc_lo, v4
	v_cndmask_b32_e32 v1, v1, v5, vcc
; %bb.6759:
	s_or_b64 exec, exec, s[72:73]
	v_lshrrev_b32_e32 v4, 24, v36
	s_movk_i32 vcc_lo, 0x80
	v_and_or_b32 v1, v4, vcc_lo, v1
	flat_store_byte v[2:3], v1
.LBB47_6760:
	s_or_b64 exec, exec, s[70:71]
                                        ; implicit-def: $vgpr36
                                        ; implicit-def: $vgpr2_vgpr3
.LBB47_6761:
	s_andn2_saveexec_b64 s[68:69], s[68:69]
	s_cbranch_execz .LBB47_6771
; %bb.6762:
	v_and_b32_e32 v4, 0x7fffffff, v36
	s_mov_b32 vcc_lo, 0x47800000
	v_cmp_gt_u32_e32 vcc, vcc_lo, v4
                                        ; implicit-def: $vgpr1
	s_and_saveexec_b64 s[70:71], vcc
	s_xor_b64 s[70:71], exec, s[70:71]
	s_cbranch_execz .LBB47_6768
; %bb.6763:
	s_mov_b32 vcc_lo, 0x387fffff
	v_cmp_lt_u32_e32 vcc, vcc_lo, v4
                                        ; implicit-def: $vgpr1
	s_and_saveexec_b64 s[72:73], vcc
	s_xor_b64 vcc, exec, s[72:73]
; %bb.6764:
	v_bfe_u32 v1, v36, 21, 1
	s_mov_b32 s72, 0x80fffff
	v_add3_u32 v1, v36, v1, s72
	v_lshrrev_b32_e32 v1, 21, v1
; %bb.6765:
	s_andn2_saveexec_b64 vcc, vcc
; %bb.6766:
	s_mov_b32 s72, 0x43000000
	v_add_f32_e64 v1, |v36|, s72
; %bb.6767:
	s_or_b64 exec, exec, vcc
                                        ; implicit-def: $vgpr4
.LBB47_6768:
	s_andn2_saveexec_b64 s[70:71], s[70:71]
; %bb.6769:
	s_mov_b32 vcc_lo, 0x7f800000
	v_mov_b32_e32 v1, 0x7c
	v_mov_b32_e32 v5, 0x7f
	v_cmp_lt_u32_e32 vcc, vcc_lo, v4
	v_cndmask_b32_e32 v1, v1, v5, vcc
; %bb.6770:
	s_or_b64 exec, exec, s[70:71]
	v_lshrrev_b32_e32 v4, 24, v36
	s_movk_i32 vcc_lo, 0x80
	v_and_or_b32 v1, v4, vcc_lo, v1
	flat_store_byte v[2:3], v1
.LBB47_6771:
	s_or_b64 exec, exec, s[68:69]
	s_or_b64 s[68:69], s[4:5], exec
                                        ; implicit-def: $vgpr36
                                        ; implicit-def: $vgpr2_vgpr3
.LBB47_6772:
	s_or_saveexec_b64 s[66:67], s[66:67]
	s_mov_b64 vcc, s[62:63]
	s_xor_b64 exec, exec, s[66:67]
	s_cbranch_execz .LBB47_6782
; %bb.6773:
	v_mov_b32_e32 v1, 14
	v_cmp_gt_i16_sdwa vcc, v11, v1 src0_sel:BYTE_0 src1_sel:DWORD
	s_mov_b64 s[70:71], s[68:69]
	s_mov_b64 s[72:73], s[62:63]
	s_and_saveexec_b64 s[74:75], vcc
	s_xor_b64 s[74:75], exec, s[74:75]
	s_cbranch_execz .LBB47_6777
; %bb.6774:
	v_mov_b32_e32 v1, 15
	v_cmp_eq_u16_sdwa s[76:77], v11, v1 src0_sel:BYTE_0 src1_sel:DWORD
	s_mov_b64 s[72:73], -1
	s_mov_b64 vcc, s[68:69]
	s_and_saveexec_b64 s[70:71], s[76:77]
	s_cbranch_execz .LBB47_6776
; %bb.6775:
	v_bfe_u32 v1, v36, 16, 1
	s_movk_i32 vcc_lo, 0x7fff
	v_add3_u32 v1, v36, v1, vcc_lo
	v_lshrrev_b32_e32 v1, 16, v1
	v_mov_b32_e32 v4, 0x7fc0
	v_cmp_o_f32_e32 vcc, v36, v36
	v_cndmask_b32_e32 v1, v4, v1, vcc
	flat_store_short v[2:3], v1
	s_xor_b64 s[72:73], exec, -1
	s_or_b64 vcc, s[68:69], exec
.LBB47_6776:
	s_or_b64 exec, exec, s[70:71]
	s_andn2_b64 s[70:71], s[62:63], exec
	s_and_b64 s[72:73], s[72:73], exec
	s_or_b64 s[72:73], s[70:71], s[72:73]
	s_andn2_b64 s[70:71], s[68:69], exec
	s_and_b64 vcc, vcc, exec
	s_or_b64 s[70:71], s[70:71], vcc
                                        ; implicit-def: $vgpr36
                                        ; implicit-def: $vgpr2_vgpr3
.LBB47_6777:
	s_andn2_saveexec_b64 s[74:75], s[74:75]
	s_cbranch_execz .LBB47_6781
; %bb.6778:
	v_mov_b32_e32 v1, 11
	v_cmp_eq_u16_sdwa s[80:81], v11, v1 src0_sel:BYTE_0 src1_sel:DWORD
	s_mov_b64 s[76:77], -1
	s_mov_b64 vcc, s[70:71]
	s_and_saveexec_b64 s[78:79], s[80:81]
	s_cbranch_execz .LBB47_6780
; %bb.6779:
	v_cmp_neq_f32_e32 vcc, 0, v36
	v_cndmask_b32_e64 v1, 0, 1, vcc
	flat_store_byte v[2:3], v1
	s_xor_b64 s[76:77], exec, -1
	s_or_b64 vcc, s[70:71], exec
.LBB47_6780:
	s_or_b64 exec, exec, s[78:79]
	s_andn2_b64 s[72:73], s[72:73], exec
	s_and_b64 s[76:77], s[76:77], exec
	s_andn2_b64 s[70:71], s[70:71], exec
	s_and_b64 vcc, vcc, exec
	s_or_b64 s[72:73], s[72:73], s[76:77]
	s_or_b64 s[70:71], s[70:71], vcc
.LBB47_6781:
	s_or_b64 exec, exec, s[74:75]
	s_andn2_b64 vcc, s[62:63], exec
	s_and_b64 s[72:73], s[72:73], exec
	s_andn2_b64 s[68:69], s[68:69], exec
	s_and_b64 s[70:71], s[70:71], exec
	s_or_b64 vcc, vcc, s[72:73]
	s_or_b64 s[68:69], s[68:69], s[70:71]
.LBB47_6782:
	s_or_b64 exec, exec, s[66:67]
	s_andn2_b64 s[62:63], s[62:63], exec
	s_and_b64 vcc, vcc, exec
	s_or_b64 s[62:63], s[62:63], vcc
	s_andn2_b64 s[4:5], s[4:5], exec
	s_and_b64 vcc, s[68:69], exec
	s_or_b64 s[4:5], s[4:5], vcc
.LBB47_6783:
	s_or_b64 exec, exec, s[64:65]
	s_andn2_b64 vcc, s[54:55], exec
	s_and_b64 s[62:63], s[62:63], exec
	s_or_b64 s[62:63], vcc, s[62:63]
	s_and_b64 s[4:5], s[4:5], exec
                                        ; implicit-def: $vgpr36
                                        ; implicit-def: $vgpr2_vgpr3
	s_andn2_saveexec_b64 s[58:59], s[58:59]
	s_cbranch_execz .LBB47_3958
.LBB47_6784:
	v_mov_b32_e32 v1, 4
	v_cmp_gt_i16_sdwa vcc, v11, v1 src0_sel:BYTE_0 src1_sel:DWORD
	s_and_saveexec_b64 s[64:65], vcc
	s_xor_b64 vcc, exec, s[64:65]
	s_cbranch_execz .LBB47_6806
; %bb.6785:
	v_mov_b32_e32 v1, 7
	v_cmp_gt_i16_sdwa s[64:65], v11, v1 src0_sel:BYTE_0 src1_sel:DWORD
	s_and_saveexec_b64 s[66:67], s[64:65]
	s_xor_b64 s[64:65], exec, s[66:67]
	s_cbranch_execz .LBB47_6795
; %bb.6786:
	v_mov_b32_e32 v1, 8
	v_cmp_gt_i16_sdwa s[66:67], v11, v1 src0_sel:BYTE_0 src1_sel:DWORD
	s_and_saveexec_b64 s[68:69], s[66:67]
	s_xor_b64 s[66:67], exec, s[68:69]
	;; [unrolled: 6-line block ×3, first 2 shown]
	s_cbranch_execz .LBB47_6789
; %bb.6788:
	v_mov_b32_e32 v38, 0
	v_cvt_f64_f32_e32 v[36:37], v36
	v_mov_b32_e32 v39, v38
	flat_store_dwordx4 v[2:3], v[36:39]
                                        ; implicit-def: $vgpr36
                                        ; implicit-def: $vgpr2_vgpr3
.LBB47_6789:
	s_andn2_saveexec_b64 s[68:69], s[68:69]
	s_cbranch_execz .LBB47_6791
; %bb.6790:
	v_mov_b32_e32 v37, 0
	flat_store_dwordx2 v[2:3], v[36:37]
.LBB47_6791:
	s_or_b64 exec, exec, s[68:69]
                                        ; implicit-def: $vgpr36
                                        ; implicit-def: $vgpr2_vgpr3
.LBB47_6792:
	s_andn2_saveexec_b64 s[66:67], s[66:67]
	s_cbranch_execz .LBB47_6794
; %bb.6793:
	v_cvt_f16_f32_e32 v1, v36
	flat_store_dword v[2:3], v1
.LBB47_6794:
	s_or_b64 exec, exec, s[66:67]
                                        ; implicit-def: $vgpr36
                                        ; implicit-def: $vgpr2_vgpr3
.LBB47_6795:
	s_andn2_saveexec_b64 s[64:65], s[64:65]
	s_cbranch_execz .LBB47_6805
; %bb.6796:
	v_mov_b32_e32 v1, 5
	v_cmp_gt_i16_sdwa s[66:67], v11, v1 src0_sel:BYTE_0 src1_sel:DWORD
	s_and_saveexec_b64 s[68:69], s[66:67]
	s_xor_b64 s[66:67], exec, s[68:69]
	s_cbranch_execz .LBB47_6802
; %bb.6797:
	v_mov_b32_e32 v1, 6
	v_cmp_gt_i16_sdwa s[68:69], v11, v1 src0_sel:BYTE_0 src1_sel:DWORD
	s_and_saveexec_b64 s[70:71], s[68:69]
	s_xor_b64 s[68:69], exec, s[70:71]
	s_cbranch_execz .LBB47_6799
; %bb.6798:
	v_cvt_f64_f32_e32 v[4:5], v36
	flat_store_dwordx2 v[2:3], v[4:5]
                                        ; implicit-def: $vgpr2_vgpr3
                                        ; implicit-def: $vgpr36
.LBB47_6799:
	s_andn2_saveexec_b64 s[68:69], s[68:69]
	s_cbranch_execz .LBB47_6801
; %bb.6800:
	flat_store_dword v[2:3], v36
.LBB47_6801:
	s_or_b64 exec, exec, s[68:69]
                                        ; implicit-def: $vgpr36
                                        ; implicit-def: $vgpr2_vgpr3
.LBB47_6802:
	s_andn2_saveexec_b64 s[66:67], s[66:67]
	s_cbranch_execz .LBB47_6804
; %bb.6803:
	v_cvt_f16_f32_e32 v1, v36
	flat_store_short v[2:3], v1
.LBB47_6804:
	s_or_b64 exec, exec, s[66:67]
.LBB47_6805:
	s_or_b64 exec, exec, s[64:65]
                                        ; implicit-def: $vgpr36
                                        ; implicit-def: $vgpr2_vgpr3
.LBB47_6806:
	s_andn2_saveexec_b64 s[64:65], vcc
	s_cbranch_execz .LBB47_6824
; %bb.6807:
	v_mov_b32_e32 v1, 1
	v_cmp_gt_i16_sdwa vcc, v11, v1 src0_sel:BYTE_0 src1_sel:DWORD
	s_and_saveexec_b64 s[66:67], vcc
	s_xor_b64 s[66:67], exec, s[66:67]
	s_cbranch_execz .LBB47_6817
; %bb.6808:
	v_mov_b32_e32 v1, 2
	v_cmp_gt_i16_sdwa vcc, v11, v1 src0_sel:BYTE_0 src1_sel:DWORD
	s_and_saveexec_b64 s[68:69], vcc
	s_xor_b64 s[68:69], exec, s[68:69]
	;; [unrolled: 6-line block ×3, first 2 shown]
	s_cbranch_execz .LBB47_6811
; %bb.6810:
	v_trunc_f32_e32 v1, v36
	s_mov_b32 s72, 0x2f800000
	v_mul_f32_e64 v4, |v1|, s72
	v_floor_f32_e32 v4, v4
	s_mov_b32 s72, 0xcf800000
	v_cvt_u32_f32_e32 v5, v4
	v_fma_f32 v4, v4, s72, |v1|
	v_cvt_u32_f32_e32 v4, v4
	v_ashrrev_i32_e32 v1, 31, v1
	v_xor_b32_e32 v5, v5, v1
                                        ; implicit-def: $vgpr36
	v_xor_b32_e32 v4, v4, v1
	v_sub_co_u32_e32 v4, vcc, v4, v1
	v_subb_co_u32_e32 v5, vcc, v5, v1, vcc
	flat_store_dwordx2 v[2:3], v[4:5]
                                        ; implicit-def: $vgpr2_vgpr3
.LBB47_6811:
	s_andn2_saveexec_b64 vcc, s[70:71]
	s_cbranch_execz .LBB47_6813
; %bb.6812:
	v_cvt_i32_f32_e32 v1, v36
	flat_store_dword v[2:3], v1
.LBB47_6813:
	s_or_b64 exec, exec, vcc
                                        ; implicit-def: $vgpr36
                                        ; implicit-def: $vgpr2_vgpr3
.LBB47_6814:
	s_andn2_saveexec_b64 vcc, s[68:69]
	s_cbranch_execz .LBB47_6816
; %bb.6815:
	v_cvt_i32_f32_e32 v1, v36
	flat_store_short v[2:3], v1
.LBB47_6816:
	s_or_b64 exec, exec, vcc
                                        ; implicit-def: $vgpr36
                                        ; implicit-def: $vgpr2_vgpr3
.LBB47_6817:
	s_andn2_saveexec_b64 vcc, s[66:67]
	s_cbranch_execz .LBB47_6823
; %bb.6818:
	v_mov_b32_e32 v1, 0
	v_cmp_gt_i16_sdwa s[66:67], v11, v1 src0_sel:BYTE_0 src1_sel:DWORD
	s_and_saveexec_b64 s[68:69], s[66:67]
	s_xor_b64 s[66:67], exec, s[68:69]
	s_cbranch_execz .LBB47_6820
; %bb.6819:
	v_cvt_i32_f32_e32 v1, v36
                                        ; implicit-def: $vgpr36
	flat_store_byte v[2:3], v1
                                        ; implicit-def: $vgpr2_vgpr3
.LBB47_6820:
	s_andn2_saveexec_b64 s[66:67], s[66:67]
	s_cbranch_execz .LBB47_6822
; %bb.6821:
	v_trunc_f32_e32 v1, v36
	s_mov_b32 s68, 0x2f800000
	v_mul_f32_e64 v4, |v1|, s68
	v_floor_f32_e32 v4, v4
	s_mov_b32 s68, 0xcf800000
	v_fma_f32 v4, v4, s68, |v1|
	v_cvt_u32_f32_e32 v4, v4
	v_ashrrev_i32_e32 v1, 31, v1
	v_xor_b32_e32 v4, v4, v1
	v_sub_u32_e32 v1, v4, v1
	flat_store_byte v[2:3], v1
.LBB47_6822:
	s_or_b64 exec, exec, s[66:67]
.LBB47_6823:
	s_or_b64 exec, exec, vcc
.LBB47_6824:
	s_or_b64 exec, exec, s[64:65]
	s_or_b64 s[4:5], s[4:5], exec
	s_or_b64 exec, exec, s[58:59]
	s_mov_b64 vcc, 0
	s_and_saveexec_b64 s[58:59], s[4:5]
	s_cbranch_execnz .LBB47_3959
	s_branch .LBB47_3960
.LBB47_6825:
	v_bfe_u32 v1, v64, 21, 1
	s_mov_b32 s60, 0x88fffff
	v_add3_u32 v1, v64, v1, s60
	s_mov_b64 s[58:59], exec
	v_lshrrev_b32_e32 v1, 21, v1
	s_or_saveexec_b64 s[60:61], vcc
                                        ; implicit-def: $sgpr62
	s_xor_b64 exec, exec, s[60:61]
	s_cbranch_execz .LBB47_5990
.LBB47_6826:
	s_mov_b32 s62, 0x42800000
	v_add_f32_e64 v1, |v64|, s62
	v_and_b32_e32 v1, 0xff, v1
	v_cmp_ne_u32_e32 vcc, 0, v1
	s_andn2_b64 s[58:59], s[58:59], exec
	s_and_b64 vcc, vcc, exec
	s_mov_b32 s62, 0
	s_or_b64 s[58:59], s[58:59], vcc
	s_or_b64 exec, exec, s[60:61]
	v_mov_b32_e32 v4, s62
	s_and_saveexec_b64 vcc, s[58:59]
	s_cbranch_execnz .LBB47_5991
	s_branch .LBB47_5992
.LBB47_6827:
	v_bfe_u32 v1, v54, 20, 1
	s_mov_b32 s58, 0x487ffff
	v_add3_u32 v1, v54, v1, s58
	s_mov_b64 s[56:57], exec
	v_lshrrev_b32_e32 v1, 20, v1
	s_or_saveexec_b64 s[58:59], vcc
                                        ; implicit-def: $sgpr60
	s_xor_b64 exec, exec, s[58:59]
	s_cbranch_execz .LBB47_6103
.LBB47_6828:
	s_mov_b32 s60, 0x46000000
	v_add_f32_e64 v1, |v54|, s60
	v_and_b32_e32 v1, 0xff, v1
	v_cmp_ne_u32_e32 vcc, 0, v1
	s_andn2_b64 s[56:57], s[56:57], exec
	s_and_b64 vcc, vcc, exec
	s_mov_b32 s60, 0
	s_or_b64 s[56:57], s[56:57], vcc
	s_or_b64 exec, exec, s[58:59]
	v_mov_b32_e32 v4, s60
	s_and_saveexec_b64 vcc, s[56:57]
	s_cbranch_execnz .LBB47_6104
	s_branch .LBB47_6105
.LBB47_6829:
	v_mov_b32_e32 v1, 25
	v_cmp_gt_i16_sdwa vcc, v11, v1 src0_sel:BYTE_0 src1_sel:DWORD
	s_mov_b64 s[66:67], s[58:59]
	s_and_saveexec_b64 s[68:69], vcc
	s_xor_b64 s[68:69], exec, s[68:69]
	s_cbranch_execz .LBB47_6865
; %bb.6830:
	v_mov_b32_e32 v1, 28
	v_cmp_gt_i16_sdwa vcc, v11, v1 src0_sel:BYTE_0 src1_sel:DWORD
	s_mov_b64 s[70:71], s[58:59]
	s_and_saveexec_b64 s[66:67], vcc
	s_xor_b64 s[66:67], exec, s[66:67]
	s_cbranch_execz .LBB47_6848
; %bb.6831:
	v_mov_b32_e32 v1, 43
	v_cmp_gt_i16_sdwa s[70:71], v11, v1 src0_sel:BYTE_0 src1_sel:DWORD
	s_mov_b64 vcc, s[58:59]
	s_and_saveexec_b64 s[72:73], s[70:71]
	s_xor_b64 s[70:71], exec, s[72:73]
	s_cbranch_execz .LBB47_6843
; %bb.6832:
	v_mov_b32_e32 v1, 45
	v_cmp_gt_i16_sdwa s[4:5], v11, v1 src0_sel:BYTE_0 src1_sel:DWORD
	s_mov_b64 s[72:73], 0
	s_mov_b64 s[74:75], s[58:59]
	s_and_saveexec_b64 vcc, s[4:5]
	s_xor_b64 s[4:5], exec, vcc
	s_cbranch_execz .LBB47_6836
; %bb.6833:
	v_mov_b32_e32 v1, 46
	v_cmp_eq_u16_sdwa s[76:77], v11, v1 src0_sel:BYTE_0 src1_sel:DWORD
	s_mov_b64 vcc, -1
	s_and_saveexec_b64 s[74:75], s[76:77]
	s_cbranch_execz .LBB47_6835
; %bb.6834:
	v_bfe_u32 v1, v34, 16, 1
	s_movk_i32 vcc_lo, 0x7fff
	v_add3_u32 v1, v34, v1, vcc_lo
	v_lshrrev_b32_e32 v1, 16, v1
	v_mov_b32_e32 v4, 0x7fc0
	v_cmp_o_f32_e32 vcc, v34, v34
	v_cndmask_b32_e32 v1, v4, v1, vcc
	s_mov_b64 s[72:73], exec
	flat_store_dword v[2:3], v1
	s_xor_b64 vcc, exec, -1
.LBB47_6835:
	s_or_b64 exec, exec, s[74:75]
	s_andn2_b64 s[74:75], s[58:59], exec
	s_and_b64 vcc, vcc, exec
	s_or_b64 s[74:75], s[74:75], vcc
	s_and_b64 s[72:73], s[72:73], exec
                                        ; implicit-def: $vgpr2_vgpr3
                                        ; implicit-def: $vgpr34
.LBB47_6836:
	s_andn2_saveexec_b64 s[76:77], s[4:5]
	s_cbranch_execz .LBB47_6842
; %bb.6837:
	v_mov_b32_e32 v1, 44
	v_cmp_eq_u16_sdwa s[80:81], v11, v1 src0_sel:BYTE_0 src1_sel:DWORD
	s_mov_b64 vcc, -1
	s_mov_b64 s[4:5], s[72:73]
	s_and_saveexec_b64 s[78:79], s[80:81]
	s_cbranch_execz .LBB47_6841
; %bb.6838:
	v_bfe_u32 v1, v34, 23, 8
	s_movk_i32 s4, 0xff
	v_cmp_ne_u32_e32 vcc, s4, v1
	v_mov_b32_e32 v4, 0xff
	s_and_saveexec_b64 s[80:81], vcc
; %bb.6839:
	s_mov_b32 s4, 0x3fffff
	v_and_b32_e32 v5, 0x400000, v34
	v_and_or_b32 v1, v34, s4, v1
	v_cmp_ne_u32_e32 vcc, 0, v5
	v_cmp_ne_u32_e64 s[4:5], 0, v1
	s_and_b64 s[4:5], vcc, s[4:5]
	v_lshrrev_b32_e32 v4, 23, v34
	v_cndmask_b32_e64 v1, 0, 1, s[4:5]
	v_add_u32_e32 v4, v4, v1
; %bb.6840:
	s_or_b64 exec, exec, s[80:81]
	s_xor_b64 vcc, exec, -1
	s_or_b64 s[4:5], s[72:73], exec
	flat_store_byte v[2:3], v4
.LBB47_6841:
	s_or_b64 exec, exec, s[78:79]
	s_andn2_b64 s[74:75], s[74:75], exec
	s_and_b64 vcc, vcc, exec
	s_or_b64 s[74:75], s[74:75], vcc
	s_andn2_b64 vcc, s[72:73], exec
	s_and_b64 s[4:5], s[4:5], exec
	s_or_b64 s[72:73], vcc, s[4:5]
.LBB47_6842:
	s_or_b64 exec, exec, s[76:77]
	s_andn2_b64 s[4:5], s[58:59], exec
	s_and_b64 vcc, s[74:75], exec
	s_or_b64 vcc, s[4:5], vcc
	s_and_b64 s[4:5], s[72:73], exec
                                        ; implicit-def: $vgpr34
                                        ; implicit-def: $vgpr2_vgpr3
.LBB47_6843:
	s_andn2_saveexec_b64 s[70:71], s[70:71]
	s_cbranch_execz .LBB47_6847
; %bb.6844:
	v_mov_b32_e32 v1, 29
	v_cmp_eq_u16_sdwa s[78:79], v11, v1 src0_sel:BYTE_0 src1_sel:DWORD
	s_mov_b64 s[76:77], -1
	s_mov_b64 s[74:75], s[4:5]
	s_and_saveexec_b64 s[72:73], s[78:79]
	s_cbranch_execz .LBB47_6846
; %bb.6845:
	v_trunc_f32_e32 v1, v34
	v_mul_f32_e32 v4, 0x2f800000, v1
	v_floor_f32_e32 v4, v4
	v_fmac_f32_e32 v1, 0xcf800000, v4
	v_cvt_u32_f32_e32 v5, v4
	v_cvt_u32_f32_e32 v4, v1
	s_xor_b64 s[76:77], exec, -1
	s_or_b64 s[74:75], s[4:5], exec
	flat_store_dwordx2 v[2:3], v[4:5]
.LBB47_6846:
	s_or_b64 exec, exec, s[72:73]
	s_andn2_b64 vcc, vcc, exec
	s_and_b64 s[72:73], s[76:77], exec
	s_or_b64 vcc, vcc, s[72:73]
	s_andn2_b64 s[4:5], s[4:5], exec
	s_and_b64 s[72:73], s[74:75], exec
	s_or_b64 s[4:5], s[4:5], s[72:73]
.LBB47_6847:
	s_or_b64 exec, exec, s[70:71]
	s_andn2_b64 s[70:71], s[58:59], exec
	s_and_b64 vcc, vcc, exec
	s_or_b64 s[70:71], s[70:71], vcc
	s_and_b64 s[4:5], s[4:5], exec
                                        ; implicit-def: $vgpr2_vgpr3
                                        ; implicit-def: $vgpr34
.LBB47_6848:
	s_andn2_saveexec_b64 s[66:67], s[66:67]
	s_cbranch_execz .LBB47_6864
; %bb.6849:
	v_mov_b32_e32 v1, 26
	v_cmp_gt_i16_sdwa vcc, v11, v1 src0_sel:BYTE_0 src1_sel:DWORD
	s_and_saveexec_b64 s[72:73], vcc
	s_xor_b64 vcc, exec, s[72:73]
	s_cbranch_execz .LBB47_6855
; %bb.6850:
	v_cvt_u32_f32_e32 v1, v34
	v_mov_b32_e32 v4, 27
	v_cmp_gt_i16_sdwa s[72:73], v11, v4 src0_sel:BYTE_0 src1_sel:DWORD
	s_and_saveexec_b64 s[74:75], s[72:73]
	s_xor_b64 s[72:73], exec, s[74:75]
	s_cbranch_execz .LBB47_6852
; %bb.6851:
	flat_store_dword v[2:3], v1
                                        ; implicit-def: $vgpr2_vgpr3
                                        ; implicit-def: $vgpr1
.LBB47_6852:
	s_andn2_saveexec_b64 s[72:73], s[72:73]
	s_cbranch_execz .LBB47_6854
; %bb.6853:
	flat_store_short v[2:3], v1
.LBB47_6854:
	s_or_b64 exec, exec, s[72:73]
                                        ; implicit-def: $vgpr2_vgpr3
                                        ; implicit-def: $vgpr34
.LBB47_6855:
	s_andn2_saveexec_b64 s[72:73], vcc
	s_cbranch_execz .LBB47_6863
; %bb.6856:
	v_and_b32_e32 v1, 0x7fffffff, v34
	s_mov_b32 vcc_lo, 0x43800000
	v_cmp_gt_u32_e32 vcc, vcc_lo, v1
	v_mov_b32_e32 v4, 0x80
	s_and_saveexec_b64 s[74:75], vcc
	s_cbranch_execz .LBB47_6862
; %bb.6857:
	s_mov_b32 vcc_lo, 0x3bffffff
	v_cmp_lt_u32_e32 vcc, vcc_lo, v1
	s_mov_b64 s[76:77], 0
                                        ; implicit-def: $vgpr1
	s_and_saveexec_b64 s[78:79], vcc
	s_xor_b64 vcc, exec, s[78:79]
	s_cbranch_execnz .LBB47_7583
; %bb.6858:
	s_or_saveexec_b64 s[78:79], vcc
                                        ; implicit-def: $sgpr80
	s_xor_b64 exec, exec, s[78:79]
	s_cbranch_execnz .LBB47_7584
.LBB47_6859:
	s_or_b64 exec, exec, s[78:79]
	v_mov_b32_e32 v4, s80
	s_and_saveexec_b64 vcc, s[76:77]
.LBB47_6860:
	v_lshrrev_b32_e32 v4, 24, v34
	s_movk_i32 s76, 0x80
	v_and_or_b32 v4, v4, s76, v1
.LBB47_6861:
	s_or_b64 exec, exec, vcc
.LBB47_6862:
	s_or_b64 exec, exec, s[74:75]
	flat_store_byte v[2:3], v4
.LBB47_6863:
	s_or_b64 exec, exec, s[72:73]
	s_or_b64 s[4:5], s[4:5], exec
.LBB47_6864:
	s_or_b64 exec, exec, s[66:67]
	s_andn2_b64 vcc, s[58:59], exec
	s_and_b64 s[66:67], s[70:71], exec
	s_or_b64 s[66:67], vcc, s[66:67]
	s_and_b64 s[4:5], s[4:5], exec
                                        ; implicit-def: $vgpr34
                                        ; implicit-def: $vgpr2_vgpr3
.LBB47_6865:
	s_andn2_saveexec_b64 s[68:69], s[68:69]
	s_cbranch_execz .LBB47_6909
; %bb.6866:
	v_mov_b32_e32 v1, 22
	v_cmp_gt_i16_sdwa vcc, v11, v1 src0_sel:BYTE_0 src1_sel:DWORD
	s_mov_b64 s[72:73], s[4:5]
	s_and_saveexec_b64 s[70:71], vcc
	s_xor_b64 s[70:71], exec, s[70:71]
	s_cbranch_execz .LBB47_6898
; %bb.6867:
	v_mov_b32_e32 v1, 23
	v_cmp_gt_i16_sdwa vcc, v11, v1 src0_sel:BYTE_0 src1_sel:DWORD
	s_and_saveexec_b64 s[72:73], vcc
	s_xor_b64 s[72:73], exec, s[72:73]
	s_cbranch_execz .LBB47_6887
; %bb.6868:
	v_mov_b32_e32 v1, 24
	v_cmp_gt_i16_sdwa vcc, v11, v1 src0_sel:BYTE_0 src1_sel:DWORD
	s_and_saveexec_b64 s[74:75], vcc
	s_xor_b64 s[74:75], exec, s[74:75]
	s_cbranch_execz .LBB47_6876
; %bb.6869:
	v_and_b32_e32 v1, 0x7fffffff, v34
	s_mov_b32 vcc_lo, 0x47800000
	v_cmp_gt_u32_e32 vcc, vcc_lo, v1
	v_mov_b32_e32 v4, 0x80
	s_and_saveexec_b64 s[76:77], vcc
	s_cbranch_execz .LBB47_6875
; %bb.6870:
	s_mov_b32 vcc_lo, 0x37ffffff
	v_cmp_lt_u32_e32 vcc, vcc_lo, v1
	s_mov_b64 s[78:79], 0
                                        ; implicit-def: $vgpr1
	s_and_saveexec_b64 s[80:81], vcc
	s_xor_b64 vcc, exec, s[80:81]
	s_cbranch_execnz .LBB47_7707
; %bb.6871:
	s_or_saveexec_b64 s[80:81], vcc
                                        ; implicit-def: $sgpr82
	s_xor_b64 exec, exec, s[80:81]
	s_cbranch_execnz .LBB47_7708
.LBB47_6872:
	s_or_b64 exec, exec, s[80:81]
	v_mov_b32_e32 v4, s82
	s_and_saveexec_b64 vcc, s[78:79]
.LBB47_6873:
	v_lshrrev_b32_e32 v4, 24, v34
	s_movk_i32 s78, 0x80
	v_and_or_b32 v4, v4, s78, v1
.LBB47_6874:
	s_or_b64 exec, exec, vcc
.LBB47_6875:
	s_or_b64 exec, exec, s[76:77]
	flat_store_byte v[2:3], v4
                                        ; implicit-def: $vgpr34
                                        ; implicit-def: $vgpr2_vgpr3
.LBB47_6876:
	s_andn2_saveexec_b64 s[74:75], s[74:75]
	s_cbranch_execz .LBB47_6886
; %bb.6877:
	v_and_b32_e32 v4, 0x7fffffff, v34
	s_mov_b32 vcc_lo, 0x43f00000
	v_cmp_gt_u32_e32 vcc, vcc_lo, v4
                                        ; implicit-def: $vgpr1
	s_and_saveexec_b64 s[76:77], vcc
	s_xor_b64 s[76:77], exec, s[76:77]
	s_cbranch_execz .LBB47_6883
; %bb.6878:
	s_mov_b32 vcc_lo, 0x3c7fffff
	v_cmp_lt_u32_e32 vcc, vcc_lo, v4
                                        ; implicit-def: $vgpr1
	s_and_saveexec_b64 s[78:79], vcc
	s_xor_b64 s[78:79], exec, s[78:79]
; %bb.6879:
	v_bfe_u32 v1, v34, 20, 1
	s_mov_b32 vcc_lo, 0x407ffff
	v_add3_u32 v1, v34, v1, vcc_lo
	v_lshrrev_b32_e32 v4, 20, v1
	v_and_b32_e32 v1, 0xff00000, v1
	s_mov_b32 vcc_lo, 0x7f00000
	v_mov_b32_e32 v5, 0x7e
	v_cmp_ne_u32_e32 vcc, vcc_lo, v1
	v_cndmask_b32_e32 v1, v5, v4, vcc
; %bb.6880:
	s_andn2_saveexec_b64 vcc, s[78:79]
; %bb.6881:
	s_mov_b32 s78, 0x46800000
	v_add_f32_e64 v1, |v34|, s78
; %bb.6882:
	s_or_b64 exec, exec, vcc
                                        ; implicit-def: $vgpr4
.LBB47_6883:
	s_andn2_saveexec_b64 s[76:77], s[76:77]
; %bb.6884:
	s_mov_b32 vcc_lo, 0x7f800000
	v_mov_b32_e32 v1, 0x7e
	v_mov_b32_e32 v5, 0x7f
	v_cmp_lt_u32_e32 vcc, vcc_lo, v4
	v_cndmask_b32_e32 v1, v1, v5, vcc
; %bb.6885:
	s_or_b64 exec, exec, s[76:77]
	v_lshrrev_b32_e32 v4, 24, v34
	s_movk_i32 vcc_lo, 0x80
	v_and_or_b32 v1, v4, vcc_lo, v1
	flat_store_byte v[2:3], v1
.LBB47_6886:
	s_or_b64 exec, exec, s[74:75]
                                        ; implicit-def: $vgpr34
                                        ; implicit-def: $vgpr2_vgpr3
.LBB47_6887:
	s_andn2_saveexec_b64 s[72:73], s[72:73]
	s_cbranch_execz .LBB47_6897
; %bb.6888:
	v_and_b32_e32 v4, 0x7fffffff, v34
	s_mov_b32 vcc_lo, 0x47800000
	v_cmp_gt_u32_e32 vcc, vcc_lo, v4
                                        ; implicit-def: $vgpr1
	s_and_saveexec_b64 s[74:75], vcc
	s_xor_b64 s[74:75], exec, s[74:75]
	s_cbranch_execz .LBB47_6894
; %bb.6889:
	s_mov_b32 vcc_lo, 0x387fffff
	v_cmp_lt_u32_e32 vcc, vcc_lo, v4
                                        ; implicit-def: $vgpr1
	s_and_saveexec_b64 s[76:77], vcc
	s_xor_b64 vcc, exec, s[76:77]
; %bb.6890:
	v_bfe_u32 v1, v34, 21, 1
	s_mov_b32 s76, 0x80fffff
	v_add3_u32 v1, v34, v1, s76
	v_lshrrev_b32_e32 v1, 21, v1
; %bb.6891:
	s_andn2_saveexec_b64 vcc, vcc
; %bb.6892:
	s_mov_b32 s76, 0x43000000
	v_add_f32_e64 v1, |v34|, s76
; %bb.6893:
	s_or_b64 exec, exec, vcc
                                        ; implicit-def: $vgpr4
.LBB47_6894:
	s_andn2_saveexec_b64 s[74:75], s[74:75]
; %bb.6895:
	s_mov_b32 vcc_lo, 0x7f800000
	v_mov_b32_e32 v1, 0x7c
	v_mov_b32_e32 v5, 0x7f
	v_cmp_lt_u32_e32 vcc, vcc_lo, v4
	v_cndmask_b32_e32 v1, v1, v5, vcc
; %bb.6896:
	s_or_b64 exec, exec, s[74:75]
	v_lshrrev_b32_e32 v4, 24, v34
	s_movk_i32 vcc_lo, 0x80
	v_and_or_b32 v1, v4, vcc_lo, v1
	flat_store_byte v[2:3], v1
.LBB47_6897:
	s_or_b64 exec, exec, s[72:73]
	s_or_b64 s[72:73], s[4:5], exec
                                        ; implicit-def: $vgpr34
                                        ; implicit-def: $vgpr2_vgpr3
.LBB47_6898:
	s_or_saveexec_b64 s[70:71], s[70:71]
	s_mov_b64 vcc, s[66:67]
	s_xor_b64 exec, exec, s[70:71]
	s_cbranch_execz .LBB47_6908
; %bb.6899:
	v_mov_b32_e32 v1, 14
	v_cmp_gt_i16_sdwa vcc, v11, v1 src0_sel:BYTE_0 src1_sel:DWORD
	s_mov_b64 s[74:75], s[72:73]
	s_mov_b64 s[76:77], s[66:67]
	s_and_saveexec_b64 s[78:79], vcc
	s_xor_b64 s[78:79], exec, s[78:79]
	s_cbranch_execz .LBB47_6903
; %bb.6900:
	v_mov_b32_e32 v1, 15
	v_cmp_eq_u16_sdwa s[80:81], v11, v1 src0_sel:BYTE_0 src1_sel:DWORD
	s_mov_b64 s[76:77], -1
	s_mov_b64 vcc, s[72:73]
	s_and_saveexec_b64 s[74:75], s[80:81]
	s_cbranch_execz .LBB47_6902
; %bb.6901:
	v_bfe_u32 v1, v34, 16, 1
	s_movk_i32 vcc_lo, 0x7fff
	v_add3_u32 v1, v34, v1, vcc_lo
	v_lshrrev_b32_e32 v1, 16, v1
	v_mov_b32_e32 v4, 0x7fc0
	v_cmp_o_f32_e32 vcc, v34, v34
	v_cndmask_b32_e32 v1, v4, v1, vcc
	flat_store_short v[2:3], v1
	s_xor_b64 s[76:77], exec, -1
	s_or_b64 vcc, s[72:73], exec
.LBB47_6902:
	s_or_b64 exec, exec, s[74:75]
	s_andn2_b64 s[74:75], s[66:67], exec
	s_and_b64 s[76:77], s[76:77], exec
	s_or_b64 s[76:77], s[74:75], s[76:77]
	s_andn2_b64 s[74:75], s[72:73], exec
	s_and_b64 vcc, vcc, exec
	s_or_b64 s[74:75], s[74:75], vcc
                                        ; implicit-def: $vgpr34
                                        ; implicit-def: $vgpr2_vgpr3
.LBB47_6903:
	s_andn2_saveexec_b64 s[78:79], s[78:79]
	s_cbranch_execz .LBB47_6907
; %bb.6904:
	v_mov_b32_e32 v1, 11
	v_cmp_eq_u16_sdwa s[84:85], v11, v1 src0_sel:BYTE_0 src1_sel:DWORD
	s_mov_b64 s[80:81], -1
	s_mov_b64 vcc, s[74:75]
	s_and_saveexec_b64 s[82:83], s[84:85]
	s_cbranch_execz .LBB47_6906
; %bb.6905:
	v_cmp_neq_f32_e32 vcc, 0, v34
	v_cndmask_b32_e64 v1, 0, 1, vcc
	flat_store_byte v[2:3], v1
	s_xor_b64 s[80:81], exec, -1
	s_or_b64 vcc, s[74:75], exec
.LBB47_6906:
	s_or_b64 exec, exec, s[82:83]
	s_andn2_b64 s[76:77], s[76:77], exec
	s_and_b64 s[80:81], s[80:81], exec
	s_andn2_b64 s[74:75], s[74:75], exec
	s_and_b64 vcc, vcc, exec
	s_or_b64 s[76:77], s[76:77], s[80:81]
	s_or_b64 s[74:75], s[74:75], vcc
.LBB47_6907:
	s_or_b64 exec, exec, s[78:79]
	s_andn2_b64 vcc, s[66:67], exec
	s_and_b64 s[76:77], s[76:77], exec
	s_andn2_b64 s[72:73], s[72:73], exec
	s_and_b64 s[74:75], s[74:75], exec
	s_or_b64 vcc, vcc, s[76:77]
	s_or_b64 s[72:73], s[72:73], s[74:75]
.LBB47_6908:
	s_or_b64 exec, exec, s[70:71]
	s_andn2_b64 s[66:67], s[66:67], exec
	s_and_b64 vcc, vcc, exec
	s_or_b64 s[66:67], s[66:67], vcc
	s_andn2_b64 s[4:5], s[4:5], exec
	s_and_b64 vcc, s[72:73], exec
	s_or_b64 s[4:5], s[4:5], vcc
.LBB47_6909:
	s_or_b64 exec, exec, s[68:69]
	s_andn2_b64 vcc, s[58:59], exec
	s_and_b64 s[66:67], s[66:67], exec
	s_or_b64 s[66:67], vcc, s[66:67]
	s_and_b64 s[4:5], s[4:5], exec
                                        ; implicit-def: $vgpr34
                                        ; implicit-def: $vgpr2_vgpr3
	s_andn2_saveexec_b64 s[62:63], s[62:63]
	s_cbranch_execz .LBB47_3965
.LBB47_6910:
	v_mov_b32_e32 v1, 4
	v_cmp_gt_i16_sdwa vcc, v11, v1 src0_sel:BYTE_0 src1_sel:DWORD
	s_and_saveexec_b64 s[68:69], vcc
	s_xor_b64 vcc, exec, s[68:69]
	s_cbranch_execz .LBB47_6932
; %bb.6911:
	v_mov_b32_e32 v1, 7
	v_cmp_gt_i16_sdwa s[68:69], v11, v1 src0_sel:BYTE_0 src1_sel:DWORD
	s_and_saveexec_b64 s[70:71], s[68:69]
	s_xor_b64 s[68:69], exec, s[70:71]
	s_cbranch_execz .LBB47_6921
; %bb.6912:
	v_mov_b32_e32 v1, 8
	v_cmp_gt_i16_sdwa s[70:71], v11, v1 src0_sel:BYTE_0 src1_sel:DWORD
	s_and_saveexec_b64 s[72:73], s[70:71]
	s_xor_b64 s[70:71], exec, s[72:73]
	;; [unrolled: 6-line block ×3, first 2 shown]
	s_cbranch_execz .LBB47_6915
; %bb.6914:
	v_mov_b32_e32 v36, 0
	v_cvt_f64_f32_e32 v[34:35], v34
	v_mov_b32_e32 v37, v36
	flat_store_dwordx4 v[2:3], v[34:37]
                                        ; implicit-def: $vgpr34
                                        ; implicit-def: $vgpr2_vgpr3
.LBB47_6915:
	s_andn2_saveexec_b64 s[72:73], s[72:73]
	s_cbranch_execz .LBB47_6917
; %bb.6916:
	v_mov_b32_e32 v35, 0
	flat_store_dwordx2 v[2:3], v[34:35]
.LBB47_6917:
	s_or_b64 exec, exec, s[72:73]
                                        ; implicit-def: $vgpr34
                                        ; implicit-def: $vgpr2_vgpr3
.LBB47_6918:
	s_andn2_saveexec_b64 s[70:71], s[70:71]
	s_cbranch_execz .LBB47_6920
; %bb.6919:
	v_cvt_f16_f32_e32 v1, v34
	flat_store_dword v[2:3], v1
.LBB47_6920:
	s_or_b64 exec, exec, s[70:71]
                                        ; implicit-def: $vgpr34
                                        ; implicit-def: $vgpr2_vgpr3
.LBB47_6921:
	s_andn2_saveexec_b64 s[68:69], s[68:69]
	s_cbranch_execz .LBB47_6931
; %bb.6922:
	v_mov_b32_e32 v1, 5
	v_cmp_gt_i16_sdwa s[70:71], v11, v1 src0_sel:BYTE_0 src1_sel:DWORD
	s_and_saveexec_b64 s[72:73], s[70:71]
	s_xor_b64 s[70:71], exec, s[72:73]
	s_cbranch_execz .LBB47_6928
; %bb.6923:
	v_mov_b32_e32 v1, 6
	v_cmp_gt_i16_sdwa s[72:73], v11, v1 src0_sel:BYTE_0 src1_sel:DWORD
	s_and_saveexec_b64 s[74:75], s[72:73]
	s_xor_b64 s[72:73], exec, s[74:75]
	s_cbranch_execz .LBB47_6925
; %bb.6924:
	v_cvt_f64_f32_e32 v[4:5], v34
	flat_store_dwordx2 v[2:3], v[4:5]
                                        ; implicit-def: $vgpr2_vgpr3
                                        ; implicit-def: $vgpr34
.LBB47_6925:
	s_andn2_saveexec_b64 s[72:73], s[72:73]
	s_cbranch_execz .LBB47_6927
; %bb.6926:
	flat_store_dword v[2:3], v34
.LBB47_6927:
	s_or_b64 exec, exec, s[72:73]
                                        ; implicit-def: $vgpr34
                                        ; implicit-def: $vgpr2_vgpr3
.LBB47_6928:
	s_andn2_saveexec_b64 s[70:71], s[70:71]
	s_cbranch_execz .LBB47_6930
; %bb.6929:
	v_cvt_f16_f32_e32 v1, v34
	flat_store_short v[2:3], v1
.LBB47_6930:
	s_or_b64 exec, exec, s[70:71]
.LBB47_6931:
	s_or_b64 exec, exec, s[68:69]
                                        ; implicit-def: $vgpr34
                                        ; implicit-def: $vgpr2_vgpr3
.LBB47_6932:
	s_andn2_saveexec_b64 s[68:69], vcc
	s_cbranch_execz .LBB47_6950
; %bb.6933:
	v_mov_b32_e32 v1, 1
	v_cmp_gt_i16_sdwa vcc, v11, v1 src0_sel:BYTE_0 src1_sel:DWORD
	s_and_saveexec_b64 s[70:71], vcc
	s_xor_b64 s[70:71], exec, s[70:71]
	s_cbranch_execz .LBB47_6943
; %bb.6934:
	v_mov_b32_e32 v1, 2
	v_cmp_gt_i16_sdwa vcc, v11, v1 src0_sel:BYTE_0 src1_sel:DWORD
	s_and_saveexec_b64 s[72:73], vcc
	s_xor_b64 s[72:73], exec, s[72:73]
	;; [unrolled: 6-line block ×3, first 2 shown]
	s_cbranch_execz .LBB47_6937
; %bb.6936:
	v_trunc_f32_e32 v1, v34
	s_mov_b32 s76, 0x2f800000
	v_mul_f32_e64 v4, |v1|, s76
	v_floor_f32_e32 v4, v4
	s_mov_b32 s76, 0xcf800000
	v_cvt_u32_f32_e32 v5, v4
	v_fma_f32 v4, v4, s76, |v1|
	v_cvt_u32_f32_e32 v4, v4
	v_ashrrev_i32_e32 v1, 31, v1
	v_xor_b32_e32 v5, v5, v1
                                        ; implicit-def: $vgpr34
	v_xor_b32_e32 v4, v4, v1
	v_sub_co_u32_e32 v4, vcc, v4, v1
	v_subb_co_u32_e32 v5, vcc, v5, v1, vcc
	flat_store_dwordx2 v[2:3], v[4:5]
                                        ; implicit-def: $vgpr2_vgpr3
.LBB47_6937:
	s_andn2_saveexec_b64 vcc, s[74:75]
	s_cbranch_execz .LBB47_6939
; %bb.6938:
	v_cvt_i32_f32_e32 v1, v34
	flat_store_dword v[2:3], v1
.LBB47_6939:
	s_or_b64 exec, exec, vcc
                                        ; implicit-def: $vgpr34
                                        ; implicit-def: $vgpr2_vgpr3
.LBB47_6940:
	s_andn2_saveexec_b64 vcc, s[72:73]
	s_cbranch_execz .LBB47_6942
; %bb.6941:
	v_cvt_i32_f32_e32 v1, v34
	flat_store_short v[2:3], v1
.LBB47_6942:
	s_or_b64 exec, exec, vcc
                                        ; implicit-def: $vgpr34
                                        ; implicit-def: $vgpr2_vgpr3
.LBB47_6943:
	s_andn2_saveexec_b64 vcc, s[70:71]
	s_cbranch_execz .LBB47_6949
; %bb.6944:
	v_mov_b32_e32 v1, 0
	v_cmp_gt_i16_sdwa s[70:71], v11, v1 src0_sel:BYTE_0 src1_sel:DWORD
	s_and_saveexec_b64 s[72:73], s[70:71]
	s_xor_b64 s[70:71], exec, s[72:73]
	s_cbranch_execz .LBB47_6946
; %bb.6945:
	v_cvt_i32_f32_e32 v1, v34
                                        ; implicit-def: $vgpr34
	flat_store_byte v[2:3], v1
                                        ; implicit-def: $vgpr2_vgpr3
.LBB47_6946:
	s_andn2_saveexec_b64 s[70:71], s[70:71]
	s_cbranch_execz .LBB47_6948
; %bb.6947:
	v_trunc_f32_e32 v1, v34
	s_mov_b32 s72, 0x2f800000
	v_mul_f32_e64 v4, |v1|, s72
	v_floor_f32_e32 v4, v4
	s_mov_b32 s72, 0xcf800000
	v_fma_f32 v4, v4, s72, |v1|
	v_cvt_u32_f32_e32 v4, v4
	v_ashrrev_i32_e32 v1, 31, v1
	v_xor_b32_e32 v4, v4, v1
	v_sub_u32_e32 v1, v4, v1
	flat_store_byte v[2:3], v1
.LBB47_6948:
	s_or_b64 exec, exec, s[70:71]
.LBB47_6949:
	s_or_b64 exec, exec, vcc
.LBB47_6950:
	s_or_b64 exec, exec, s[68:69]
	s_or_b64 s[4:5], s[4:5], exec
	s_or_b64 exec, exec, s[62:63]
	s_mov_b64 vcc, 0
	s_and_saveexec_b64 s[62:63], s[4:5]
	s_cbranch_execnz .LBB47_3966
	s_branch .LBB47_3967
.LBB47_6951:
	v_bfe_u32 v1, v54, 21, 1
	s_mov_b32 s60, 0x88fffff
	v_add3_u32 v1, v54, v1, s60
	s_mov_b64 s[58:59], exec
	v_lshrrev_b32_e32 v1, 21, v1
	s_or_saveexec_b64 s[60:61], vcc
                                        ; implicit-def: $sgpr62
	s_xor_b64 exec, exec, s[60:61]
	s_cbranch_execz .LBB47_6116
.LBB47_6952:
	s_mov_b32 s62, 0x42800000
	v_add_f32_e64 v1, |v54|, s62
	v_and_b32_e32 v1, 0xff, v1
	v_cmp_ne_u32_e32 vcc, 0, v1
	s_andn2_b64 s[58:59], s[58:59], exec
	s_and_b64 vcc, vcc, exec
	s_mov_b32 s62, 0
	s_or_b64 s[58:59], s[58:59], vcc
	s_or_b64 exec, exec, s[60:61]
	v_mov_b32_e32 v4, s62
	s_and_saveexec_b64 vcc, s[58:59]
	s_cbranch_execnz .LBB47_6117
	s_branch .LBB47_6118
.LBB47_6953:
	v_bfe_u32 v1, v52, 20, 1
	s_mov_b32 s58, 0x487ffff
	v_add3_u32 v1, v52, v1, s58
	s_mov_b64 s[56:57], exec
	v_lshrrev_b32_e32 v1, 20, v1
	s_or_saveexec_b64 s[58:59], vcc
                                        ; implicit-def: $sgpr60
	s_xor_b64 exec, exec, s[58:59]
	s_cbranch_execz .LBB47_6229
.LBB47_6954:
	s_mov_b32 s60, 0x46000000
	v_add_f32_e64 v1, |v52|, s60
	v_and_b32_e32 v1, 0xff, v1
	v_cmp_ne_u32_e32 vcc, 0, v1
	s_andn2_b64 s[56:57], s[56:57], exec
	s_and_b64 vcc, vcc, exec
	s_mov_b32 s60, 0
	s_or_b64 s[56:57], s[56:57], vcc
	s_or_b64 exec, exec, s[58:59]
	v_mov_b32_e32 v4, s60
	s_and_saveexec_b64 vcc, s[56:57]
	s_cbranch_execnz .LBB47_6230
	s_branch .LBB47_6231
.LBB47_6955:
	v_mov_b32_e32 v1, 25
	v_cmp_gt_i16_sdwa vcc, v11, v1 src0_sel:BYTE_0 src1_sel:DWORD
	s_mov_b64 s[70:71], s[62:63]
	s_and_saveexec_b64 s[72:73], vcc
	s_xor_b64 s[72:73], exec, s[72:73]
	s_cbranch_execz .LBB47_6991
; %bb.6956:
	v_mov_b32_e32 v1, 28
	v_cmp_gt_i16_sdwa vcc, v11, v1 src0_sel:BYTE_0 src1_sel:DWORD
	s_mov_b64 s[74:75], s[62:63]
	s_and_saveexec_b64 s[70:71], vcc
	s_xor_b64 s[70:71], exec, s[70:71]
	s_cbranch_execz .LBB47_6974
; %bb.6957:
	v_mov_b32_e32 v1, 43
	v_cmp_gt_i16_sdwa s[74:75], v11, v1 src0_sel:BYTE_0 src1_sel:DWORD
	s_mov_b64 vcc, s[62:63]
	s_and_saveexec_b64 s[76:77], s[74:75]
	s_xor_b64 s[74:75], exec, s[76:77]
	s_cbranch_execz .LBB47_6969
; %bb.6958:
	v_mov_b32_e32 v1, 45
	v_cmp_gt_i16_sdwa s[4:5], v11, v1 src0_sel:BYTE_0 src1_sel:DWORD
	s_mov_b64 s[76:77], 0
	s_mov_b64 s[78:79], s[62:63]
	s_and_saveexec_b64 vcc, s[4:5]
	s_xor_b64 s[4:5], exec, vcc
	s_cbranch_execz .LBB47_6962
; %bb.6959:
	v_mov_b32_e32 v1, 46
	v_cmp_eq_u16_sdwa s[80:81], v11, v1 src0_sel:BYTE_0 src1_sel:DWORD
	s_mov_b64 vcc, -1
	s_and_saveexec_b64 s[78:79], s[80:81]
	s_cbranch_execz .LBB47_6961
; %bb.6960:
	v_bfe_u32 v1, v32, 16, 1
	s_movk_i32 vcc_lo, 0x7fff
	v_add3_u32 v1, v32, v1, vcc_lo
	v_lshrrev_b32_e32 v1, 16, v1
	v_mov_b32_e32 v4, 0x7fc0
	v_cmp_o_f32_e32 vcc, v32, v32
	v_cndmask_b32_e32 v1, v4, v1, vcc
	s_mov_b64 s[76:77], exec
	flat_store_dword v[2:3], v1
	s_xor_b64 vcc, exec, -1
.LBB47_6961:
	s_or_b64 exec, exec, s[78:79]
	s_andn2_b64 s[78:79], s[62:63], exec
	s_and_b64 vcc, vcc, exec
	s_or_b64 s[78:79], s[78:79], vcc
	s_and_b64 s[76:77], s[76:77], exec
                                        ; implicit-def: $vgpr2_vgpr3
                                        ; implicit-def: $vgpr32
.LBB47_6962:
	s_andn2_saveexec_b64 s[80:81], s[4:5]
	s_cbranch_execz .LBB47_6968
; %bb.6963:
	v_mov_b32_e32 v1, 44
	v_cmp_eq_u16_sdwa s[84:85], v11, v1 src0_sel:BYTE_0 src1_sel:DWORD
	s_mov_b64 vcc, -1
	s_mov_b64 s[4:5], s[76:77]
	s_and_saveexec_b64 s[82:83], s[84:85]
	s_cbranch_execz .LBB47_6967
; %bb.6964:
	v_bfe_u32 v1, v32, 23, 8
	s_movk_i32 s4, 0xff
	v_cmp_ne_u32_e32 vcc, s4, v1
	v_mov_b32_e32 v4, 0xff
	s_and_saveexec_b64 s[84:85], vcc
; %bb.6965:
	s_mov_b32 s4, 0x3fffff
	v_and_b32_e32 v5, 0x400000, v32
	v_and_or_b32 v1, v32, s4, v1
	v_cmp_ne_u32_e32 vcc, 0, v5
	v_cmp_ne_u32_e64 s[4:5], 0, v1
	s_and_b64 s[4:5], vcc, s[4:5]
	v_lshrrev_b32_e32 v4, 23, v32
	v_cndmask_b32_e64 v1, 0, 1, s[4:5]
	v_add_u32_e32 v4, v4, v1
; %bb.6966:
	s_or_b64 exec, exec, s[84:85]
	s_xor_b64 vcc, exec, -1
	s_or_b64 s[4:5], s[76:77], exec
	flat_store_byte v[2:3], v4
.LBB47_6967:
	s_or_b64 exec, exec, s[82:83]
	s_andn2_b64 s[78:79], s[78:79], exec
	s_and_b64 vcc, vcc, exec
	s_or_b64 s[78:79], s[78:79], vcc
	s_andn2_b64 vcc, s[76:77], exec
	s_and_b64 s[4:5], s[4:5], exec
	s_or_b64 s[76:77], vcc, s[4:5]
.LBB47_6968:
	s_or_b64 exec, exec, s[80:81]
	s_andn2_b64 s[4:5], s[62:63], exec
	s_and_b64 vcc, s[78:79], exec
	s_or_b64 vcc, s[4:5], vcc
	s_and_b64 s[4:5], s[76:77], exec
                                        ; implicit-def: $vgpr32
                                        ; implicit-def: $vgpr2_vgpr3
.LBB47_6969:
	s_andn2_saveexec_b64 s[74:75], s[74:75]
	s_cbranch_execz .LBB47_6973
; %bb.6970:
	v_mov_b32_e32 v1, 29
	v_cmp_eq_u16_sdwa s[82:83], v11, v1 src0_sel:BYTE_0 src1_sel:DWORD
	s_mov_b64 s[80:81], -1
	s_mov_b64 s[78:79], s[4:5]
	s_and_saveexec_b64 s[76:77], s[82:83]
	s_cbranch_execz .LBB47_6972
; %bb.6971:
	v_trunc_f32_e32 v1, v32
	v_mul_f32_e32 v4, 0x2f800000, v1
	v_floor_f32_e32 v4, v4
	v_fmac_f32_e32 v1, 0xcf800000, v4
	v_cvt_u32_f32_e32 v5, v4
	v_cvt_u32_f32_e32 v4, v1
	s_xor_b64 s[80:81], exec, -1
	s_or_b64 s[78:79], s[4:5], exec
	flat_store_dwordx2 v[2:3], v[4:5]
.LBB47_6972:
	s_or_b64 exec, exec, s[76:77]
	s_andn2_b64 vcc, vcc, exec
	s_and_b64 s[76:77], s[80:81], exec
	s_or_b64 vcc, vcc, s[76:77]
	s_andn2_b64 s[4:5], s[4:5], exec
	s_and_b64 s[76:77], s[78:79], exec
	s_or_b64 s[4:5], s[4:5], s[76:77]
.LBB47_6973:
	s_or_b64 exec, exec, s[74:75]
	s_andn2_b64 s[74:75], s[62:63], exec
	s_and_b64 vcc, vcc, exec
	s_or_b64 s[74:75], s[74:75], vcc
	s_and_b64 s[4:5], s[4:5], exec
                                        ; implicit-def: $vgpr2_vgpr3
                                        ; implicit-def: $vgpr32
.LBB47_6974:
	s_andn2_saveexec_b64 s[70:71], s[70:71]
	s_cbranch_execz .LBB47_6990
; %bb.6975:
	v_mov_b32_e32 v1, 26
	v_cmp_gt_i16_sdwa vcc, v11, v1 src0_sel:BYTE_0 src1_sel:DWORD
	s_and_saveexec_b64 s[76:77], vcc
	s_xor_b64 vcc, exec, s[76:77]
	s_cbranch_execz .LBB47_6981
; %bb.6976:
	v_cvt_u32_f32_e32 v1, v32
	v_mov_b32_e32 v4, 27
	v_cmp_gt_i16_sdwa s[76:77], v11, v4 src0_sel:BYTE_0 src1_sel:DWORD
	s_and_saveexec_b64 s[78:79], s[76:77]
	s_xor_b64 s[76:77], exec, s[78:79]
	s_cbranch_execz .LBB47_6978
; %bb.6977:
	flat_store_dword v[2:3], v1
                                        ; implicit-def: $vgpr2_vgpr3
                                        ; implicit-def: $vgpr1
.LBB47_6978:
	s_andn2_saveexec_b64 s[76:77], s[76:77]
	s_cbranch_execz .LBB47_6980
; %bb.6979:
	flat_store_short v[2:3], v1
.LBB47_6980:
	s_or_b64 exec, exec, s[76:77]
                                        ; implicit-def: $vgpr2_vgpr3
                                        ; implicit-def: $vgpr32
.LBB47_6981:
	s_andn2_saveexec_b64 s[76:77], vcc
	s_cbranch_execz .LBB47_6989
; %bb.6982:
	v_and_b32_e32 v1, 0x7fffffff, v32
	s_mov_b32 vcc_lo, 0x43800000
	v_cmp_gt_u32_e32 vcc, vcc_lo, v1
	v_mov_b32_e32 v4, 0x80
	s_and_saveexec_b64 s[78:79], vcc
	s_cbranch_execz .LBB47_6988
; %bb.6983:
	s_mov_b32 vcc_lo, 0x3bffffff
	v_cmp_lt_u32_e32 vcc, vcc_lo, v1
	s_mov_b64 s[80:81], 0
                                        ; implicit-def: $vgpr1
	s_and_saveexec_b64 s[82:83], vcc
	s_xor_b64 vcc, exec, s[82:83]
	s_cbranch_execnz .LBB47_7709
; %bb.6984:
	s_or_saveexec_b64 s[82:83], vcc
                                        ; implicit-def: $sgpr84
	s_xor_b64 exec, exec, s[82:83]
	s_cbranch_execnz .LBB47_7710
.LBB47_6985:
	s_or_b64 exec, exec, s[82:83]
	v_mov_b32_e32 v4, s84
	s_and_saveexec_b64 vcc, s[80:81]
.LBB47_6986:
	v_lshrrev_b32_e32 v4, 24, v32
	s_movk_i32 s80, 0x80
	v_and_or_b32 v4, v4, s80, v1
.LBB47_6987:
	s_or_b64 exec, exec, vcc
.LBB47_6988:
	s_or_b64 exec, exec, s[78:79]
	flat_store_byte v[2:3], v4
.LBB47_6989:
	s_or_b64 exec, exec, s[76:77]
	s_or_b64 s[4:5], s[4:5], exec
.LBB47_6990:
	s_or_b64 exec, exec, s[70:71]
	s_andn2_b64 vcc, s[62:63], exec
	s_and_b64 s[70:71], s[74:75], exec
	s_or_b64 s[70:71], vcc, s[70:71]
	s_and_b64 s[4:5], s[4:5], exec
                                        ; implicit-def: $vgpr32
                                        ; implicit-def: $vgpr2_vgpr3
.LBB47_6991:
	s_andn2_saveexec_b64 s[72:73], s[72:73]
	s_cbranch_execz .LBB47_7035
; %bb.6992:
	v_mov_b32_e32 v1, 22
	v_cmp_gt_i16_sdwa vcc, v11, v1 src0_sel:BYTE_0 src1_sel:DWORD
	s_mov_b64 s[76:77], s[4:5]
	s_and_saveexec_b64 s[74:75], vcc
	s_xor_b64 s[74:75], exec, s[74:75]
	s_cbranch_execz .LBB47_7024
; %bb.6993:
	v_mov_b32_e32 v1, 23
	v_cmp_gt_i16_sdwa vcc, v11, v1 src0_sel:BYTE_0 src1_sel:DWORD
	s_and_saveexec_b64 s[76:77], vcc
	s_xor_b64 s[76:77], exec, s[76:77]
	s_cbranch_execz .LBB47_7013
; %bb.6994:
	v_mov_b32_e32 v1, 24
	v_cmp_gt_i16_sdwa vcc, v11, v1 src0_sel:BYTE_0 src1_sel:DWORD
	s_and_saveexec_b64 s[78:79], vcc
	s_xor_b64 s[78:79], exec, s[78:79]
	s_cbranch_execz .LBB47_7002
; %bb.6995:
	v_and_b32_e32 v1, 0x7fffffff, v32
	s_mov_b32 vcc_lo, 0x47800000
	v_cmp_gt_u32_e32 vcc, vcc_lo, v1
	v_mov_b32_e32 v4, 0x80
	s_and_saveexec_b64 s[80:81], vcc
	s_cbranch_execz .LBB47_7001
; %bb.6996:
	s_mov_b32 vcc_lo, 0x37ffffff
	v_cmp_lt_u32_e32 vcc, vcc_lo, v1
	s_mov_b64 s[82:83], 0
                                        ; implicit-def: $vgpr1
	s_and_saveexec_b64 s[84:85], vcc
	s_xor_b64 vcc, exec, s[84:85]
	s_cbranch_execnz .LBB47_7833
; %bb.6997:
	s_or_saveexec_b64 s[84:85], vcc
                                        ; implicit-def: $sgpr86
	s_xor_b64 exec, exec, s[84:85]
	s_cbranch_execnz .LBB47_7834
.LBB47_6998:
	s_or_b64 exec, exec, s[84:85]
	v_mov_b32_e32 v4, s86
	s_and_saveexec_b64 vcc, s[82:83]
.LBB47_6999:
	v_lshrrev_b32_e32 v4, 24, v32
	s_movk_i32 s82, 0x80
	v_and_or_b32 v4, v4, s82, v1
.LBB47_7000:
	s_or_b64 exec, exec, vcc
.LBB47_7001:
	s_or_b64 exec, exec, s[80:81]
	flat_store_byte v[2:3], v4
                                        ; implicit-def: $vgpr32
                                        ; implicit-def: $vgpr2_vgpr3
.LBB47_7002:
	s_andn2_saveexec_b64 s[78:79], s[78:79]
	s_cbranch_execz .LBB47_7012
; %bb.7003:
	v_and_b32_e32 v4, 0x7fffffff, v32
	s_mov_b32 vcc_lo, 0x43f00000
	v_cmp_gt_u32_e32 vcc, vcc_lo, v4
                                        ; implicit-def: $vgpr1
	s_and_saveexec_b64 s[80:81], vcc
	s_xor_b64 s[80:81], exec, s[80:81]
	s_cbranch_execz .LBB47_7009
; %bb.7004:
	s_mov_b32 vcc_lo, 0x3c7fffff
	v_cmp_lt_u32_e32 vcc, vcc_lo, v4
                                        ; implicit-def: $vgpr1
	s_and_saveexec_b64 s[82:83], vcc
	s_xor_b64 s[82:83], exec, s[82:83]
; %bb.7005:
	v_bfe_u32 v1, v32, 20, 1
	s_mov_b32 vcc_lo, 0x407ffff
	v_add3_u32 v1, v32, v1, vcc_lo
	v_lshrrev_b32_e32 v4, 20, v1
	v_and_b32_e32 v1, 0xff00000, v1
	s_mov_b32 vcc_lo, 0x7f00000
	v_mov_b32_e32 v5, 0x7e
	v_cmp_ne_u32_e32 vcc, vcc_lo, v1
	v_cndmask_b32_e32 v1, v5, v4, vcc
; %bb.7006:
	s_andn2_saveexec_b64 vcc, s[82:83]
; %bb.7007:
	s_mov_b32 s82, 0x46800000
	v_add_f32_e64 v1, |v32|, s82
; %bb.7008:
	s_or_b64 exec, exec, vcc
                                        ; implicit-def: $vgpr4
.LBB47_7009:
	s_andn2_saveexec_b64 s[80:81], s[80:81]
; %bb.7010:
	s_mov_b32 vcc_lo, 0x7f800000
	v_mov_b32_e32 v1, 0x7e
	v_mov_b32_e32 v5, 0x7f
	v_cmp_lt_u32_e32 vcc, vcc_lo, v4
	v_cndmask_b32_e32 v1, v1, v5, vcc
; %bb.7011:
	s_or_b64 exec, exec, s[80:81]
	v_lshrrev_b32_e32 v4, 24, v32
	s_movk_i32 vcc_lo, 0x80
	v_and_or_b32 v1, v4, vcc_lo, v1
	flat_store_byte v[2:3], v1
.LBB47_7012:
	s_or_b64 exec, exec, s[78:79]
                                        ; implicit-def: $vgpr32
                                        ; implicit-def: $vgpr2_vgpr3
.LBB47_7013:
	s_andn2_saveexec_b64 s[76:77], s[76:77]
	s_cbranch_execz .LBB47_7023
; %bb.7014:
	v_and_b32_e32 v4, 0x7fffffff, v32
	s_mov_b32 vcc_lo, 0x47800000
	v_cmp_gt_u32_e32 vcc, vcc_lo, v4
                                        ; implicit-def: $vgpr1
	s_and_saveexec_b64 s[78:79], vcc
	s_xor_b64 s[78:79], exec, s[78:79]
	s_cbranch_execz .LBB47_7020
; %bb.7015:
	s_mov_b32 vcc_lo, 0x387fffff
	v_cmp_lt_u32_e32 vcc, vcc_lo, v4
                                        ; implicit-def: $vgpr1
	s_and_saveexec_b64 s[80:81], vcc
	s_xor_b64 vcc, exec, s[80:81]
; %bb.7016:
	v_bfe_u32 v1, v32, 21, 1
	s_mov_b32 s80, 0x80fffff
	v_add3_u32 v1, v32, v1, s80
	v_lshrrev_b32_e32 v1, 21, v1
; %bb.7017:
	s_andn2_saveexec_b64 vcc, vcc
; %bb.7018:
	s_mov_b32 s80, 0x43000000
	v_add_f32_e64 v1, |v32|, s80
; %bb.7019:
	s_or_b64 exec, exec, vcc
                                        ; implicit-def: $vgpr4
.LBB47_7020:
	s_andn2_saveexec_b64 s[78:79], s[78:79]
; %bb.7021:
	s_mov_b32 vcc_lo, 0x7f800000
	v_mov_b32_e32 v1, 0x7c
	v_mov_b32_e32 v5, 0x7f
	v_cmp_lt_u32_e32 vcc, vcc_lo, v4
	v_cndmask_b32_e32 v1, v1, v5, vcc
; %bb.7022:
	s_or_b64 exec, exec, s[78:79]
	v_lshrrev_b32_e32 v4, 24, v32
	s_movk_i32 vcc_lo, 0x80
	v_and_or_b32 v1, v4, vcc_lo, v1
	flat_store_byte v[2:3], v1
.LBB47_7023:
	s_or_b64 exec, exec, s[76:77]
	s_or_b64 s[76:77], s[4:5], exec
                                        ; implicit-def: $vgpr32
                                        ; implicit-def: $vgpr2_vgpr3
.LBB47_7024:
	s_or_saveexec_b64 s[74:75], s[74:75]
	s_mov_b64 vcc, s[70:71]
	s_xor_b64 exec, exec, s[74:75]
	s_cbranch_execz .LBB47_7034
; %bb.7025:
	v_mov_b32_e32 v1, 14
	v_cmp_gt_i16_sdwa vcc, v11, v1 src0_sel:BYTE_0 src1_sel:DWORD
	s_mov_b64 s[78:79], s[76:77]
	s_mov_b64 s[80:81], s[70:71]
	s_and_saveexec_b64 s[82:83], vcc
	s_xor_b64 s[82:83], exec, s[82:83]
	s_cbranch_execz .LBB47_7029
; %bb.7026:
	v_mov_b32_e32 v1, 15
	v_cmp_eq_u16_sdwa s[84:85], v11, v1 src0_sel:BYTE_0 src1_sel:DWORD
	s_mov_b64 s[80:81], -1
	s_mov_b64 vcc, s[76:77]
	s_and_saveexec_b64 s[78:79], s[84:85]
	s_cbranch_execz .LBB47_7028
; %bb.7027:
	v_bfe_u32 v1, v32, 16, 1
	s_movk_i32 vcc_lo, 0x7fff
	v_add3_u32 v1, v32, v1, vcc_lo
	v_lshrrev_b32_e32 v1, 16, v1
	v_mov_b32_e32 v4, 0x7fc0
	v_cmp_o_f32_e32 vcc, v32, v32
	v_cndmask_b32_e32 v1, v4, v1, vcc
	flat_store_short v[2:3], v1
	s_xor_b64 s[80:81], exec, -1
	s_or_b64 vcc, s[76:77], exec
.LBB47_7028:
	s_or_b64 exec, exec, s[78:79]
	s_andn2_b64 s[78:79], s[70:71], exec
	s_and_b64 s[80:81], s[80:81], exec
	s_or_b64 s[80:81], s[78:79], s[80:81]
	s_andn2_b64 s[78:79], s[76:77], exec
	s_and_b64 vcc, vcc, exec
	s_or_b64 s[78:79], s[78:79], vcc
                                        ; implicit-def: $vgpr32
                                        ; implicit-def: $vgpr2_vgpr3
.LBB47_7029:
	s_andn2_saveexec_b64 s[82:83], s[82:83]
	s_cbranch_execz .LBB47_7033
; %bb.7030:
	v_mov_b32_e32 v1, 11
	v_cmp_eq_u16_sdwa s[88:89], v11, v1 src0_sel:BYTE_0 src1_sel:DWORD
	s_mov_b64 s[84:85], -1
	s_mov_b64 vcc, s[78:79]
	s_and_saveexec_b64 s[86:87], s[88:89]
	s_cbranch_execz .LBB47_7032
; %bb.7031:
	v_cmp_neq_f32_e32 vcc, 0, v32
	v_cndmask_b32_e64 v1, 0, 1, vcc
	flat_store_byte v[2:3], v1
	s_xor_b64 s[84:85], exec, -1
	s_or_b64 vcc, s[78:79], exec
.LBB47_7032:
	s_or_b64 exec, exec, s[86:87]
	s_andn2_b64 s[80:81], s[80:81], exec
	s_and_b64 s[84:85], s[84:85], exec
	s_andn2_b64 s[78:79], s[78:79], exec
	s_and_b64 vcc, vcc, exec
	s_or_b64 s[80:81], s[80:81], s[84:85]
	s_or_b64 s[78:79], s[78:79], vcc
.LBB47_7033:
	s_or_b64 exec, exec, s[82:83]
	s_andn2_b64 vcc, s[70:71], exec
	s_and_b64 s[80:81], s[80:81], exec
	s_andn2_b64 s[76:77], s[76:77], exec
	s_and_b64 s[78:79], s[78:79], exec
	s_or_b64 vcc, vcc, s[80:81]
	s_or_b64 s[76:77], s[76:77], s[78:79]
.LBB47_7034:
	s_or_b64 exec, exec, s[74:75]
	s_andn2_b64 s[70:71], s[70:71], exec
	s_and_b64 vcc, vcc, exec
	s_or_b64 s[70:71], s[70:71], vcc
	s_andn2_b64 s[4:5], s[4:5], exec
	s_and_b64 vcc, s[76:77], exec
	s_or_b64 s[4:5], s[4:5], vcc
.LBB47_7035:
	s_or_b64 exec, exec, s[72:73]
	s_andn2_b64 vcc, s[62:63], exec
	s_and_b64 s[70:71], s[70:71], exec
	s_or_b64 s[70:71], vcc, s[70:71]
	s_and_b64 s[4:5], s[4:5], exec
                                        ; implicit-def: $vgpr32
                                        ; implicit-def: $vgpr2_vgpr3
	s_andn2_saveexec_b64 s[66:67], s[66:67]
	s_cbranch_execz .LBB47_3972
.LBB47_7036:
	v_mov_b32_e32 v1, 4
	v_cmp_gt_i16_sdwa vcc, v11, v1 src0_sel:BYTE_0 src1_sel:DWORD
	s_and_saveexec_b64 s[72:73], vcc
	s_xor_b64 vcc, exec, s[72:73]
	s_cbranch_execz .LBB47_7058
; %bb.7037:
	v_mov_b32_e32 v1, 7
	v_cmp_gt_i16_sdwa s[72:73], v11, v1 src0_sel:BYTE_0 src1_sel:DWORD
	s_and_saveexec_b64 s[74:75], s[72:73]
	s_xor_b64 s[72:73], exec, s[74:75]
	s_cbranch_execz .LBB47_7047
; %bb.7038:
	v_mov_b32_e32 v1, 8
	v_cmp_gt_i16_sdwa s[74:75], v11, v1 src0_sel:BYTE_0 src1_sel:DWORD
	s_and_saveexec_b64 s[76:77], s[74:75]
	s_xor_b64 s[74:75], exec, s[76:77]
	;; [unrolled: 6-line block ×3, first 2 shown]
	s_cbranch_execz .LBB47_7041
; %bb.7040:
	v_mov_b32_e32 v34, 0
	v_cvt_f64_f32_e32 v[32:33], v32
	v_mov_b32_e32 v35, v34
	flat_store_dwordx4 v[2:3], v[32:35]
                                        ; implicit-def: $vgpr32
                                        ; implicit-def: $vgpr2_vgpr3
.LBB47_7041:
	s_andn2_saveexec_b64 s[76:77], s[76:77]
	s_cbranch_execz .LBB47_7043
; %bb.7042:
	v_mov_b32_e32 v33, 0
	flat_store_dwordx2 v[2:3], v[32:33]
.LBB47_7043:
	s_or_b64 exec, exec, s[76:77]
                                        ; implicit-def: $vgpr32
                                        ; implicit-def: $vgpr2_vgpr3
.LBB47_7044:
	s_andn2_saveexec_b64 s[74:75], s[74:75]
	s_cbranch_execz .LBB47_7046
; %bb.7045:
	v_cvt_f16_f32_e32 v1, v32
	flat_store_dword v[2:3], v1
.LBB47_7046:
	s_or_b64 exec, exec, s[74:75]
                                        ; implicit-def: $vgpr32
                                        ; implicit-def: $vgpr2_vgpr3
.LBB47_7047:
	s_andn2_saveexec_b64 s[72:73], s[72:73]
	s_cbranch_execz .LBB47_7057
; %bb.7048:
	v_mov_b32_e32 v1, 5
	v_cmp_gt_i16_sdwa s[74:75], v11, v1 src0_sel:BYTE_0 src1_sel:DWORD
	s_and_saveexec_b64 s[76:77], s[74:75]
	s_xor_b64 s[74:75], exec, s[76:77]
	s_cbranch_execz .LBB47_7054
; %bb.7049:
	v_mov_b32_e32 v1, 6
	v_cmp_gt_i16_sdwa s[76:77], v11, v1 src0_sel:BYTE_0 src1_sel:DWORD
	s_and_saveexec_b64 s[78:79], s[76:77]
	s_xor_b64 s[76:77], exec, s[78:79]
	s_cbranch_execz .LBB47_7051
; %bb.7050:
	v_cvt_f64_f32_e32 v[4:5], v32
	flat_store_dwordx2 v[2:3], v[4:5]
                                        ; implicit-def: $vgpr2_vgpr3
                                        ; implicit-def: $vgpr32
.LBB47_7051:
	s_andn2_saveexec_b64 s[76:77], s[76:77]
	s_cbranch_execz .LBB47_7053
; %bb.7052:
	flat_store_dword v[2:3], v32
.LBB47_7053:
	s_or_b64 exec, exec, s[76:77]
                                        ; implicit-def: $vgpr32
                                        ; implicit-def: $vgpr2_vgpr3
.LBB47_7054:
	s_andn2_saveexec_b64 s[74:75], s[74:75]
	s_cbranch_execz .LBB47_7056
; %bb.7055:
	v_cvt_f16_f32_e32 v1, v32
	flat_store_short v[2:3], v1
.LBB47_7056:
	s_or_b64 exec, exec, s[74:75]
.LBB47_7057:
	s_or_b64 exec, exec, s[72:73]
                                        ; implicit-def: $vgpr32
                                        ; implicit-def: $vgpr2_vgpr3
.LBB47_7058:
	s_andn2_saveexec_b64 s[72:73], vcc
	s_cbranch_execz .LBB47_7076
; %bb.7059:
	v_mov_b32_e32 v1, 1
	v_cmp_gt_i16_sdwa vcc, v11, v1 src0_sel:BYTE_0 src1_sel:DWORD
	s_and_saveexec_b64 s[74:75], vcc
	s_xor_b64 s[74:75], exec, s[74:75]
	s_cbranch_execz .LBB47_7069
; %bb.7060:
	v_mov_b32_e32 v1, 2
	v_cmp_gt_i16_sdwa vcc, v11, v1 src0_sel:BYTE_0 src1_sel:DWORD
	s_and_saveexec_b64 s[76:77], vcc
	s_xor_b64 s[76:77], exec, s[76:77]
	;; [unrolled: 6-line block ×3, first 2 shown]
	s_cbranch_execz .LBB47_7063
; %bb.7062:
	v_trunc_f32_e32 v1, v32
	s_mov_b32 s80, 0x2f800000
	v_mul_f32_e64 v4, |v1|, s80
	v_floor_f32_e32 v4, v4
	s_mov_b32 s80, 0xcf800000
	v_cvt_u32_f32_e32 v5, v4
	v_fma_f32 v4, v4, s80, |v1|
	v_cvt_u32_f32_e32 v4, v4
	v_ashrrev_i32_e32 v1, 31, v1
	v_xor_b32_e32 v5, v5, v1
                                        ; implicit-def: $vgpr32
	v_xor_b32_e32 v4, v4, v1
	v_sub_co_u32_e32 v4, vcc, v4, v1
	v_subb_co_u32_e32 v5, vcc, v5, v1, vcc
	flat_store_dwordx2 v[2:3], v[4:5]
                                        ; implicit-def: $vgpr2_vgpr3
.LBB47_7063:
	s_andn2_saveexec_b64 vcc, s[78:79]
	s_cbranch_execz .LBB47_7065
; %bb.7064:
	v_cvt_i32_f32_e32 v1, v32
	flat_store_dword v[2:3], v1
.LBB47_7065:
	s_or_b64 exec, exec, vcc
                                        ; implicit-def: $vgpr32
                                        ; implicit-def: $vgpr2_vgpr3
.LBB47_7066:
	s_andn2_saveexec_b64 vcc, s[76:77]
	s_cbranch_execz .LBB47_7068
; %bb.7067:
	v_cvt_i32_f32_e32 v1, v32
	flat_store_short v[2:3], v1
.LBB47_7068:
	s_or_b64 exec, exec, vcc
                                        ; implicit-def: $vgpr32
                                        ; implicit-def: $vgpr2_vgpr3
.LBB47_7069:
	s_andn2_saveexec_b64 vcc, s[74:75]
	s_cbranch_execz .LBB47_7075
; %bb.7070:
	v_mov_b32_e32 v1, 0
	v_cmp_gt_i16_sdwa s[74:75], v11, v1 src0_sel:BYTE_0 src1_sel:DWORD
	s_and_saveexec_b64 s[76:77], s[74:75]
	s_xor_b64 s[74:75], exec, s[76:77]
	s_cbranch_execz .LBB47_7072
; %bb.7071:
	v_cvt_i32_f32_e32 v1, v32
                                        ; implicit-def: $vgpr32
	flat_store_byte v[2:3], v1
                                        ; implicit-def: $vgpr2_vgpr3
.LBB47_7072:
	s_andn2_saveexec_b64 s[74:75], s[74:75]
	s_cbranch_execz .LBB47_7074
; %bb.7073:
	v_trunc_f32_e32 v1, v32
	s_mov_b32 s76, 0x2f800000
	v_mul_f32_e64 v4, |v1|, s76
	v_floor_f32_e32 v4, v4
	s_mov_b32 s76, 0xcf800000
	v_fma_f32 v4, v4, s76, |v1|
	v_cvt_u32_f32_e32 v4, v4
	v_ashrrev_i32_e32 v1, 31, v1
	v_xor_b32_e32 v4, v4, v1
	v_sub_u32_e32 v1, v4, v1
	flat_store_byte v[2:3], v1
.LBB47_7074:
	s_or_b64 exec, exec, s[74:75]
.LBB47_7075:
	s_or_b64 exec, exec, vcc
.LBB47_7076:
	s_or_b64 exec, exec, s[72:73]
	s_or_b64 s[4:5], s[4:5], exec
	s_or_b64 exec, exec, s[66:67]
	s_mov_b64 vcc, 0
	s_and_saveexec_b64 s[66:67], s[4:5]
	s_cbranch_execnz .LBB47_3973
	s_branch .LBB47_3974
.LBB47_7077:
	v_bfe_u32 v1, v52, 21, 1
	s_mov_b32 s60, 0x88fffff
	v_add3_u32 v1, v52, v1, s60
	s_mov_b64 s[58:59], exec
	v_lshrrev_b32_e32 v1, 21, v1
	s_or_saveexec_b64 s[60:61], vcc
                                        ; implicit-def: $sgpr62
	s_xor_b64 exec, exec, s[60:61]
	s_cbranch_execz .LBB47_6242
.LBB47_7078:
	s_mov_b32 s62, 0x42800000
	v_add_f32_e64 v1, |v52|, s62
	v_and_b32_e32 v1, 0xff, v1
	v_cmp_ne_u32_e32 vcc, 0, v1
	s_andn2_b64 s[58:59], s[58:59], exec
	s_and_b64 vcc, vcc, exec
	s_mov_b32 s62, 0
	s_or_b64 s[58:59], s[58:59], vcc
	s_or_b64 exec, exec, s[60:61]
	v_mov_b32_e32 v4, s62
	s_and_saveexec_b64 vcc, s[58:59]
	s_cbranch_execnz .LBB47_6243
	s_branch .LBB47_6244
.LBB47_7079:
	v_bfe_u32 v1, v50, 20, 1
	s_mov_b32 s62, 0x487ffff
	v_add3_u32 v1, v50, v1, s62
	s_mov_b64 s[60:61], exec
	v_lshrrev_b32_e32 v1, 20, v1
	s_or_saveexec_b64 s[62:63], vcc
                                        ; implicit-def: $sgpr64
	s_xor_b64 exec, exec, s[62:63]
	s_cbranch_execz .LBB47_6355
.LBB47_7080:
	s_mov_b32 s64, 0x46000000
	v_add_f32_e64 v1, |v50|, s64
	v_and_b32_e32 v1, 0xff, v1
	v_cmp_ne_u32_e32 vcc, 0, v1
	s_andn2_b64 s[60:61], s[60:61], exec
	s_and_b64 vcc, vcc, exec
	s_mov_b32 s64, 0
	s_or_b64 s[60:61], s[60:61], vcc
	s_or_b64 exec, exec, s[62:63]
	v_mov_b32_e32 v4, s64
	s_and_saveexec_b64 vcc, s[60:61]
	s_cbranch_execnz .LBB47_6356
	s_branch .LBB47_6357
.LBB47_7081:
	v_mov_b32_e32 v1, 25
	v_cmp_gt_i16_sdwa vcc, v11, v1 src0_sel:BYTE_0 src1_sel:DWORD
	s_mov_b64 s[74:75], s[66:67]
	s_and_saveexec_b64 s[76:77], vcc
	s_xor_b64 s[76:77], exec, s[76:77]
	s_cbranch_execz .LBB47_7117
; %bb.7082:
	v_mov_b32_e32 v1, 28
	v_cmp_gt_i16_sdwa vcc, v11, v1 src0_sel:BYTE_0 src1_sel:DWORD
	s_mov_b64 s[78:79], s[66:67]
	s_and_saveexec_b64 s[74:75], vcc
	s_xor_b64 s[74:75], exec, s[74:75]
	s_cbranch_execz .LBB47_7100
; %bb.7083:
	v_mov_b32_e32 v1, 43
	v_cmp_gt_i16_sdwa s[78:79], v11, v1 src0_sel:BYTE_0 src1_sel:DWORD
	s_mov_b64 vcc, s[66:67]
	s_and_saveexec_b64 s[80:81], s[78:79]
	s_xor_b64 s[78:79], exec, s[80:81]
	s_cbranch_execz .LBB47_7095
; %bb.7084:
	v_mov_b32_e32 v1, 45
	v_cmp_gt_i16_sdwa s[4:5], v11, v1 src0_sel:BYTE_0 src1_sel:DWORD
	s_mov_b64 s[80:81], 0
	s_mov_b64 s[82:83], s[66:67]
	s_and_saveexec_b64 vcc, s[4:5]
	s_xor_b64 s[4:5], exec, vcc
	s_cbranch_execz .LBB47_7088
; %bb.7085:
	v_mov_b32_e32 v1, 46
	v_cmp_eq_u16_sdwa s[84:85], v11, v1 src0_sel:BYTE_0 src1_sel:DWORD
	s_mov_b64 vcc, -1
	s_and_saveexec_b64 s[82:83], s[84:85]
	s_cbranch_execz .LBB47_7087
; %bb.7086:
	v_bfe_u32 v1, v30, 16, 1
	s_movk_i32 vcc_lo, 0x7fff
	v_add3_u32 v1, v30, v1, vcc_lo
	v_lshrrev_b32_e32 v1, 16, v1
	v_mov_b32_e32 v4, 0x7fc0
	v_cmp_o_f32_e32 vcc, v30, v30
	v_cndmask_b32_e32 v1, v4, v1, vcc
	s_mov_b64 s[80:81], exec
	flat_store_dword v[2:3], v1
	s_xor_b64 vcc, exec, -1
.LBB47_7087:
	s_or_b64 exec, exec, s[82:83]
	s_andn2_b64 s[82:83], s[66:67], exec
	s_and_b64 vcc, vcc, exec
	s_or_b64 s[82:83], s[82:83], vcc
	s_and_b64 s[80:81], s[80:81], exec
                                        ; implicit-def: $vgpr2_vgpr3
                                        ; implicit-def: $vgpr30
.LBB47_7088:
	s_andn2_saveexec_b64 s[84:85], s[4:5]
	s_cbranch_execz .LBB47_7094
; %bb.7089:
	v_mov_b32_e32 v1, 44
	v_cmp_eq_u16_sdwa s[88:89], v11, v1 src0_sel:BYTE_0 src1_sel:DWORD
	s_mov_b64 vcc, -1
	s_mov_b64 s[4:5], s[80:81]
	s_and_saveexec_b64 s[86:87], s[88:89]
	s_cbranch_execz .LBB47_7093
; %bb.7090:
	v_bfe_u32 v1, v30, 23, 8
	s_movk_i32 s4, 0xff
	v_cmp_ne_u32_e32 vcc, s4, v1
	v_mov_b32_e32 v4, 0xff
	s_and_saveexec_b64 s[88:89], vcc
; %bb.7091:
	s_mov_b32 s4, 0x3fffff
	v_and_b32_e32 v5, 0x400000, v30
	v_and_or_b32 v1, v30, s4, v1
	v_cmp_ne_u32_e32 vcc, 0, v5
	v_cmp_ne_u32_e64 s[4:5], 0, v1
	s_and_b64 s[4:5], vcc, s[4:5]
	v_lshrrev_b32_e32 v4, 23, v30
	v_cndmask_b32_e64 v1, 0, 1, s[4:5]
	v_add_u32_e32 v4, v4, v1
; %bb.7092:
	s_or_b64 exec, exec, s[88:89]
	s_xor_b64 vcc, exec, -1
	s_or_b64 s[4:5], s[80:81], exec
	flat_store_byte v[2:3], v4
.LBB47_7093:
	s_or_b64 exec, exec, s[86:87]
	s_andn2_b64 s[82:83], s[82:83], exec
	s_and_b64 vcc, vcc, exec
	s_or_b64 s[82:83], s[82:83], vcc
	s_andn2_b64 vcc, s[80:81], exec
	s_and_b64 s[4:5], s[4:5], exec
	s_or_b64 s[80:81], vcc, s[4:5]
.LBB47_7094:
	s_or_b64 exec, exec, s[84:85]
	s_andn2_b64 s[4:5], s[66:67], exec
	s_and_b64 vcc, s[82:83], exec
	s_or_b64 vcc, s[4:5], vcc
	s_and_b64 s[4:5], s[80:81], exec
                                        ; implicit-def: $vgpr30
                                        ; implicit-def: $vgpr2_vgpr3
.LBB47_7095:
	s_andn2_saveexec_b64 s[78:79], s[78:79]
	s_cbranch_execz .LBB47_7099
; %bb.7096:
	v_mov_b32_e32 v1, 29
	v_cmp_eq_u16_sdwa s[86:87], v11, v1 src0_sel:BYTE_0 src1_sel:DWORD
	s_mov_b64 s[84:85], -1
	s_mov_b64 s[82:83], s[4:5]
	s_and_saveexec_b64 s[80:81], s[86:87]
	s_cbranch_execz .LBB47_7098
; %bb.7097:
	v_trunc_f32_e32 v1, v30
	v_mul_f32_e32 v4, 0x2f800000, v1
	v_floor_f32_e32 v4, v4
	v_fmac_f32_e32 v1, 0xcf800000, v4
	v_cvt_u32_f32_e32 v5, v4
	v_cvt_u32_f32_e32 v4, v1
	s_xor_b64 s[84:85], exec, -1
	s_or_b64 s[82:83], s[4:5], exec
	flat_store_dwordx2 v[2:3], v[4:5]
.LBB47_7098:
	s_or_b64 exec, exec, s[80:81]
	s_andn2_b64 vcc, vcc, exec
	s_and_b64 s[80:81], s[84:85], exec
	s_or_b64 vcc, vcc, s[80:81]
	s_andn2_b64 s[4:5], s[4:5], exec
	s_and_b64 s[80:81], s[82:83], exec
	s_or_b64 s[4:5], s[4:5], s[80:81]
.LBB47_7099:
	s_or_b64 exec, exec, s[78:79]
	s_andn2_b64 s[78:79], s[66:67], exec
	s_and_b64 vcc, vcc, exec
	s_or_b64 s[78:79], s[78:79], vcc
	s_and_b64 s[4:5], s[4:5], exec
                                        ; implicit-def: $vgpr2_vgpr3
                                        ; implicit-def: $vgpr30
.LBB47_7100:
	s_andn2_saveexec_b64 s[74:75], s[74:75]
	s_cbranch_execz .LBB47_7116
; %bb.7101:
	v_mov_b32_e32 v1, 26
	v_cmp_gt_i16_sdwa vcc, v11, v1 src0_sel:BYTE_0 src1_sel:DWORD
	s_and_saveexec_b64 s[80:81], vcc
	s_xor_b64 vcc, exec, s[80:81]
	s_cbranch_execz .LBB47_7107
; %bb.7102:
	v_cvt_u32_f32_e32 v1, v30
	v_mov_b32_e32 v4, 27
	v_cmp_gt_i16_sdwa s[80:81], v11, v4 src0_sel:BYTE_0 src1_sel:DWORD
	s_and_saveexec_b64 s[82:83], s[80:81]
	s_xor_b64 s[80:81], exec, s[82:83]
	s_cbranch_execz .LBB47_7104
; %bb.7103:
	flat_store_dword v[2:3], v1
                                        ; implicit-def: $vgpr2_vgpr3
                                        ; implicit-def: $vgpr1
.LBB47_7104:
	s_andn2_saveexec_b64 s[80:81], s[80:81]
	s_cbranch_execz .LBB47_7106
; %bb.7105:
	flat_store_short v[2:3], v1
.LBB47_7106:
	s_or_b64 exec, exec, s[80:81]
                                        ; implicit-def: $vgpr2_vgpr3
                                        ; implicit-def: $vgpr30
.LBB47_7107:
	s_andn2_saveexec_b64 s[80:81], vcc
	s_cbranch_execz .LBB47_7115
; %bb.7108:
	v_and_b32_e32 v1, 0x7fffffff, v30
	s_mov_b32 vcc_lo, 0x43800000
	v_cmp_gt_u32_e32 vcc, vcc_lo, v1
	v_mov_b32_e32 v4, 0x80
	s_and_saveexec_b64 s[82:83], vcc
	s_cbranch_execz .LBB47_7114
; %bb.7109:
	s_mov_b32 vcc_lo, 0x3bffffff
	v_cmp_lt_u32_e32 vcc, vcc_lo, v1
	s_mov_b64 s[84:85], 0
                                        ; implicit-def: $vgpr1
	s_and_saveexec_b64 s[86:87], vcc
	s_xor_b64 vcc, exec, s[86:87]
	s_cbranch_execnz .LBB47_7835
; %bb.7110:
	s_or_saveexec_b64 s[86:87], vcc
                                        ; implicit-def: $sgpr88
	s_xor_b64 exec, exec, s[86:87]
	s_cbranch_execnz .LBB47_7836
.LBB47_7111:
	s_or_b64 exec, exec, s[86:87]
	v_mov_b32_e32 v4, s88
	s_and_saveexec_b64 vcc, s[84:85]
.LBB47_7112:
	v_lshrrev_b32_e32 v4, 24, v30
	s_movk_i32 s84, 0x80
	v_and_or_b32 v4, v4, s84, v1
.LBB47_7113:
	s_or_b64 exec, exec, vcc
.LBB47_7114:
	s_or_b64 exec, exec, s[82:83]
	flat_store_byte v[2:3], v4
.LBB47_7115:
	s_or_b64 exec, exec, s[80:81]
	s_or_b64 s[4:5], s[4:5], exec
.LBB47_7116:
	s_or_b64 exec, exec, s[74:75]
	s_andn2_b64 vcc, s[66:67], exec
	s_and_b64 s[74:75], s[78:79], exec
	s_or_b64 s[74:75], vcc, s[74:75]
	s_and_b64 s[4:5], s[4:5], exec
                                        ; implicit-def: $vgpr30
                                        ; implicit-def: $vgpr2_vgpr3
.LBB47_7117:
	s_andn2_saveexec_b64 s[76:77], s[76:77]
	s_cbranch_execz .LBB47_7161
; %bb.7118:
	v_mov_b32_e32 v1, 22
	v_cmp_gt_i16_sdwa vcc, v11, v1 src0_sel:BYTE_0 src1_sel:DWORD
	s_mov_b64 s[80:81], s[4:5]
	s_and_saveexec_b64 s[78:79], vcc
	s_xor_b64 s[78:79], exec, s[78:79]
	s_cbranch_execz .LBB47_7150
; %bb.7119:
	v_mov_b32_e32 v1, 23
	v_cmp_gt_i16_sdwa vcc, v11, v1 src0_sel:BYTE_0 src1_sel:DWORD
	s_and_saveexec_b64 s[80:81], vcc
	s_xor_b64 s[80:81], exec, s[80:81]
	s_cbranch_execz .LBB47_7139
; %bb.7120:
	v_mov_b32_e32 v1, 24
	v_cmp_gt_i16_sdwa vcc, v11, v1 src0_sel:BYTE_0 src1_sel:DWORD
	s_and_saveexec_b64 s[82:83], vcc
	s_xor_b64 s[82:83], exec, s[82:83]
	s_cbranch_execz .LBB47_7128
; %bb.7121:
	v_and_b32_e32 v1, 0x7fffffff, v30
	s_mov_b32 vcc_lo, 0x47800000
	v_cmp_gt_u32_e32 vcc, vcc_lo, v1
	v_mov_b32_e32 v4, 0x80
	s_and_saveexec_b64 s[84:85], vcc
	s_cbranch_execz .LBB47_7127
; %bb.7122:
	s_mov_b32 vcc_lo, 0x37ffffff
	v_cmp_lt_u32_e32 vcc, vcc_lo, v1
	s_mov_b64 s[86:87], 0
                                        ; implicit-def: $vgpr1
	s_and_saveexec_b64 s[88:89], vcc
	s_xor_b64 vcc, exec, s[88:89]
	s_cbranch_execnz .LBB47_7837
; %bb.7123:
	s_or_saveexec_b64 s[88:89], vcc
                                        ; implicit-def: $sgpr90
	s_xor_b64 exec, exec, s[88:89]
	s_cbranch_execnz .LBB47_7838
.LBB47_7124:
	s_or_b64 exec, exec, s[88:89]
	v_mov_b32_e32 v4, s90
	s_and_saveexec_b64 vcc, s[86:87]
.LBB47_7125:
	v_lshrrev_b32_e32 v4, 24, v30
	s_movk_i32 s86, 0x80
	v_and_or_b32 v4, v4, s86, v1
.LBB47_7126:
	s_or_b64 exec, exec, vcc
.LBB47_7127:
	s_or_b64 exec, exec, s[84:85]
	flat_store_byte v[2:3], v4
                                        ; implicit-def: $vgpr30
                                        ; implicit-def: $vgpr2_vgpr3
.LBB47_7128:
	s_andn2_saveexec_b64 s[82:83], s[82:83]
	s_cbranch_execz .LBB47_7138
; %bb.7129:
	v_and_b32_e32 v4, 0x7fffffff, v30
	s_mov_b32 vcc_lo, 0x43f00000
	v_cmp_gt_u32_e32 vcc, vcc_lo, v4
                                        ; implicit-def: $vgpr1
	s_and_saveexec_b64 s[84:85], vcc
	s_xor_b64 s[84:85], exec, s[84:85]
	s_cbranch_execz .LBB47_7135
; %bb.7130:
	s_mov_b32 vcc_lo, 0x3c7fffff
	v_cmp_lt_u32_e32 vcc, vcc_lo, v4
                                        ; implicit-def: $vgpr1
	s_and_saveexec_b64 s[86:87], vcc
	s_xor_b64 s[86:87], exec, s[86:87]
; %bb.7131:
	v_bfe_u32 v1, v30, 20, 1
	s_mov_b32 vcc_lo, 0x407ffff
	v_add3_u32 v1, v30, v1, vcc_lo
	v_lshrrev_b32_e32 v4, 20, v1
	v_and_b32_e32 v1, 0xff00000, v1
	s_mov_b32 vcc_lo, 0x7f00000
	v_mov_b32_e32 v5, 0x7e
	v_cmp_ne_u32_e32 vcc, vcc_lo, v1
	v_cndmask_b32_e32 v1, v5, v4, vcc
; %bb.7132:
	s_andn2_saveexec_b64 vcc, s[86:87]
; %bb.7133:
	s_mov_b32 s86, 0x46800000
	v_add_f32_e64 v1, |v30|, s86
; %bb.7134:
	s_or_b64 exec, exec, vcc
                                        ; implicit-def: $vgpr4
.LBB47_7135:
	s_andn2_saveexec_b64 s[84:85], s[84:85]
; %bb.7136:
	s_mov_b32 vcc_lo, 0x7f800000
	v_mov_b32_e32 v1, 0x7e
	v_mov_b32_e32 v5, 0x7f
	v_cmp_lt_u32_e32 vcc, vcc_lo, v4
	v_cndmask_b32_e32 v1, v1, v5, vcc
; %bb.7137:
	s_or_b64 exec, exec, s[84:85]
	v_lshrrev_b32_e32 v4, 24, v30
	s_movk_i32 vcc_lo, 0x80
	v_and_or_b32 v1, v4, vcc_lo, v1
	flat_store_byte v[2:3], v1
.LBB47_7138:
	s_or_b64 exec, exec, s[82:83]
                                        ; implicit-def: $vgpr30
                                        ; implicit-def: $vgpr2_vgpr3
.LBB47_7139:
	s_andn2_saveexec_b64 s[80:81], s[80:81]
	s_cbranch_execz .LBB47_7149
; %bb.7140:
	v_and_b32_e32 v4, 0x7fffffff, v30
	s_mov_b32 vcc_lo, 0x47800000
	v_cmp_gt_u32_e32 vcc, vcc_lo, v4
                                        ; implicit-def: $vgpr1
	s_and_saveexec_b64 s[82:83], vcc
	s_xor_b64 s[82:83], exec, s[82:83]
	s_cbranch_execz .LBB47_7146
; %bb.7141:
	s_mov_b32 vcc_lo, 0x387fffff
	v_cmp_lt_u32_e32 vcc, vcc_lo, v4
                                        ; implicit-def: $vgpr1
	s_and_saveexec_b64 s[84:85], vcc
	s_xor_b64 vcc, exec, s[84:85]
; %bb.7142:
	v_bfe_u32 v1, v30, 21, 1
	s_mov_b32 s84, 0x80fffff
	v_add3_u32 v1, v30, v1, s84
	v_lshrrev_b32_e32 v1, 21, v1
; %bb.7143:
	s_andn2_saveexec_b64 vcc, vcc
; %bb.7144:
	s_mov_b32 s84, 0x43000000
	v_add_f32_e64 v1, |v30|, s84
; %bb.7145:
	s_or_b64 exec, exec, vcc
                                        ; implicit-def: $vgpr4
.LBB47_7146:
	s_andn2_saveexec_b64 s[82:83], s[82:83]
; %bb.7147:
	s_mov_b32 vcc_lo, 0x7f800000
	v_mov_b32_e32 v1, 0x7c
	v_mov_b32_e32 v5, 0x7f
	v_cmp_lt_u32_e32 vcc, vcc_lo, v4
	v_cndmask_b32_e32 v1, v1, v5, vcc
; %bb.7148:
	s_or_b64 exec, exec, s[82:83]
	v_lshrrev_b32_e32 v4, 24, v30
	s_movk_i32 vcc_lo, 0x80
	v_and_or_b32 v1, v4, vcc_lo, v1
	flat_store_byte v[2:3], v1
.LBB47_7149:
	s_or_b64 exec, exec, s[80:81]
	s_or_b64 s[80:81], s[4:5], exec
                                        ; implicit-def: $vgpr30
                                        ; implicit-def: $vgpr2_vgpr3
.LBB47_7150:
	s_or_saveexec_b64 s[78:79], s[78:79]
	s_mov_b64 vcc, s[74:75]
	s_xor_b64 exec, exec, s[78:79]
	s_cbranch_execz .LBB47_7160
; %bb.7151:
	v_mov_b32_e32 v1, 14
	v_cmp_gt_i16_sdwa vcc, v11, v1 src0_sel:BYTE_0 src1_sel:DWORD
	s_mov_b64 s[82:83], s[80:81]
	s_mov_b64 s[84:85], s[74:75]
	s_and_saveexec_b64 s[86:87], vcc
	s_xor_b64 s[86:87], exec, s[86:87]
	s_cbranch_execz .LBB47_7155
; %bb.7152:
	v_mov_b32_e32 v1, 15
	v_cmp_eq_u16_sdwa s[88:89], v11, v1 src0_sel:BYTE_0 src1_sel:DWORD
	s_mov_b64 s[84:85], -1
	s_mov_b64 vcc, s[80:81]
	s_and_saveexec_b64 s[82:83], s[88:89]
	s_cbranch_execz .LBB47_7154
; %bb.7153:
	v_bfe_u32 v1, v30, 16, 1
	s_movk_i32 vcc_lo, 0x7fff
	v_add3_u32 v1, v30, v1, vcc_lo
	v_lshrrev_b32_e32 v1, 16, v1
	v_mov_b32_e32 v4, 0x7fc0
	v_cmp_o_f32_e32 vcc, v30, v30
	v_cndmask_b32_e32 v1, v4, v1, vcc
	flat_store_short v[2:3], v1
	s_xor_b64 s[84:85], exec, -1
	s_or_b64 vcc, s[80:81], exec
.LBB47_7154:
	s_or_b64 exec, exec, s[82:83]
	s_andn2_b64 s[82:83], s[74:75], exec
	s_and_b64 s[84:85], s[84:85], exec
	s_or_b64 s[84:85], s[82:83], s[84:85]
	s_andn2_b64 s[82:83], s[80:81], exec
	s_and_b64 vcc, vcc, exec
	s_or_b64 s[82:83], s[82:83], vcc
                                        ; implicit-def: $vgpr30
                                        ; implicit-def: $vgpr2_vgpr3
.LBB47_7155:
	s_andn2_saveexec_b64 s[86:87], s[86:87]
	s_cbranch_execz .LBB47_7159
; %bb.7156:
	v_mov_b32_e32 v1, 11
	v_cmp_eq_u16_sdwa s[92:93], v11, v1 src0_sel:BYTE_0 src1_sel:DWORD
	s_mov_b64 s[88:89], -1
	s_mov_b64 vcc, s[82:83]
	s_and_saveexec_b64 s[90:91], s[92:93]
	s_cbranch_execz .LBB47_7158
; %bb.7157:
	v_cmp_neq_f32_e32 vcc, 0, v30
	v_cndmask_b32_e64 v1, 0, 1, vcc
	flat_store_byte v[2:3], v1
	s_xor_b64 s[88:89], exec, -1
	s_or_b64 vcc, s[82:83], exec
.LBB47_7158:
	s_or_b64 exec, exec, s[90:91]
	s_andn2_b64 s[84:85], s[84:85], exec
	s_and_b64 s[88:89], s[88:89], exec
	s_andn2_b64 s[82:83], s[82:83], exec
	s_and_b64 vcc, vcc, exec
	s_or_b64 s[84:85], s[84:85], s[88:89]
	s_or_b64 s[82:83], s[82:83], vcc
.LBB47_7159:
	s_or_b64 exec, exec, s[86:87]
	s_andn2_b64 vcc, s[74:75], exec
	s_and_b64 s[84:85], s[84:85], exec
	s_andn2_b64 s[80:81], s[80:81], exec
	s_and_b64 s[82:83], s[82:83], exec
	s_or_b64 vcc, vcc, s[84:85]
	s_or_b64 s[80:81], s[80:81], s[82:83]
.LBB47_7160:
	s_or_b64 exec, exec, s[78:79]
	s_andn2_b64 s[74:75], s[74:75], exec
	s_and_b64 vcc, vcc, exec
	s_or_b64 s[74:75], s[74:75], vcc
	s_andn2_b64 s[4:5], s[4:5], exec
	s_and_b64 vcc, s[80:81], exec
	s_or_b64 s[4:5], s[4:5], vcc
.LBB47_7161:
	s_or_b64 exec, exec, s[76:77]
	s_andn2_b64 vcc, s[66:67], exec
	s_and_b64 s[74:75], s[74:75], exec
	s_or_b64 s[74:75], vcc, s[74:75]
	s_and_b64 s[4:5], s[4:5], exec
                                        ; implicit-def: $vgpr30
                                        ; implicit-def: $vgpr2_vgpr3
	s_andn2_saveexec_b64 s[70:71], s[70:71]
	s_cbranch_execz .LBB47_3979
.LBB47_7162:
	v_mov_b32_e32 v1, 4
	v_cmp_gt_i16_sdwa vcc, v11, v1 src0_sel:BYTE_0 src1_sel:DWORD
	s_and_saveexec_b64 s[76:77], vcc
	s_xor_b64 vcc, exec, s[76:77]
	s_cbranch_execz .LBB47_7184
; %bb.7163:
	v_mov_b32_e32 v1, 7
	v_cmp_gt_i16_sdwa s[76:77], v11, v1 src0_sel:BYTE_0 src1_sel:DWORD
	s_and_saveexec_b64 s[78:79], s[76:77]
	s_xor_b64 s[76:77], exec, s[78:79]
	s_cbranch_execz .LBB47_7173
; %bb.7164:
	v_mov_b32_e32 v1, 8
	v_cmp_gt_i16_sdwa s[78:79], v11, v1 src0_sel:BYTE_0 src1_sel:DWORD
	s_and_saveexec_b64 s[80:81], s[78:79]
	s_xor_b64 s[78:79], exec, s[80:81]
	;; [unrolled: 6-line block ×3, first 2 shown]
	s_cbranch_execz .LBB47_7167
; %bb.7166:
	v_mov_b32_e32 v32, 0
	v_cvt_f64_f32_e32 v[30:31], v30
	v_mov_b32_e32 v33, v32
	flat_store_dwordx4 v[2:3], v[30:33]
                                        ; implicit-def: $vgpr30
                                        ; implicit-def: $vgpr2_vgpr3
.LBB47_7167:
	s_andn2_saveexec_b64 s[80:81], s[80:81]
	s_cbranch_execz .LBB47_7169
; %bb.7168:
	v_mov_b32_e32 v31, 0
	flat_store_dwordx2 v[2:3], v[30:31]
.LBB47_7169:
	s_or_b64 exec, exec, s[80:81]
                                        ; implicit-def: $vgpr30
                                        ; implicit-def: $vgpr2_vgpr3
.LBB47_7170:
	s_andn2_saveexec_b64 s[78:79], s[78:79]
	s_cbranch_execz .LBB47_7172
; %bb.7171:
	v_cvt_f16_f32_e32 v1, v30
	flat_store_dword v[2:3], v1
.LBB47_7172:
	s_or_b64 exec, exec, s[78:79]
                                        ; implicit-def: $vgpr30
                                        ; implicit-def: $vgpr2_vgpr3
.LBB47_7173:
	s_andn2_saveexec_b64 s[76:77], s[76:77]
	s_cbranch_execz .LBB47_7183
; %bb.7174:
	v_mov_b32_e32 v1, 5
	v_cmp_gt_i16_sdwa s[78:79], v11, v1 src0_sel:BYTE_0 src1_sel:DWORD
	s_and_saveexec_b64 s[80:81], s[78:79]
	s_xor_b64 s[78:79], exec, s[80:81]
	s_cbranch_execz .LBB47_7180
; %bb.7175:
	v_mov_b32_e32 v1, 6
	v_cmp_gt_i16_sdwa s[80:81], v11, v1 src0_sel:BYTE_0 src1_sel:DWORD
	s_and_saveexec_b64 s[82:83], s[80:81]
	s_xor_b64 s[80:81], exec, s[82:83]
	s_cbranch_execz .LBB47_7177
; %bb.7176:
	v_cvt_f64_f32_e32 v[4:5], v30
	flat_store_dwordx2 v[2:3], v[4:5]
                                        ; implicit-def: $vgpr2_vgpr3
                                        ; implicit-def: $vgpr30
.LBB47_7177:
	s_andn2_saveexec_b64 s[80:81], s[80:81]
	s_cbranch_execz .LBB47_7179
; %bb.7178:
	flat_store_dword v[2:3], v30
.LBB47_7179:
	s_or_b64 exec, exec, s[80:81]
                                        ; implicit-def: $vgpr30
                                        ; implicit-def: $vgpr2_vgpr3
.LBB47_7180:
	s_andn2_saveexec_b64 s[78:79], s[78:79]
	s_cbranch_execz .LBB47_7182
; %bb.7181:
	v_cvt_f16_f32_e32 v1, v30
	flat_store_short v[2:3], v1
.LBB47_7182:
	s_or_b64 exec, exec, s[78:79]
.LBB47_7183:
	s_or_b64 exec, exec, s[76:77]
                                        ; implicit-def: $vgpr30
                                        ; implicit-def: $vgpr2_vgpr3
.LBB47_7184:
	s_andn2_saveexec_b64 s[76:77], vcc
	s_cbranch_execz .LBB47_7202
; %bb.7185:
	v_mov_b32_e32 v1, 1
	v_cmp_gt_i16_sdwa vcc, v11, v1 src0_sel:BYTE_0 src1_sel:DWORD
	s_and_saveexec_b64 s[78:79], vcc
	s_xor_b64 s[78:79], exec, s[78:79]
	s_cbranch_execz .LBB47_7195
; %bb.7186:
	v_mov_b32_e32 v1, 2
	v_cmp_gt_i16_sdwa vcc, v11, v1 src0_sel:BYTE_0 src1_sel:DWORD
	s_and_saveexec_b64 s[80:81], vcc
	s_xor_b64 s[80:81], exec, s[80:81]
	;; [unrolled: 6-line block ×3, first 2 shown]
	s_cbranch_execz .LBB47_7189
; %bb.7188:
	v_trunc_f32_e32 v1, v30
	s_mov_b32 s84, 0x2f800000
	v_mul_f32_e64 v4, |v1|, s84
	v_floor_f32_e32 v4, v4
	s_mov_b32 s84, 0xcf800000
	v_cvt_u32_f32_e32 v5, v4
	v_fma_f32 v4, v4, s84, |v1|
	v_cvt_u32_f32_e32 v4, v4
	v_ashrrev_i32_e32 v1, 31, v1
	v_xor_b32_e32 v5, v5, v1
                                        ; implicit-def: $vgpr30
	v_xor_b32_e32 v4, v4, v1
	v_sub_co_u32_e32 v4, vcc, v4, v1
	v_subb_co_u32_e32 v5, vcc, v5, v1, vcc
	flat_store_dwordx2 v[2:3], v[4:5]
                                        ; implicit-def: $vgpr2_vgpr3
.LBB47_7189:
	s_andn2_saveexec_b64 vcc, s[82:83]
	s_cbranch_execz .LBB47_7191
; %bb.7190:
	v_cvt_i32_f32_e32 v1, v30
	flat_store_dword v[2:3], v1
.LBB47_7191:
	s_or_b64 exec, exec, vcc
                                        ; implicit-def: $vgpr30
                                        ; implicit-def: $vgpr2_vgpr3
.LBB47_7192:
	s_andn2_saveexec_b64 vcc, s[80:81]
	s_cbranch_execz .LBB47_7194
; %bb.7193:
	v_cvt_i32_f32_e32 v1, v30
	flat_store_short v[2:3], v1
.LBB47_7194:
	s_or_b64 exec, exec, vcc
                                        ; implicit-def: $vgpr30
                                        ; implicit-def: $vgpr2_vgpr3
.LBB47_7195:
	s_andn2_saveexec_b64 vcc, s[78:79]
	s_cbranch_execz .LBB47_7201
; %bb.7196:
	v_mov_b32_e32 v1, 0
	v_cmp_gt_i16_sdwa s[78:79], v11, v1 src0_sel:BYTE_0 src1_sel:DWORD
	s_and_saveexec_b64 s[80:81], s[78:79]
	s_xor_b64 s[78:79], exec, s[80:81]
	s_cbranch_execz .LBB47_7198
; %bb.7197:
	v_cvt_i32_f32_e32 v1, v30
                                        ; implicit-def: $vgpr30
	flat_store_byte v[2:3], v1
                                        ; implicit-def: $vgpr2_vgpr3
.LBB47_7198:
	s_andn2_saveexec_b64 s[78:79], s[78:79]
	s_cbranch_execz .LBB47_7200
; %bb.7199:
	v_trunc_f32_e32 v1, v30
	s_mov_b32 s80, 0x2f800000
	v_mul_f32_e64 v4, |v1|, s80
	v_floor_f32_e32 v4, v4
	s_mov_b32 s80, 0xcf800000
	v_fma_f32 v4, v4, s80, |v1|
	v_cvt_u32_f32_e32 v4, v4
	v_ashrrev_i32_e32 v1, 31, v1
	v_xor_b32_e32 v4, v4, v1
	v_sub_u32_e32 v1, v4, v1
	flat_store_byte v[2:3], v1
.LBB47_7200:
	s_or_b64 exec, exec, s[78:79]
.LBB47_7201:
	s_or_b64 exec, exec, vcc
.LBB47_7202:
	s_or_b64 exec, exec, s[76:77]
	s_or_b64 s[4:5], s[4:5], exec
	s_or_b64 exec, exec, s[70:71]
	s_mov_b64 vcc, 0
	s_and_saveexec_b64 s[70:71], s[4:5]
	s_cbranch_execnz .LBB47_3980
	s_branch .LBB47_3981
.LBB47_7203:
	v_bfe_u32 v1, v50, 21, 1
	s_mov_b32 s64, 0x88fffff
	v_add3_u32 v1, v50, v1, s64
	s_mov_b64 s[62:63], exec
	v_lshrrev_b32_e32 v1, 21, v1
	s_or_saveexec_b64 s[64:65], vcc
                                        ; implicit-def: $sgpr66
	s_xor_b64 exec, exec, s[64:65]
	s_cbranch_execz .LBB47_6368
.LBB47_7204:
	s_mov_b32 s66, 0x42800000
	v_add_f32_e64 v1, |v50|, s66
	v_and_b32_e32 v1, 0xff, v1
	v_cmp_ne_u32_e32 vcc, 0, v1
	s_andn2_b64 s[62:63], s[62:63], exec
	s_and_b64 vcc, vcc, exec
	s_mov_b32 s66, 0
	s_or_b64 s[62:63], s[62:63], vcc
	s_or_b64 exec, exec, s[64:65]
	v_mov_b32_e32 v4, s66
	s_and_saveexec_b64 vcc, s[62:63]
	s_cbranch_execnz .LBB47_6369
	s_branch .LBB47_6370
.LBB47_7205:
	v_bfe_u32 v1, v48, 20, 1
	s_mov_b32 s66, 0x487ffff
	v_add3_u32 v1, v48, v1, s66
	s_mov_b64 s[64:65], exec
	v_lshrrev_b32_e32 v1, 20, v1
	s_or_saveexec_b64 s[66:67], vcc
                                        ; implicit-def: $sgpr68
	s_xor_b64 exec, exec, s[66:67]
	s_cbranch_execz .LBB47_6481
.LBB47_7206:
	s_mov_b32 s68, 0x46000000
	v_add_f32_e64 v1, |v48|, s68
	v_and_b32_e32 v1, 0xff, v1
	v_cmp_ne_u32_e32 vcc, 0, v1
	s_andn2_b64 s[64:65], s[64:65], exec
	s_and_b64 vcc, vcc, exec
	s_mov_b32 s68, 0
	s_or_b64 s[64:65], s[64:65], vcc
	s_or_b64 exec, exec, s[66:67]
	v_mov_b32_e32 v4, s68
	s_and_saveexec_b64 vcc, s[64:65]
	s_cbranch_execnz .LBB47_6482
	s_branch .LBB47_6483
.LBB47_7207:
	v_mov_b32_e32 v1, 25
	v_cmp_gt_i16_sdwa vcc, v11, v1 src0_sel:BYTE_0 src1_sel:DWORD
	s_mov_b64 s[78:79], s[70:71]
	s_and_saveexec_b64 s[80:81], vcc
	s_xor_b64 s[80:81], exec, s[80:81]
	s_cbranch_execz .LBB47_7243
; %bb.7208:
	v_mov_b32_e32 v1, 28
	v_cmp_gt_i16_sdwa vcc, v11, v1 src0_sel:BYTE_0 src1_sel:DWORD
	s_mov_b64 s[82:83], s[70:71]
	s_and_saveexec_b64 s[78:79], vcc
	s_xor_b64 s[78:79], exec, s[78:79]
	s_cbranch_execz .LBB47_7226
; %bb.7209:
	v_mov_b32_e32 v1, 43
	v_cmp_gt_i16_sdwa s[82:83], v11, v1 src0_sel:BYTE_0 src1_sel:DWORD
	s_mov_b64 vcc, s[70:71]
	s_and_saveexec_b64 s[84:85], s[82:83]
	s_xor_b64 s[82:83], exec, s[84:85]
	s_cbranch_execz .LBB47_7221
; %bb.7210:
	v_mov_b32_e32 v1, 45
	v_cmp_gt_i16_sdwa s[4:5], v11, v1 src0_sel:BYTE_0 src1_sel:DWORD
	s_mov_b64 s[84:85], 0
	s_mov_b64 s[86:87], s[70:71]
	s_and_saveexec_b64 vcc, s[4:5]
	s_xor_b64 s[4:5], exec, vcc
	s_cbranch_execz .LBB47_7214
; %bb.7211:
	v_mov_b32_e32 v1, 46
	v_cmp_eq_u16_sdwa s[88:89], v11, v1 src0_sel:BYTE_0 src1_sel:DWORD
	s_mov_b64 vcc, -1
	s_and_saveexec_b64 s[86:87], s[88:89]
	s_cbranch_execz .LBB47_7213
; %bb.7212:
	v_bfe_u32 v1, v28, 16, 1
	s_movk_i32 vcc_lo, 0x7fff
	v_add3_u32 v1, v28, v1, vcc_lo
	v_lshrrev_b32_e32 v1, 16, v1
	v_mov_b32_e32 v4, 0x7fc0
	v_cmp_o_f32_e32 vcc, v28, v28
	v_cndmask_b32_e32 v1, v4, v1, vcc
	s_mov_b64 s[84:85], exec
	flat_store_dword v[2:3], v1
	s_xor_b64 vcc, exec, -1
.LBB47_7213:
	s_or_b64 exec, exec, s[86:87]
	s_andn2_b64 s[86:87], s[70:71], exec
	s_and_b64 vcc, vcc, exec
	s_or_b64 s[86:87], s[86:87], vcc
	s_and_b64 s[84:85], s[84:85], exec
                                        ; implicit-def: $vgpr2_vgpr3
                                        ; implicit-def: $vgpr28
.LBB47_7214:
	s_andn2_saveexec_b64 s[88:89], s[4:5]
	s_cbranch_execz .LBB47_7220
; %bb.7215:
	v_mov_b32_e32 v1, 44
	v_cmp_eq_u16_sdwa s[92:93], v11, v1 src0_sel:BYTE_0 src1_sel:DWORD
	s_mov_b64 vcc, -1
	s_mov_b64 s[4:5], s[84:85]
	s_and_saveexec_b64 s[90:91], s[92:93]
	s_cbranch_execz .LBB47_7219
; %bb.7216:
	v_bfe_u32 v1, v28, 23, 8
	s_movk_i32 s4, 0xff
	v_cmp_ne_u32_e32 vcc, s4, v1
	v_mov_b32_e32 v4, 0xff
	s_and_saveexec_b64 s[92:93], vcc
; %bb.7217:
	s_mov_b32 s4, 0x3fffff
	v_and_b32_e32 v5, 0x400000, v28
	v_and_or_b32 v1, v28, s4, v1
	v_cmp_ne_u32_e32 vcc, 0, v5
	v_cmp_ne_u32_e64 s[4:5], 0, v1
	s_and_b64 s[4:5], vcc, s[4:5]
	v_lshrrev_b32_e32 v4, 23, v28
	v_cndmask_b32_e64 v1, 0, 1, s[4:5]
	v_add_u32_e32 v4, v4, v1
; %bb.7218:
	s_or_b64 exec, exec, s[92:93]
	s_xor_b64 vcc, exec, -1
	s_or_b64 s[4:5], s[84:85], exec
	flat_store_byte v[2:3], v4
.LBB47_7219:
	s_or_b64 exec, exec, s[90:91]
	s_andn2_b64 s[86:87], s[86:87], exec
	s_and_b64 vcc, vcc, exec
	s_or_b64 s[86:87], s[86:87], vcc
	s_andn2_b64 vcc, s[84:85], exec
	s_and_b64 s[4:5], s[4:5], exec
	s_or_b64 s[84:85], vcc, s[4:5]
.LBB47_7220:
	s_or_b64 exec, exec, s[88:89]
	s_andn2_b64 s[4:5], s[70:71], exec
	s_and_b64 vcc, s[86:87], exec
	s_or_b64 vcc, s[4:5], vcc
	s_and_b64 s[4:5], s[84:85], exec
                                        ; implicit-def: $vgpr28
                                        ; implicit-def: $vgpr2_vgpr3
.LBB47_7221:
	s_andn2_saveexec_b64 s[82:83], s[82:83]
	s_cbranch_execz .LBB47_7225
; %bb.7222:
	v_mov_b32_e32 v1, 29
	v_cmp_eq_u16_sdwa s[90:91], v11, v1 src0_sel:BYTE_0 src1_sel:DWORD
	s_mov_b64 s[88:89], -1
	s_mov_b64 s[86:87], s[4:5]
	s_and_saveexec_b64 s[84:85], s[90:91]
	s_cbranch_execz .LBB47_7224
; %bb.7223:
	v_trunc_f32_e32 v1, v28
	v_mul_f32_e32 v4, 0x2f800000, v1
	v_floor_f32_e32 v4, v4
	v_fmac_f32_e32 v1, 0xcf800000, v4
	v_cvt_u32_f32_e32 v5, v4
	v_cvt_u32_f32_e32 v4, v1
	s_xor_b64 s[88:89], exec, -1
	s_or_b64 s[86:87], s[4:5], exec
	flat_store_dwordx2 v[2:3], v[4:5]
.LBB47_7224:
	s_or_b64 exec, exec, s[84:85]
	s_andn2_b64 vcc, vcc, exec
	s_and_b64 s[84:85], s[88:89], exec
	s_or_b64 vcc, vcc, s[84:85]
	s_andn2_b64 s[4:5], s[4:5], exec
	s_and_b64 s[84:85], s[86:87], exec
	s_or_b64 s[4:5], s[4:5], s[84:85]
.LBB47_7225:
	s_or_b64 exec, exec, s[82:83]
	s_andn2_b64 s[82:83], s[70:71], exec
	s_and_b64 vcc, vcc, exec
	s_or_b64 s[82:83], s[82:83], vcc
	s_and_b64 s[4:5], s[4:5], exec
                                        ; implicit-def: $vgpr2_vgpr3
                                        ; implicit-def: $vgpr28
.LBB47_7226:
	s_andn2_saveexec_b64 s[78:79], s[78:79]
	s_cbranch_execz .LBB47_7242
; %bb.7227:
	v_mov_b32_e32 v1, 26
	v_cmp_gt_i16_sdwa vcc, v11, v1 src0_sel:BYTE_0 src1_sel:DWORD
	s_and_saveexec_b64 s[84:85], vcc
	s_xor_b64 vcc, exec, s[84:85]
	s_cbranch_execz .LBB47_7233
; %bb.7228:
	v_cvt_u32_f32_e32 v1, v28
	v_mov_b32_e32 v4, 27
	v_cmp_gt_i16_sdwa s[84:85], v11, v4 src0_sel:BYTE_0 src1_sel:DWORD
	s_and_saveexec_b64 s[86:87], s[84:85]
	s_xor_b64 s[84:85], exec, s[86:87]
	s_cbranch_execz .LBB47_7230
; %bb.7229:
	flat_store_dword v[2:3], v1
                                        ; implicit-def: $vgpr2_vgpr3
                                        ; implicit-def: $vgpr1
.LBB47_7230:
	s_andn2_saveexec_b64 s[84:85], s[84:85]
	s_cbranch_execz .LBB47_7232
; %bb.7231:
	flat_store_short v[2:3], v1
.LBB47_7232:
	s_or_b64 exec, exec, s[84:85]
                                        ; implicit-def: $vgpr2_vgpr3
                                        ; implicit-def: $vgpr28
.LBB47_7233:
	s_andn2_saveexec_b64 s[84:85], vcc
	s_cbranch_execz .LBB47_7241
; %bb.7234:
	v_and_b32_e32 v1, 0x7fffffff, v28
	s_mov_b32 vcc_lo, 0x43800000
	v_cmp_gt_u32_e32 vcc, vcc_lo, v1
	v_mov_b32_e32 v4, 0x80
	s_and_saveexec_b64 s[86:87], vcc
	s_cbranch_execz .LBB47_7240
; %bb.7235:
	s_mov_b32 vcc_lo, 0x3bffffff
	v_cmp_lt_u32_e32 vcc, vcc_lo, v1
	s_mov_b64 s[88:89], 0
                                        ; implicit-def: $vgpr1
	s_and_saveexec_b64 s[90:91], vcc
	s_xor_b64 vcc, exec, s[90:91]
	s_cbranch_execnz .LBB47_7839
; %bb.7236:
	s_or_saveexec_b64 s[90:91], vcc
                                        ; implicit-def: $sgpr92
	s_xor_b64 exec, exec, s[90:91]
	s_cbranch_execnz .LBB47_7840
.LBB47_7237:
	s_or_b64 exec, exec, s[90:91]
	v_mov_b32_e32 v4, s92
	s_and_saveexec_b64 vcc, s[88:89]
.LBB47_7238:
	v_lshrrev_b32_e32 v4, 24, v28
	s_movk_i32 s88, 0x80
	v_and_or_b32 v4, v4, s88, v1
.LBB47_7239:
	s_or_b64 exec, exec, vcc
.LBB47_7240:
	s_or_b64 exec, exec, s[86:87]
	flat_store_byte v[2:3], v4
.LBB47_7241:
	s_or_b64 exec, exec, s[84:85]
	s_or_b64 s[4:5], s[4:5], exec
.LBB47_7242:
	s_or_b64 exec, exec, s[78:79]
	s_andn2_b64 vcc, s[70:71], exec
	s_and_b64 s[78:79], s[82:83], exec
	s_or_b64 s[78:79], vcc, s[78:79]
	s_and_b64 s[4:5], s[4:5], exec
                                        ; implicit-def: $vgpr28
                                        ; implicit-def: $vgpr2_vgpr3
.LBB47_7243:
	s_andn2_saveexec_b64 s[80:81], s[80:81]
	s_cbranch_execz .LBB47_7287
; %bb.7244:
	v_mov_b32_e32 v1, 22
	v_cmp_gt_i16_sdwa vcc, v11, v1 src0_sel:BYTE_0 src1_sel:DWORD
	s_mov_b64 s[84:85], s[4:5]
	s_and_saveexec_b64 s[82:83], vcc
	s_xor_b64 s[82:83], exec, s[82:83]
	s_cbranch_execz .LBB47_7276
; %bb.7245:
	v_mov_b32_e32 v1, 23
	v_cmp_gt_i16_sdwa vcc, v11, v1 src0_sel:BYTE_0 src1_sel:DWORD
	s_and_saveexec_b64 s[84:85], vcc
	s_xor_b64 s[84:85], exec, s[84:85]
	s_cbranch_execz .LBB47_7265
; %bb.7246:
	v_mov_b32_e32 v1, 24
	v_cmp_gt_i16_sdwa vcc, v11, v1 src0_sel:BYTE_0 src1_sel:DWORD
	s_and_saveexec_b64 s[86:87], vcc
	s_xor_b64 s[86:87], exec, s[86:87]
	s_cbranch_execz .LBB47_7254
; %bb.7247:
	v_and_b32_e32 v1, 0x7fffffff, v28
	s_mov_b32 vcc_lo, 0x47800000
	v_cmp_gt_u32_e32 vcc, vcc_lo, v1
	v_mov_b32_e32 v4, 0x80
	s_and_saveexec_b64 s[88:89], vcc
	s_cbranch_execz .LBB47_7253
; %bb.7248:
	s_mov_b32 vcc_lo, 0x37ffffff
	v_cmp_lt_u32_e32 vcc, vcc_lo, v1
	s_mov_b64 s[90:91], 0
                                        ; implicit-def: $vgpr1
	s_and_saveexec_b64 s[92:93], vcc
	s_xor_b64 vcc, exec, s[92:93]
	s_cbranch_execnz .LBB47_7841
; %bb.7249:
	s_or_saveexec_b64 s[92:93], vcc
                                        ; implicit-def: $sgpr94
	s_xor_b64 exec, exec, s[92:93]
	s_cbranch_execnz .LBB47_7842
.LBB47_7250:
	s_or_b64 exec, exec, s[92:93]
	v_mov_b32_e32 v4, s94
	s_and_saveexec_b64 vcc, s[90:91]
.LBB47_7251:
	v_lshrrev_b32_e32 v4, 24, v28
	s_movk_i32 s90, 0x80
	v_and_or_b32 v4, v4, s90, v1
.LBB47_7252:
	s_or_b64 exec, exec, vcc
.LBB47_7253:
	s_or_b64 exec, exec, s[88:89]
	flat_store_byte v[2:3], v4
                                        ; implicit-def: $vgpr28
                                        ; implicit-def: $vgpr2_vgpr3
.LBB47_7254:
	s_andn2_saveexec_b64 s[86:87], s[86:87]
	s_cbranch_execz .LBB47_7264
; %bb.7255:
	v_and_b32_e32 v4, 0x7fffffff, v28
	s_mov_b32 vcc_lo, 0x43f00000
	v_cmp_gt_u32_e32 vcc, vcc_lo, v4
                                        ; implicit-def: $vgpr1
	s_and_saveexec_b64 s[88:89], vcc
	s_xor_b64 s[88:89], exec, s[88:89]
	s_cbranch_execz .LBB47_7261
; %bb.7256:
	s_mov_b32 vcc_lo, 0x3c7fffff
	v_cmp_lt_u32_e32 vcc, vcc_lo, v4
                                        ; implicit-def: $vgpr1
	s_and_saveexec_b64 s[90:91], vcc
	s_xor_b64 s[90:91], exec, s[90:91]
; %bb.7257:
	v_bfe_u32 v1, v28, 20, 1
	s_mov_b32 vcc_lo, 0x407ffff
	v_add3_u32 v1, v28, v1, vcc_lo
	v_lshrrev_b32_e32 v4, 20, v1
	v_and_b32_e32 v1, 0xff00000, v1
	s_mov_b32 vcc_lo, 0x7f00000
	v_mov_b32_e32 v5, 0x7e
	v_cmp_ne_u32_e32 vcc, vcc_lo, v1
	v_cndmask_b32_e32 v1, v5, v4, vcc
; %bb.7258:
	s_andn2_saveexec_b64 vcc, s[90:91]
; %bb.7259:
	s_mov_b32 s90, 0x46800000
	v_add_f32_e64 v1, |v28|, s90
; %bb.7260:
	s_or_b64 exec, exec, vcc
                                        ; implicit-def: $vgpr4
.LBB47_7261:
	s_andn2_saveexec_b64 s[88:89], s[88:89]
; %bb.7262:
	s_mov_b32 vcc_lo, 0x7f800000
	v_mov_b32_e32 v1, 0x7e
	v_mov_b32_e32 v5, 0x7f
	v_cmp_lt_u32_e32 vcc, vcc_lo, v4
	v_cndmask_b32_e32 v1, v1, v5, vcc
; %bb.7263:
	s_or_b64 exec, exec, s[88:89]
	v_lshrrev_b32_e32 v4, 24, v28
	s_movk_i32 vcc_lo, 0x80
	v_and_or_b32 v1, v4, vcc_lo, v1
	flat_store_byte v[2:3], v1
.LBB47_7264:
	s_or_b64 exec, exec, s[86:87]
                                        ; implicit-def: $vgpr28
                                        ; implicit-def: $vgpr2_vgpr3
.LBB47_7265:
	s_andn2_saveexec_b64 s[84:85], s[84:85]
	s_cbranch_execz .LBB47_7275
; %bb.7266:
	v_and_b32_e32 v4, 0x7fffffff, v28
	s_mov_b32 vcc_lo, 0x47800000
	v_cmp_gt_u32_e32 vcc, vcc_lo, v4
                                        ; implicit-def: $vgpr1
	s_and_saveexec_b64 s[86:87], vcc
	s_xor_b64 s[86:87], exec, s[86:87]
	s_cbranch_execz .LBB47_7272
; %bb.7267:
	s_mov_b32 vcc_lo, 0x387fffff
	v_cmp_lt_u32_e32 vcc, vcc_lo, v4
                                        ; implicit-def: $vgpr1
	s_and_saveexec_b64 s[88:89], vcc
	s_xor_b64 vcc, exec, s[88:89]
; %bb.7268:
	v_bfe_u32 v1, v28, 21, 1
	s_mov_b32 s88, 0x80fffff
	v_add3_u32 v1, v28, v1, s88
	v_lshrrev_b32_e32 v1, 21, v1
; %bb.7269:
	s_andn2_saveexec_b64 vcc, vcc
; %bb.7270:
	s_mov_b32 s88, 0x43000000
	v_add_f32_e64 v1, |v28|, s88
; %bb.7271:
	s_or_b64 exec, exec, vcc
                                        ; implicit-def: $vgpr4
.LBB47_7272:
	s_andn2_saveexec_b64 s[86:87], s[86:87]
; %bb.7273:
	s_mov_b32 vcc_lo, 0x7f800000
	v_mov_b32_e32 v1, 0x7c
	v_mov_b32_e32 v5, 0x7f
	v_cmp_lt_u32_e32 vcc, vcc_lo, v4
	v_cndmask_b32_e32 v1, v1, v5, vcc
; %bb.7274:
	s_or_b64 exec, exec, s[86:87]
	v_lshrrev_b32_e32 v4, 24, v28
	s_movk_i32 vcc_lo, 0x80
	v_and_or_b32 v1, v4, vcc_lo, v1
	flat_store_byte v[2:3], v1
.LBB47_7275:
	s_or_b64 exec, exec, s[84:85]
	s_or_b64 s[84:85], s[4:5], exec
                                        ; implicit-def: $vgpr28
                                        ; implicit-def: $vgpr2_vgpr3
.LBB47_7276:
	s_or_saveexec_b64 s[82:83], s[82:83]
	s_mov_b64 vcc, s[78:79]
	s_xor_b64 exec, exec, s[82:83]
	s_cbranch_execz .LBB47_7286
; %bb.7277:
	v_mov_b32_e32 v1, 14
	v_cmp_gt_i16_sdwa vcc, v11, v1 src0_sel:BYTE_0 src1_sel:DWORD
	s_mov_b64 s[86:87], s[84:85]
	s_mov_b64 s[88:89], s[78:79]
	s_and_saveexec_b64 s[90:91], vcc
	s_xor_b64 s[90:91], exec, s[90:91]
	s_cbranch_execz .LBB47_7281
; %bb.7278:
	v_mov_b32_e32 v1, 15
	v_cmp_eq_u16_sdwa s[92:93], v11, v1 src0_sel:BYTE_0 src1_sel:DWORD
	s_mov_b64 s[88:89], -1
	s_mov_b64 vcc, s[84:85]
	s_and_saveexec_b64 s[86:87], s[92:93]
	s_cbranch_execz .LBB47_7280
; %bb.7279:
	v_bfe_u32 v1, v28, 16, 1
	s_movk_i32 vcc_lo, 0x7fff
	v_add3_u32 v1, v28, v1, vcc_lo
	v_lshrrev_b32_e32 v1, 16, v1
	v_mov_b32_e32 v4, 0x7fc0
	v_cmp_o_f32_e32 vcc, v28, v28
	v_cndmask_b32_e32 v1, v4, v1, vcc
	flat_store_short v[2:3], v1
	s_xor_b64 s[88:89], exec, -1
	s_or_b64 vcc, s[84:85], exec
.LBB47_7280:
	s_or_b64 exec, exec, s[86:87]
	s_andn2_b64 s[86:87], s[78:79], exec
	s_and_b64 s[88:89], s[88:89], exec
	s_or_b64 s[88:89], s[86:87], s[88:89]
	s_andn2_b64 s[86:87], s[84:85], exec
	s_and_b64 vcc, vcc, exec
	s_or_b64 s[86:87], s[86:87], vcc
                                        ; implicit-def: $vgpr28
                                        ; implicit-def: $vgpr2_vgpr3
.LBB47_7281:
	s_andn2_saveexec_b64 s[90:91], s[90:91]
	s_cbranch_execz .LBB47_7285
; %bb.7282:
	v_mov_b32_e32 v1, 11
	v_cmp_eq_u16_sdwa s[96:97], v11, v1 src0_sel:BYTE_0 src1_sel:DWORD
	s_mov_b64 s[92:93], -1
	s_mov_b64 vcc, s[86:87]
	s_and_saveexec_b64 s[94:95], s[96:97]
	s_cbranch_execz .LBB47_7284
; %bb.7283:
	v_cmp_neq_f32_e32 vcc, 0, v28
	v_cndmask_b32_e64 v1, 0, 1, vcc
	flat_store_byte v[2:3], v1
	s_xor_b64 s[92:93], exec, -1
	s_or_b64 vcc, s[86:87], exec
.LBB47_7284:
	s_or_b64 exec, exec, s[94:95]
	s_andn2_b64 s[88:89], s[88:89], exec
	s_and_b64 s[92:93], s[92:93], exec
	s_andn2_b64 s[86:87], s[86:87], exec
	s_and_b64 vcc, vcc, exec
	s_or_b64 s[88:89], s[88:89], s[92:93]
	s_or_b64 s[86:87], s[86:87], vcc
.LBB47_7285:
	s_or_b64 exec, exec, s[90:91]
	s_andn2_b64 vcc, s[78:79], exec
	s_and_b64 s[88:89], s[88:89], exec
	s_andn2_b64 s[84:85], s[84:85], exec
	s_and_b64 s[86:87], s[86:87], exec
	s_or_b64 vcc, vcc, s[88:89]
	s_or_b64 s[84:85], s[84:85], s[86:87]
.LBB47_7286:
	s_or_b64 exec, exec, s[82:83]
	s_andn2_b64 s[78:79], s[78:79], exec
	s_and_b64 vcc, vcc, exec
	s_or_b64 s[78:79], s[78:79], vcc
	s_andn2_b64 s[4:5], s[4:5], exec
	s_and_b64 vcc, s[84:85], exec
	s_or_b64 s[4:5], s[4:5], vcc
.LBB47_7287:
	s_or_b64 exec, exec, s[80:81]
	s_andn2_b64 vcc, s[70:71], exec
	s_and_b64 s[78:79], s[78:79], exec
	s_or_b64 s[78:79], vcc, s[78:79]
	s_and_b64 s[4:5], s[4:5], exec
                                        ; implicit-def: $vgpr28
                                        ; implicit-def: $vgpr2_vgpr3
	s_andn2_saveexec_b64 s[74:75], s[74:75]
	s_cbranch_execz .LBB47_3986
.LBB47_7288:
	v_mov_b32_e32 v1, 4
	v_cmp_gt_i16_sdwa vcc, v11, v1 src0_sel:BYTE_0 src1_sel:DWORD
	s_and_saveexec_b64 s[80:81], vcc
	s_xor_b64 vcc, exec, s[80:81]
	s_cbranch_execz .LBB47_7310
; %bb.7289:
	v_mov_b32_e32 v1, 7
	v_cmp_gt_i16_sdwa s[80:81], v11, v1 src0_sel:BYTE_0 src1_sel:DWORD
	s_and_saveexec_b64 s[82:83], s[80:81]
	s_xor_b64 s[80:81], exec, s[82:83]
	s_cbranch_execz .LBB47_7299
; %bb.7290:
	v_mov_b32_e32 v1, 8
	v_cmp_gt_i16_sdwa s[82:83], v11, v1 src0_sel:BYTE_0 src1_sel:DWORD
	s_and_saveexec_b64 s[84:85], s[82:83]
	s_xor_b64 s[82:83], exec, s[84:85]
	;; [unrolled: 6-line block ×3, first 2 shown]
	s_cbranch_execz .LBB47_7293
; %bb.7292:
	v_mov_b32_e32 v30, 0
	v_cvt_f64_f32_e32 v[28:29], v28
	v_mov_b32_e32 v31, v30
	flat_store_dwordx4 v[2:3], v[28:31]
                                        ; implicit-def: $vgpr28
                                        ; implicit-def: $vgpr2_vgpr3
.LBB47_7293:
	s_andn2_saveexec_b64 s[84:85], s[84:85]
	s_cbranch_execz .LBB47_7295
; %bb.7294:
	v_mov_b32_e32 v29, 0
	flat_store_dwordx2 v[2:3], v[28:29]
.LBB47_7295:
	s_or_b64 exec, exec, s[84:85]
                                        ; implicit-def: $vgpr28
                                        ; implicit-def: $vgpr2_vgpr3
.LBB47_7296:
	s_andn2_saveexec_b64 s[82:83], s[82:83]
	s_cbranch_execz .LBB47_7298
; %bb.7297:
	v_cvt_f16_f32_e32 v1, v28
	flat_store_dword v[2:3], v1
.LBB47_7298:
	s_or_b64 exec, exec, s[82:83]
                                        ; implicit-def: $vgpr28
                                        ; implicit-def: $vgpr2_vgpr3
.LBB47_7299:
	s_andn2_saveexec_b64 s[80:81], s[80:81]
	s_cbranch_execz .LBB47_7309
; %bb.7300:
	v_mov_b32_e32 v1, 5
	v_cmp_gt_i16_sdwa s[82:83], v11, v1 src0_sel:BYTE_0 src1_sel:DWORD
	s_and_saveexec_b64 s[84:85], s[82:83]
	s_xor_b64 s[82:83], exec, s[84:85]
	s_cbranch_execz .LBB47_7306
; %bb.7301:
	v_mov_b32_e32 v1, 6
	v_cmp_gt_i16_sdwa s[84:85], v11, v1 src0_sel:BYTE_0 src1_sel:DWORD
	s_and_saveexec_b64 s[86:87], s[84:85]
	s_xor_b64 s[84:85], exec, s[86:87]
	s_cbranch_execz .LBB47_7303
; %bb.7302:
	v_cvt_f64_f32_e32 v[4:5], v28
	flat_store_dwordx2 v[2:3], v[4:5]
                                        ; implicit-def: $vgpr2_vgpr3
                                        ; implicit-def: $vgpr28
.LBB47_7303:
	s_andn2_saveexec_b64 s[84:85], s[84:85]
	s_cbranch_execz .LBB47_7305
; %bb.7304:
	flat_store_dword v[2:3], v28
.LBB47_7305:
	s_or_b64 exec, exec, s[84:85]
                                        ; implicit-def: $vgpr28
                                        ; implicit-def: $vgpr2_vgpr3
.LBB47_7306:
	s_andn2_saveexec_b64 s[82:83], s[82:83]
	s_cbranch_execz .LBB47_7308
; %bb.7307:
	v_cvt_f16_f32_e32 v1, v28
	flat_store_short v[2:3], v1
.LBB47_7308:
	s_or_b64 exec, exec, s[82:83]
.LBB47_7309:
	s_or_b64 exec, exec, s[80:81]
                                        ; implicit-def: $vgpr28
                                        ; implicit-def: $vgpr2_vgpr3
.LBB47_7310:
	s_andn2_saveexec_b64 s[80:81], vcc
	s_cbranch_execz .LBB47_7328
; %bb.7311:
	v_mov_b32_e32 v1, 1
	v_cmp_gt_i16_sdwa vcc, v11, v1 src0_sel:BYTE_0 src1_sel:DWORD
	s_and_saveexec_b64 s[82:83], vcc
	s_xor_b64 s[82:83], exec, s[82:83]
	s_cbranch_execz .LBB47_7321
; %bb.7312:
	v_mov_b32_e32 v1, 2
	v_cmp_gt_i16_sdwa vcc, v11, v1 src0_sel:BYTE_0 src1_sel:DWORD
	s_and_saveexec_b64 s[84:85], vcc
	s_xor_b64 s[84:85], exec, s[84:85]
	;; [unrolled: 6-line block ×3, first 2 shown]
	s_cbranch_execz .LBB47_7315
; %bb.7314:
	v_trunc_f32_e32 v1, v28
	s_mov_b32 s88, 0x2f800000
	v_mul_f32_e64 v4, |v1|, s88
	v_floor_f32_e32 v4, v4
	s_mov_b32 s88, 0xcf800000
	v_cvt_u32_f32_e32 v5, v4
	v_fma_f32 v4, v4, s88, |v1|
	v_cvt_u32_f32_e32 v4, v4
	v_ashrrev_i32_e32 v1, 31, v1
	v_xor_b32_e32 v5, v5, v1
                                        ; implicit-def: $vgpr28
	v_xor_b32_e32 v4, v4, v1
	v_sub_co_u32_e32 v4, vcc, v4, v1
	v_subb_co_u32_e32 v5, vcc, v5, v1, vcc
	flat_store_dwordx2 v[2:3], v[4:5]
                                        ; implicit-def: $vgpr2_vgpr3
.LBB47_7315:
	s_andn2_saveexec_b64 vcc, s[86:87]
	s_cbranch_execz .LBB47_7317
; %bb.7316:
	v_cvt_i32_f32_e32 v1, v28
	flat_store_dword v[2:3], v1
.LBB47_7317:
	s_or_b64 exec, exec, vcc
                                        ; implicit-def: $vgpr28
                                        ; implicit-def: $vgpr2_vgpr3
.LBB47_7318:
	s_andn2_saveexec_b64 vcc, s[84:85]
	s_cbranch_execz .LBB47_7320
; %bb.7319:
	v_cvt_i32_f32_e32 v1, v28
	flat_store_short v[2:3], v1
.LBB47_7320:
	s_or_b64 exec, exec, vcc
                                        ; implicit-def: $vgpr28
                                        ; implicit-def: $vgpr2_vgpr3
.LBB47_7321:
	s_andn2_saveexec_b64 vcc, s[82:83]
	s_cbranch_execz .LBB47_7327
; %bb.7322:
	v_mov_b32_e32 v1, 0
	v_cmp_gt_i16_sdwa s[82:83], v11, v1 src0_sel:BYTE_0 src1_sel:DWORD
	s_and_saveexec_b64 s[84:85], s[82:83]
	s_xor_b64 s[82:83], exec, s[84:85]
	s_cbranch_execz .LBB47_7324
; %bb.7323:
	v_cvt_i32_f32_e32 v1, v28
                                        ; implicit-def: $vgpr28
	flat_store_byte v[2:3], v1
                                        ; implicit-def: $vgpr2_vgpr3
.LBB47_7324:
	s_andn2_saveexec_b64 s[82:83], s[82:83]
	s_cbranch_execz .LBB47_7326
; %bb.7325:
	v_trunc_f32_e32 v1, v28
	s_mov_b32 s84, 0x2f800000
	v_mul_f32_e64 v4, |v1|, s84
	v_floor_f32_e32 v4, v4
	s_mov_b32 s84, 0xcf800000
	v_fma_f32 v4, v4, s84, |v1|
	v_cvt_u32_f32_e32 v4, v4
	v_ashrrev_i32_e32 v1, 31, v1
	v_xor_b32_e32 v4, v4, v1
	v_sub_u32_e32 v1, v4, v1
	flat_store_byte v[2:3], v1
.LBB47_7326:
	s_or_b64 exec, exec, s[82:83]
.LBB47_7327:
	s_or_b64 exec, exec, vcc
.LBB47_7328:
	s_or_b64 exec, exec, s[80:81]
	s_or_b64 s[4:5], s[4:5], exec
	s_or_b64 exec, exec, s[74:75]
	s_mov_b64 vcc, 0
	s_and_saveexec_b64 s[74:75], s[4:5]
	s_cbranch_execnz .LBB47_3987
	s_branch .LBB47_3988
.LBB47_7329:
	v_bfe_u32 v1, v48, 21, 1
	s_mov_b32 s68, 0x88fffff
	v_add3_u32 v1, v48, v1, s68
	s_mov_b64 s[66:67], exec
	v_lshrrev_b32_e32 v1, 21, v1
	s_or_saveexec_b64 s[68:69], vcc
                                        ; implicit-def: $sgpr70
	s_xor_b64 exec, exec, s[68:69]
	s_cbranch_execz .LBB47_6494
.LBB47_7330:
	s_mov_b32 s70, 0x42800000
	v_add_f32_e64 v1, |v48|, s70
	v_and_b32_e32 v1, 0xff, v1
	v_cmp_ne_u32_e32 vcc, 0, v1
	s_andn2_b64 s[66:67], s[66:67], exec
	s_and_b64 vcc, vcc, exec
	s_mov_b32 s70, 0
	s_or_b64 s[66:67], s[66:67], vcc
	s_or_b64 exec, exec, s[68:69]
	v_mov_b32_e32 v4, s70
	s_and_saveexec_b64 vcc, s[66:67]
	s_cbranch_execnz .LBB47_6495
	s_branch .LBB47_6496
.LBB47_7331:
	v_bfe_u32 v1, v38, 20, 1
	s_mov_b32 s70, 0x487ffff
	v_add3_u32 v1, v38, v1, s70
	s_mov_b64 s[68:69], exec
	v_lshrrev_b32_e32 v1, 20, v1
	s_or_saveexec_b64 s[70:71], vcc
                                        ; implicit-def: $sgpr72
	s_xor_b64 exec, exec, s[70:71]
	s_cbranch_execz .LBB47_6607
.LBB47_7332:
	s_mov_b32 s72, 0x46000000
	v_add_f32_e64 v1, |v38|, s72
	v_and_b32_e32 v1, 0xff, v1
	v_cmp_ne_u32_e32 vcc, 0, v1
	s_andn2_b64 s[68:69], s[68:69], exec
	s_and_b64 vcc, vcc, exec
	s_mov_b32 s72, 0
	s_or_b64 s[68:69], s[68:69], vcc
	s_or_b64 exec, exec, s[70:71]
	v_mov_b32_e32 v4, s72
	s_and_saveexec_b64 vcc, s[68:69]
	s_cbranch_execnz .LBB47_6608
	s_branch .LBB47_6609
.LBB47_7333:
	v_mov_b32_e32 v1, 25
	v_readlane_b32 s82, v43, 10
	v_cmp_gt_i16_sdwa vcc, v11, v1 src0_sel:BYTE_0 src1_sel:DWORD
	v_readlane_b32 s83, v43, 11
	s_and_saveexec_b64 s[76:77], vcc
	s_xor_b64 s[84:85], exec, s[76:77]
	s_cbranch_execz .LBB47_7369
; %bb.7334:
	v_mov_b32_e32 v1, 28
	v_readlane_b32 s86, v43, 10
	v_cmp_gt_i16_sdwa vcc, v11, v1 src0_sel:BYTE_0 src1_sel:DWORD
	v_readlane_b32 s87, v43, 11
	s_and_saveexec_b64 s[76:77], vcc
	s_xor_b64 s[82:83], exec, s[76:77]
	s_cbranch_execz .LBB47_7352
; %bb.7335:
	v_mov_b32_e32 v1, 43
	v_readlane_b32 vcc_lo, v43, 10
	v_cmp_gt_i16_sdwa s[76:77], v11, v1 src0_sel:BYTE_0 src1_sel:DWORD
	v_readlane_b32 vcc_hi, v43, 11
	s_and_saveexec_b64 s[86:87], s[76:77]
	s_xor_b64 s[86:87], exec, s[86:87]
	s_cbranch_execz .LBB47_7347
; %bb.7336:
	v_mov_b32_e32 v1, 45
	v_readlane_b32 s90, v43, 10
	v_cmp_gt_i16_sdwa s[4:5], v11, v1 src0_sel:BYTE_0 src1_sel:DWORD
	s_mov_b64 s[88:89], 0
	v_readlane_b32 s91, v43, 11
	s_and_saveexec_b64 vcc, s[4:5]
	s_xor_b64 s[4:5], exec, vcc
	s_cbranch_execz .LBB47_7340
; %bb.7337:
	v_mov_b32_e32 v1, 46
	v_cmp_eq_u16_sdwa s[76:77], v11, v1 src0_sel:BYTE_0 src1_sel:DWORD
	s_mov_b64 vcc, -1
	s_and_saveexec_b64 s[90:91], s[76:77]
	s_cbranch_execz .LBB47_7339
; %bb.7338:
	v_bfe_u32 v1, v26, 16, 1
	s_movk_i32 vcc_lo, 0x7fff
	v_add3_u32 v1, v26, v1, vcc_lo
	v_lshrrev_b32_e32 v1, 16, v1
	v_mov_b32_e32 v4, 0x7fc0
	v_cmp_o_f32_e32 vcc, v26, v26
	v_cndmask_b32_e32 v1, v4, v1, vcc
	s_mov_b64 s[88:89], exec
	flat_store_dword v[2:3], v1
	s_xor_b64 vcc, exec, -1
.LBB47_7339:
	s_or_b64 exec, exec, s[90:91]
	v_readlane_b32 s74, v43, 10
	v_readlane_b32 s75, v43, 11
	s_andn2_b64 s[76:77], s[74:75], exec
	s_and_b64 vcc, vcc, exec
	s_or_b64 s[90:91], s[76:77], vcc
	s_and_b64 s[88:89], s[88:89], exec
                                        ; implicit-def: $vgpr2_vgpr3
                                        ; implicit-def: $vgpr26
.LBB47_7340:
	s_andn2_saveexec_b64 s[92:93], s[4:5]
	s_cbranch_execz .LBB47_7346
; %bb.7341:
	v_mov_b32_e32 v1, 44
	v_cmp_eq_u16_sdwa s[76:77], v11, v1 src0_sel:BYTE_0 src1_sel:DWORD
	s_mov_b64 vcc, -1
	s_mov_b64 s[4:5], s[88:89]
	s_and_saveexec_b64 s[94:95], s[76:77]
	s_cbranch_execz .LBB47_7345
; %bb.7342:
	v_bfe_u32 v1, v26, 23, 8
	s_movk_i32 s4, 0xff
	v_cmp_ne_u32_e32 vcc, s4, v1
	v_mov_b32_e32 v4, 0xff
	s_and_saveexec_b64 s[96:97], vcc
; %bb.7343:
	s_mov_b32 s4, 0x3fffff
	v_and_b32_e32 v5, 0x400000, v26
	v_and_or_b32 v1, v26, s4, v1
	v_cmp_ne_u32_e32 vcc, 0, v5
	v_cmp_ne_u32_e64 s[4:5], 0, v1
	s_and_b64 s[4:5], vcc, s[4:5]
	v_lshrrev_b32_e32 v4, 23, v26
	v_cndmask_b32_e64 v1, 0, 1, s[4:5]
	v_add_u32_e32 v4, v4, v1
; %bb.7344:
	s_or_b64 exec, exec, s[96:97]
	s_xor_b64 vcc, exec, -1
	s_or_b64 s[4:5], s[88:89], exec
	flat_store_byte v[2:3], v4
.LBB47_7345:
	s_or_b64 exec, exec, s[94:95]
	s_andn2_b64 s[74:75], s[90:91], exec
	s_and_b64 vcc, vcc, exec
	s_or_b64 s[90:91], s[74:75], vcc
	s_andn2_b64 vcc, s[88:89], exec
	s_and_b64 s[4:5], s[4:5], exec
	s_or_b64 s[88:89], vcc, s[4:5]
.LBB47_7346:
	s_or_b64 exec, exec, s[92:93]
	v_readlane_b32 s4, v43, 10
	v_readlane_b32 s5, v43, 11
	s_andn2_b64 s[4:5], s[4:5], exec
	s_and_b64 vcc, s[90:91], exec
	s_or_b64 vcc, s[4:5], vcc
	s_and_b64 s[4:5], s[88:89], exec
                                        ; implicit-def: $vgpr26
                                        ; implicit-def: $vgpr2_vgpr3
.LBB47_7347:
	s_andn2_saveexec_b64 s[86:87], s[86:87]
	s_cbranch_execz .LBB47_7351
; %bb.7348:
	v_mov_b32_e32 v1, 29
	v_cmp_eq_u16_sdwa s[76:77], v11, v1 src0_sel:BYTE_0 src1_sel:DWORD
	s_mov_b64 s[92:93], -1
	s_mov_b64 s[90:91], s[4:5]
	s_and_saveexec_b64 s[88:89], s[76:77]
	s_cbranch_execz .LBB47_7350
; %bb.7349:
	v_trunc_f32_e32 v1, v26
	v_mul_f32_e32 v4, 0x2f800000, v1
	v_floor_f32_e32 v4, v4
	v_fmac_f32_e32 v1, 0xcf800000, v4
	v_cvt_u32_f32_e32 v5, v4
	v_cvt_u32_f32_e32 v4, v1
	s_xor_b64 s[92:93], exec, -1
	s_or_b64 s[90:91], s[4:5], exec
	flat_store_dwordx2 v[2:3], v[4:5]
.LBB47_7350:
	s_or_b64 exec, exec, s[88:89]
	s_andn2_b64 vcc, vcc, exec
	s_and_b64 s[76:77], s[92:93], exec
	s_or_b64 vcc, vcc, s[76:77]
	s_andn2_b64 s[4:5], s[4:5], exec
	s_and_b64 s[76:77], s[90:91], exec
	s_or_b64 s[4:5], s[4:5], s[76:77]
.LBB47_7351:
	s_or_b64 exec, exec, s[86:87]
	v_readlane_b32 s74, v43, 10
	v_readlane_b32 s75, v43, 11
	s_andn2_b64 s[74:75], s[74:75], exec
	s_and_b64 vcc, vcc, exec
	s_or_b64 s[86:87], s[74:75], vcc
	s_and_b64 s[4:5], s[4:5], exec
                                        ; implicit-def: $vgpr2_vgpr3
                                        ; implicit-def: $vgpr26
.LBB47_7352:
	s_andn2_saveexec_b64 s[82:83], s[82:83]
	s_cbranch_execz .LBB47_7368
; %bb.7353:
	v_mov_b32_e32 v1, 26
	v_cmp_gt_i16_sdwa vcc, v11, v1 src0_sel:BYTE_0 src1_sel:DWORD
	s_and_saveexec_b64 s[76:77], vcc
	s_xor_b64 vcc, exec, s[76:77]
	s_cbranch_execz .LBB47_7359
; %bb.7354:
	v_cvt_u32_f32_e32 v1, v26
	v_mov_b32_e32 v4, 27
	v_cmp_gt_i16_sdwa s[76:77], v11, v4 src0_sel:BYTE_0 src1_sel:DWORD
	s_and_saveexec_b64 s[88:89], s[76:77]
	s_xor_b64 s[76:77], exec, s[88:89]
	s_cbranch_execz .LBB47_7356
; %bb.7355:
	flat_store_dword v[2:3], v1
                                        ; implicit-def: $vgpr2_vgpr3
                                        ; implicit-def: $vgpr1
.LBB47_7356:
	s_andn2_saveexec_b64 s[76:77], s[76:77]
	s_cbranch_execz .LBB47_7358
; %bb.7357:
	flat_store_short v[2:3], v1
.LBB47_7358:
	s_or_b64 exec, exec, s[76:77]
                                        ; implicit-def: $vgpr2_vgpr3
                                        ; implicit-def: $vgpr26
.LBB47_7359:
	s_andn2_saveexec_b64 s[88:89], vcc
	s_cbranch_execz .LBB47_7367
; %bb.7360:
	v_and_b32_e32 v1, 0x7fffffff, v26
	s_mov_b32 vcc_lo, 0x43800000
	v_cmp_gt_u32_e32 vcc, vcc_lo, v1
	v_mov_b32_e32 v4, 0x80
	s_and_saveexec_b64 s[90:91], vcc
	s_cbranch_execz .LBB47_7366
; %bb.7361:
	s_mov_b32 vcc_lo, 0x3bffffff
	v_cmp_lt_u32_e32 vcc, vcc_lo, v1
	s_mov_b64 s[92:93], 0
                                        ; implicit-def: $vgpr1
	s_and_saveexec_b64 s[74:75], vcc
	s_xor_b64 vcc, exec, s[74:75]
	s_cbranch_execnz .LBB47_7843
; %bb.7362:
	s_or_saveexec_b64 s[94:95], vcc
                                        ; implicit-def: $sgpr76
	s_xor_b64 exec, exec, s[94:95]
	s_cbranch_execnz .LBB47_7844
.LBB47_7363:
	s_or_b64 exec, exec, s[94:95]
	v_mov_b32_e32 v4, s76
	s_and_saveexec_b64 vcc, s[92:93]
.LBB47_7364:
	v_lshrrev_b32_e32 v4, 24, v26
	s_movk_i32 s74, 0x80
	v_and_or_b32 v4, v4, s74, v1
.LBB47_7365:
	s_or_b64 exec, exec, vcc
.LBB47_7366:
	s_or_b64 exec, exec, s[90:91]
	flat_store_byte v[2:3], v4
.LBB47_7367:
	s_or_b64 exec, exec, s[88:89]
	s_or_b64 s[4:5], s[4:5], exec
.LBB47_7368:
	s_or_b64 exec, exec, s[82:83]
	v_readlane_b32 vcc_lo, v43, 10
	v_readlane_b32 vcc_hi, v43, 11
	s_andn2_b64 vcc, vcc, exec
	s_and_b64 s[76:77], s[86:87], exec
	s_or_b64 s[82:83], vcc, s[76:77]
	s_and_b64 s[4:5], s[4:5], exec
                                        ; implicit-def: $vgpr26
                                        ; implicit-def: $vgpr2_vgpr3
.LBB47_7369:
	s_andn2_saveexec_b64 s[84:85], s[84:85]
	s_cbranch_execz .LBB47_7413
; %bb.7370:
	v_mov_b32_e32 v1, 22
	v_cmp_gt_i16_sdwa vcc, v11, v1 src0_sel:BYTE_0 src1_sel:DWORD
	s_mov_b64 s[88:89], s[4:5]
	s_and_saveexec_b64 s[76:77], vcc
	s_xor_b64 s[86:87], exec, s[76:77]
	s_cbranch_execz .LBB47_7402
; %bb.7371:
	v_mov_b32_e32 v1, 23
	v_cmp_gt_i16_sdwa vcc, v11, v1 src0_sel:BYTE_0 src1_sel:DWORD
	s_and_saveexec_b64 s[76:77], vcc
	s_xor_b64 s[88:89], exec, s[76:77]
	s_cbranch_execz .LBB47_7391
; %bb.7372:
	v_mov_b32_e32 v1, 24
	v_cmp_gt_i16_sdwa vcc, v11, v1 src0_sel:BYTE_0 src1_sel:DWORD
	s_and_saveexec_b64 s[76:77], vcc
	s_xor_b64 s[90:91], exec, s[76:77]
	s_cbranch_execz .LBB47_7380
; %bb.7373:
	v_and_b32_e32 v1, 0x7fffffff, v26
	s_mov_b32 vcc_lo, 0x47800000
	v_cmp_gt_u32_e32 vcc, vcc_lo, v1
	v_mov_b32_e32 v4, 0x80
	s_and_saveexec_b64 s[92:93], vcc
	s_cbranch_execz .LBB47_7379
; %bb.7374:
	s_mov_b32 vcc_lo, 0x37ffffff
	v_cmp_lt_u32_e32 vcc, vcc_lo, v1
	s_mov_b64 s[94:95], 0
                                        ; implicit-def: $vgpr1
	s_and_saveexec_b64 s[74:75], vcc
	s_xor_b64 vcc, exec, s[74:75]
	s_cbranch_execnz .LBB47_7845
; %bb.7375:
	s_or_saveexec_b64 s[96:97], vcc
                                        ; implicit-def: $sgpr76
	s_xor_b64 exec, exec, s[96:97]
	s_cbranch_execnz .LBB47_7846
.LBB47_7376:
	s_or_b64 exec, exec, s[96:97]
	v_mov_b32_e32 v4, s76
	s_and_saveexec_b64 vcc, s[94:95]
.LBB47_7377:
	v_lshrrev_b32_e32 v4, 24, v26
	s_movk_i32 s74, 0x80
	v_and_or_b32 v4, v4, s74, v1
.LBB47_7378:
	s_or_b64 exec, exec, vcc
.LBB47_7379:
	s_or_b64 exec, exec, s[92:93]
	flat_store_byte v[2:3], v4
                                        ; implicit-def: $vgpr26
                                        ; implicit-def: $vgpr2_vgpr3
.LBB47_7380:
	s_andn2_saveexec_b64 s[90:91], s[90:91]
	s_cbranch_execz .LBB47_7390
; %bb.7381:
	v_and_b32_e32 v4, 0x7fffffff, v26
	s_mov_b32 vcc_lo, 0x43f00000
	v_cmp_gt_u32_e32 vcc, vcc_lo, v4
                                        ; implicit-def: $vgpr1
	s_and_saveexec_b64 s[74:75], vcc
	s_xor_b64 s[92:93], exec, s[74:75]
	s_cbranch_execz .LBB47_7387
; %bb.7382:
	s_mov_b32 vcc_lo, 0x3c7fffff
	v_cmp_lt_u32_e32 vcc, vcc_lo, v4
                                        ; implicit-def: $vgpr1
	s_and_saveexec_b64 s[74:75], vcc
	s_xor_b64 s[94:95], exec, s[74:75]
; %bb.7383:
	v_bfe_u32 v1, v26, 20, 1
	s_mov_b32 vcc_lo, 0x407ffff
	v_add3_u32 v1, v26, v1, vcc_lo
	v_lshrrev_b32_e32 v4, 20, v1
	v_and_b32_e32 v1, 0xff00000, v1
	s_mov_b32 vcc_lo, 0x7f00000
	v_mov_b32_e32 v5, 0x7e
	v_cmp_ne_u32_e32 vcc, vcc_lo, v1
	v_cndmask_b32_e32 v1, v5, v4, vcc
; %bb.7384:
	s_andn2_saveexec_b64 vcc, s[94:95]
; %bb.7385:
	s_mov_b32 s74, 0x46800000
	v_add_f32_e64 v1, |v26|, s74
; %bb.7386:
	s_or_b64 exec, exec, vcc
                                        ; implicit-def: $vgpr4
.LBB47_7387:
	s_andn2_saveexec_b64 s[92:93], s[92:93]
; %bb.7388:
	s_mov_b32 vcc_lo, 0x7f800000
	v_mov_b32_e32 v1, 0x7e
	v_mov_b32_e32 v5, 0x7f
	v_cmp_lt_u32_e32 vcc, vcc_lo, v4
	v_cndmask_b32_e32 v1, v1, v5, vcc
; %bb.7389:
	s_or_b64 exec, exec, s[92:93]
	v_lshrrev_b32_e32 v4, 24, v26
	s_movk_i32 vcc_lo, 0x80
	v_and_or_b32 v1, v4, vcc_lo, v1
	flat_store_byte v[2:3], v1
.LBB47_7390:
	s_or_b64 exec, exec, s[90:91]
                                        ; implicit-def: $vgpr26
                                        ; implicit-def: $vgpr2_vgpr3
.LBB47_7391:
	s_andn2_saveexec_b64 s[88:89], s[88:89]
	s_cbranch_execz .LBB47_7401
; %bb.7392:
	v_and_b32_e32 v4, 0x7fffffff, v26
	s_mov_b32 vcc_lo, 0x47800000
	v_cmp_gt_u32_e32 vcc, vcc_lo, v4
                                        ; implicit-def: $vgpr1
	s_and_saveexec_b64 s[74:75], vcc
	s_xor_b64 s[90:91], exec, s[74:75]
	s_cbranch_execz .LBB47_7398
; %bb.7393:
	s_mov_b32 vcc_lo, 0x387fffff
	v_cmp_lt_u32_e32 vcc, vcc_lo, v4
                                        ; implicit-def: $vgpr1
	s_and_saveexec_b64 s[74:75], vcc
	s_xor_b64 vcc, exec, s[74:75]
; %bb.7394:
	v_bfe_u32 v1, v26, 21, 1
	s_mov_b32 s74, 0x80fffff
	v_add3_u32 v1, v26, v1, s74
	v_lshrrev_b32_e32 v1, 21, v1
; %bb.7395:
	s_andn2_saveexec_b64 vcc, vcc
; %bb.7396:
	s_mov_b32 s74, 0x43000000
	v_add_f32_e64 v1, |v26|, s74
; %bb.7397:
	s_or_b64 exec, exec, vcc
                                        ; implicit-def: $vgpr4
.LBB47_7398:
	s_andn2_saveexec_b64 s[90:91], s[90:91]
; %bb.7399:
	s_mov_b32 vcc_lo, 0x7f800000
	v_mov_b32_e32 v1, 0x7c
	v_mov_b32_e32 v5, 0x7f
	v_cmp_lt_u32_e32 vcc, vcc_lo, v4
	v_cndmask_b32_e32 v1, v1, v5, vcc
; %bb.7400:
	s_or_b64 exec, exec, s[90:91]
	v_lshrrev_b32_e32 v4, 24, v26
	s_movk_i32 vcc_lo, 0x80
	v_and_or_b32 v1, v4, vcc_lo, v1
	flat_store_byte v[2:3], v1
.LBB47_7401:
	s_or_b64 exec, exec, s[88:89]
	s_or_b64 s[88:89], s[4:5], exec
                                        ; implicit-def: $vgpr26
                                        ; implicit-def: $vgpr2_vgpr3
.LBB47_7402:
	s_or_saveexec_b64 s[86:87], s[86:87]
	s_mov_b64 vcc, s[82:83]
	s_xor_b64 exec, exec, s[86:87]
	s_cbranch_execz .LBB47_7412
; %bb.7403:
	v_mov_b32_e32 v1, 14
	v_cmp_gt_i16_sdwa vcc, v11, v1 src0_sel:BYTE_0 src1_sel:DWORD
	s_mov_b64 s[90:91], s[88:89]
	s_mov_b64 s[92:93], s[82:83]
	s_and_saveexec_b64 s[76:77], vcc
	s_xor_b64 s[94:95], exec, s[76:77]
	s_cbranch_execz .LBB47_7407
; %bb.7404:
	v_mov_b32_e32 v1, 15
	v_cmp_eq_u16_sdwa s[76:77], v11, v1 src0_sel:BYTE_0 src1_sel:DWORD
	s_mov_b64 s[92:93], -1
	s_mov_b64 vcc, s[88:89]
	s_and_saveexec_b64 s[90:91], s[76:77]
	s_cbranch_execz .LBB47_7406
; %bb.7405:
	v_bfe_u32 v1, v26, 16, 1
	s_movk_i32 vcc_lo, 0x7fff
	v_add3_u32 v1, v26, v1, vcc_lo
	v_lshrrev_b32_e32 v1, 16, v1
	v_mov_b32_e32 v4, 0x7fc0
	v_cmp_o_f32_e32 vcc, v26, v26
	v_cndmask_b32_e32 v1, v4, v1, vcc
	flat_store_short v[2:3], v1
	s_xor_b64 s[92:93], exec, -1
	s_or_b64 vcc, s[88:89], exec
.LBB47_7406:
	s_or_b64 exec, exec, s[90:91]
	s_andn2_b64 s[76:77], s[82:83], exec
	s_and_b64 s[90:91], s[92:93], exec
	s_or_b64 s[92:93], s[76:77], s[90:91]
	s_andn2_b64 s[76:77], s[88:89], exec
	s_and_b64 vcc, vcc, exec
	s_or_b64 s[90:91], s[76:77], vcc
                                        ; implicit-def: $vgpr26
                                        ; implicit-def: $vgpr2_vgpr3
.LBB47_7407:
	s_andn2_saveexec_b64 s[94:95], s[94:95]
	s_cbranch_execz .LBB47_7411
; %bb.7408:
	v_mov_b32_e32 v1, 11
	v_cmp_eq_u16_sdwa s[74:75], v11, v1 src0_sel:BYTE_0 src1_sel:DWORD
	s_mov_b64 s[96:97], -1
	s_mov_b64 vcc, s[90:91]
	s_and_saveexec_b64 s[76:77], s[74:75]
	s_cbranch_execz .LBB47_7410
; %bb.7409:
	v_cmp_neq_f32_e32 vcc, 0, v26
	v_cndmask_b32_e64 v1, 0, 1, vcc
	flat_store_byte v[2:3], v1
	s_xor_b64 s[96:97], exec, -1
	s_or_b64 vcc, s[90:91], exec
.LBB47_7410:
	s_or_b64 exec, exec, s[76:77]
	s_andn2_b64 s[74:75], s[92:93], exec
	s_and_b64 s[76:77], s[96:97], exec
	s_or_b64 s[92:93], s[74:75], s[76:77]
	s_andn2_b64 s[74:75], s[90:91], exec
	s_and_b64 vcc, vcc, exec
	s_or_b64 s[90:91], s[74:75], vcc
.LBB47_7411:
	s_or_b64 exec, exec, s[94:95]
	s_andn2_b64 vcc, s[82:83], exec
	s_and_b64 s[74:75], s[92:93], exec
	s_or_b64 vcc, vcc, s[74:75]
	s_andn2_b64 s[74:75], s[88:89], exec
	s_and_b64 s[76:77], s[90:91], exec
	s_or_b64 s[88:89], s[74:75], s[76:77]
.LBB47_7412:
	s_or_b64 exec, exec, s[86:87]
	s_andn2_b64 s[76:77], s[82:83], exec
	s_and_b64 vcc, vcc, exec
	s_or_b64 s[82:83], s[76:77], vcc
	s_andn2_b64 s[4:5], s[4:5], exec
	s_and_b64 vcc, s[88:89], exec
	s_or_b64 s[4:5], s[4:5], vcc
.LBB47_7413:
	s_or_b64 exec, exec, s[84:85]
	v_readlane_b32 vcc_lo, v43, 10
	v_readlane_b32 vcc_hi, v43, 11
	s_andn2_b64 vcc, vcc, exec
	s_and_b64 s[76:77], s[82:83], exec
	s_or_b64 s[82:83], vcc, s[76:77]
	s_and_b64 s[4:5], s[4:5], exec
                                        ; implicit-def: $vgpr26
                                        ; implicit-def: $vgpr2_vgpr3
	s_andn2_saveexec_b64 s[78:79], s[78:79]
	s_cbranch_execz .LBB47_3993
.LBB47_7414:
	v_mov_b32_e32 v1, 4
	v_cmp_gt_i16_sdwa vcc, v11, v1 src0_sel:BYTE_0 src1_sel:DWORD
	s_and_saveexec_b64 s[74:75], vcc
	s_xor_b64 vcc, exec, s[74:75]
	s_cbranch_execz .LBB47_7436
; %bb.7415:
	v_mov_b32_e32 v1, 7
	v_cmp_gt_i16_sdwa s[74:75], v11, v1 src0_sel:BYTE_0 src1_sel:DWORD
	s_and_saveexec_b64 s[76:77], s[74:75]
	s_xor_b64 s[84:85], exec, s[76:77]
	s_cbranch_execz .LBB47_7425
; %bb.7416:
	v_mov_b32_e32 v1, 8
	v_cmp_gt_i16_sdwa s[74:75], v11, v1 src0_sel:BYTE_0 src1_sel:DWORD
	s_and_saveexec_b64 s[76:77], s[74:75]
	s_xor_b64 s[86:87], exec, s[76:77]
	;; [unrolled: 6-line block ×3, first 2 shown]
	s_cbranch_execz .LBB47_7419
; %bb.7418:
	v_mov_b32_e32 v28, 0
	v_cvt_f64_f32_e32 v[26:27], v26
	v_mov_b32_e32 v29, v28
	flat_store_dwordx4 v[2:3], v[26:29]
                                        ; implicit-def: $vgpr26
                                        ; implicit-def: $vgpr2_vgpr3
.LBB47_7419:
	s_andn2_saveexec_b64 s[76:77], s[88:89]
	s_cbranch_execz .LBB47_7421
; %bb.7420:
	v_mov_b32_e32 v27, 0
	flat_store_dwordx2 v[2:3], v[26:27]
.LBB47_7421:
	s_or_b64 exec, exec, s[76:77]
                                        ; implicit-def: $vgpr26
                                        ; implicit-def: $vgpr2_vgpr3
.LBB47_7422:
	s_andn2_saveexec_b64 s[76:77], s[86:87]
	s_cbranch_execz .LBB47_7424
; %bb.7423:
	v_cvt_f16_f32_e32 v1, v26
	flat_store_dword v[2:3], v1
.LBB47_7424:
	s_or_b64 exec, exec, s[76:77]
                                        ; implicit-def: $vgpr26
                                        ; implicit-def: $vgpr2_vgpr3
.LBB47_7425:
	s_andn2_saveexec_b64 s[84:85], s[84:85]
	s_cbranch_execz .LBB47_7435
; %bb.7426:
	v_mov_b32_e32 v1, 5
	v_cmp_gt_i16_sdwa s[74:75], v11, v1 src0_sel:BYTE_0 src1_sel:DWORD
	s_and_saveexec_b64 s[76:77], s[74:75]
	s_xor_b64 s[86:87], exec, s[76:77]
	s_cbranch_execz .LBB47_7432
; %bb.7427:
	v_mov_b32_e32 v1, 6
	v_cmp_gt_i16_sdwa s[74:75], v11, v1 src0_sel:BYTE_0 src1_sel:DWORD
	s_and_saveexec_b64 s[76:77], s[74:75]
	s_xor_b64 s[76:77], exec, s[76:77]
	s_cbranch_execz .LBB47_7429
; %bb.7428:
	v_cvt_f64_f32_e32 v[4:5], v26
	flat_store_dwordx2 v[2:3], v[4:5]
                                        ; implicit-def: $vgpr2_vgpr3
                                        ; implicit-def: $vgpr26
.LBB47_7429:
	s_andn2_saveexec_b64 s[76:77], s[76:77]
	s_cbranch_execz .LBB47_7431
; %bb.7430:
	flat_store_dword v[2:3], v26
.LBB47_7431:
	s_or_b64 exec, exec, s[76:77]
                                        ; implicit-def: $vgpr26
                                        ; implicit-def: $vgpr2_vgpr3
.LBB47_7432:
	s_andn2_saveexec_b64 s[76:77], s[86:87]
	s_cbranch_execz .LBB47_7434
; %bb.7433:
	v_cvt_f16_f32_e32 v1, v26
	flat_store_short v[2:3], v1
.LBB47_7434:
	s_or_b64 exec, exec, s[76:77]
.LBB47_7435:
	s_or_b64 exec, exec, s[84:85]
                                        ; implicit-def: $vgpr26
                                        ; implicit-def: $vgpr2_vgpr3
.LBB47_7436:
	s_andn2_saveexec_b64 s[84:85], vcc
	s_cbranch_execz .LBB47_7454
; %bb.7437:
	v_mov_b32_e32 v1, 1
	v_cmp_gt_i16_sdwa vcc, v11, v1 src0_sel:BYTE_0 src1_sel:DWORD
	s_and_saveexec_b64 s[74:75], vcc
	s_xor_b64 s[86:87], exec, s[74:75]
	s_cbranch_execz .LBB47_7447
; %bb.7438:
	v_mov_b32_e32 v1, 2
	v_cmp_gt_i16_sdwa vcc, v11, v1 src0_sel:BYTE_0 src1_sel:DWORD
	s_and_saveexec_b64 s[74:75], vcc
	s_xor_b64 s[88:89], exec, s[74:75]
	;; [unrolled: 6-line block ×3, first 2 shown]
	s_cbranch_execz .LBB47_7441
; %bb.7440:
	v_trunc_f32_e32 v1, v26
	s_mov_b32 s74, 0x2f800000
	v_mul_f32_e64 v4, |v1|, s74
	v_floor_f32_e32 v4, v4
	s_mov_b32 s74, 0xcf800000
	v_cvt_u32_f32_e32 v5, v4
	v_fma_f32 v4, v4, s74, |v1|
	v_cvt_u32_f32_e32 v4, v4
	v_ashrrev_i32_e32 v1, 31, v1
	v_xor_b32_e32 v5, v5, v1
                                        ; implicit-def: $vgpr26
	v_xor_b32_e32 v4, v4, v1
	v_sub_co_u32_e32 v4, vcc, v4, v1
	v_subb_co_u32_e32 v5, vcc, v5, v1, vcc
	flat_store_dwordx2 v[2:3], v[4:5]
                                        ; implicit-def: $vgpr2_vgpr3
.LBB47_7441:
	s_andn2_saveexec_b64 vcc, s[90:91]
	s_cbranch_execz .LBB47_7443
; %bb.7442:
	v_cvt_i32_f32_e32 v1, v26
	flat_store_dword v[2:3], v1
.LBB47_7443:
	s_or_b64 exec, exec, vcc
                                        ; implicit-def: $vgpr26
                                        ; implicit-def: $vgpr2_vgpr3
.LBB47_7444:
	s_andn2_saveexec_b64 vcc, s[88:89]
	s_cbranch_execz .LBB47_7446
; %bb.7445:
	v_cvt_i32_f32_e32 v1, v26
	flat_store_short v[2:3], v1
.LBB47_7446:
	s_or_b64 exec, exec, vcc
                                        ; implicit-def: $vgpr26
                                        ; implicit-def: $vgpr2_vgpr3
.LBB47_7447:
	s_andn2_saveexec_b64 vcc, s[86:87]
	s_cbranch_execz .LBB47_7453
; %bb.7448:
	v_mov_b32_e32 v1, 0
	v_cmp_gt_i16_sdwa s[74:75], v11, v1 src0_sel:BYTE_0 src1_sel:DWORD
	s_and_saveexec_b64 s[76:77], s[74:75]
	s_xor_b64 s[76:77], exec, s[76:77]
	s_cbranch_execz .LBB47_7450
; %bb.7449:
	v_cvt_i32_f32_e32 v1, v26
                                        ; implicit-def: $vgpr26
	flat_store_byte v[2:3], v1
                                        ; implicit-def: $vgpr2_vgpr3
.LBB47_7450:
	s_andn2_saveexec_b64 s[86:87], s[76:77]
	s_cbranch_execz .LBB47_7452
; %bb.7451:
	v_trunc_f32_e32 v1, v26
	s_mov_b32 s74, 0x2f800000
	v_mul_f32_e64 v4, |v1|, s74
	v_floor_f32_e32 v4, v4
	s_mov_b32 s74, 0xcf800000
	v_fma_f32 v4, v4, s74, |v1|
	v_cvt_u32_f32_e32 v4, v4
	v_ashrrev_i32_e32 v1, 31, v1
	v_xor_b32_e32 v4, v4, v1
	v_sub_u32_e32 v1, v4, v1
	flat_store_byte v[2:3], v1
.LBB47_7452:
	s_or_b64 exec, exec, s[86:87]
.LBB47_7453:
	s_or_b64 exec, exec, vcc
.LBB47_7454:
	s_or_b64 exec, exec, s[84:85]
	s_or_b64 s[4:5], s[4:5], exec
	s_or_b64 exec, exec, s[78:79]
	s_mov_b64 vcc, 0
	s_and_saveexec_b64 s[76:77], s[4:5]
	s_cbranch_execnz .LBB47_3994
	s_branch .LBB47_3995
.LBB47_7455:
	v_bfe_u32 v1, v38, 21, 1
	s_mov_b32 s72, 0x88fffff
	v_add3_u32 v1, v38, v1, s72
	s_mov_b64 s[70:71], exec
	v_lshrrev_b32_e32 v1, 21, v1
	s_or_saveexec_b64 s[72:73], vcc
                                        ; implicit-def: $sgpr74
	s_xor_b64 exec, exec, s[72:73]
	s_cbranch_execz .LBB47_6620
.LBB47_7456:
	s_mov_b32 s74, 0x42800000
	v_add_f32_e64 v1, |v38|, s74
	v_and_b32_e32 v1, 0xff, v1
	v_cmp_ne_u32_e32 vcc, 0, v1
	s_andn2_b64 s[70:71], s[70:71], exec
	s_and_b64 vcc, vcc, exec
	s_mov_b32 s74, 0
	s_or_b64 s[70:71], s[70:71], vcc
	s_or_b64 exec, exec, s[72:73]
	v_mov_b32_e32 v4, s74
	s_and_saveexec_b64 vcc, s[70:71]
	s_cbranch_execnz .LBB47_6621
	s_branch .LBB47_6622
.LBB47_7457:
	v_bfe_u32 v1, v36, 20, 1
	s_mov_b32 s74, 0x487ffff
	v_add3_u32 v1, v36, v1, s74
	s_mov_b64 s[72:73], exec
	v_lshrrev_b32_e32 v1, 20, v1
	s_or_saveexec_b64 s[74:75], vcc
                                        ; implicit-def: $sgpr76
	s_xor_b64 exec, exec, s[74:75]
	s_cbranch_execz .LBB47_6733
.LBB47_7458:
	s_mov_b32 s76, 0x46000000
	v_add_f32_e64 v1, |v36|, s76
	v_and_b32_e32 v1, 0xff, v1
	v_cmp_ne_u32_e32 vcc, 0, v1
	s_andn2_b64 s[72:73], s[72:73], exec
	s_and_b64 vcc, vcc, exec
	s_mov_b32 s76, 0
	s_or_b64 s[72:73], s[72:73], vcc
	s_or_b64 exec, exec, s[74:75]
	v_mov_b32_e32 v4, s76
	s_and_saveexec_b64 vcc, s[72:73]
	s_cbranch_execnz .LBB47_6734
	s_branch .LBB47_6735
.LBB47_7459:
	v_mov_b32_e32 v1, 25
	v_readlane_b32 s86, v43, 14
	v_cmp_gt_i16_sdwa vcc, v11, v1 src0_sel:BYTE_0 src1_sel:DWORD
	v_readlane_b32 s87, v43, 15
	s_and_saveexec_b64 s[74:75], vcc
	s_xor_b64 s[88:89], exec, s[74:75]
	s_cbranch_execz .LBB47_7495
; %bb.7460:
	v_mov_b32_e32 v1, 28
	v_readlane_b32 s90, v43, 14
	v_cmp_gt_i16_sdwa vcc, v11, v1 src0_sel:BYTE_0 src1_sel:DWORD
	v_readlane_b32 s91, v43, 15
	s_and_saveexec_b64 s[74:75], vcc
	s_xor_b64 s[86:87], exec, s[74:75]
	s_cbranch_execz .LBB47_7478
; %bb.7461:
	v_mov_b32_e32 v1, 43
	v_readlane_b32 vcc_lo, v43, 14
	v_cmp_gt_i16_sdwa s[74:75], v11, v1 src0_sel:BYTE_0 src1_sel:DWORD
	v_readlane_b32 vcc_hi, v43, 15
	s_and_saveexec_b64 s[76:77], s[74:75]
	s_xor_b64 s[90:91], exec, s[76:77]
	s_cbranch_execz .LBB47_7473
; %bb.7462:
	v_mov_b32_e32 v1, 45
	v_readlane_b32 s94, v43, 14
	v_cmp_gt_i16_sdwa s[4:5], v11, v1 src0_sel:BYTE_0 src1_sel:DWORD
	s_mov_b64 s[92:93], 0
	v_readlane_b32 s95, v43, 15
	s_and_saveexec_b64 vcc, s[4:5]
	s_xor_b64 s[4:5], exec, vcc
	s_cbranch_execz .LBB47_7466
; %bb.7463:
	v_mov_b32_e32 v1, 46
	v_cmp_eq_u16_sdwa s[74:75], v11, v1 src0_sel:BYTE_0 src1_sel:DWORD
	s_mov_b64 vcc, -1
	s_and_saveexec_b64 s[92:93], s[74:75]
	s_cbranch_execz .LBB47_7465
; %bb.7464:
	v_bfe_u32 v1, v24, 16, 1
	s_movk_i32 vcc_lo, 0x7fff
	v_add3_u32 v1, v24, v1, vcc_lo
	v_lshrrev_b32_e32 v1, 16, v1
	v_mov_b32_e32 v4, 0x7fc0
	v_cmp_o_f32_e32 vcc, v24, v24
	v_cndmask_b32_e32 v1, v4, v1, vcc
	s_mov_b64 s[80:81], exec
	flat_store_dword v[2:3], v1
	s_xor_b64 vcc, exec, -1
.LBB47_7465:
	s_or_b64 exec, exec, s[92:93]
	v_readlane_b32 s74, v43, 14
	v_readlane_b32 s75, v43, 15
	s_andn2_b64 s[74:75], s[74:75], exec
	s_and_b64 vcc, vcc, exec
	s_or_b64 s[94:95], s[74:75], vcc
	s_and_b64 s[92:93], s[80:81], exec
                                        ; implicit-def: $vgpr2_vgpr3
                                        ; implicit-def: $vgpr24
.LBB47_7466:
	s_andn2_saveexec_b64 s[96:97], s[4:5]
	s_cbranch_execz .LBB47_7472
; %bb.7467:
	v_mov_b32_e32 v1, 44
	v_cmp_eq_u16_sdwa s[74:75], v11, v1 src0_sel:BYTE_0 src1_sel:DWORD
	s_mov_b64 vcc, -1
	s_mov_b64 s[4:5], s[92:93]
	s_and_saveexec_b64 s[80:81], s[74:75]
	s_cbranch_execz .LBB47_7471
; %bb.7468:
	v_bfe_u32 v1, v24, 23, 8
	s_movk_i32 s4, 0xff
	v_cmp_ne_u32_e32 vcc, s4, v1
	v_mov_b32_e32 v4, 0xff
	s_and_saveexec_b64 s[74:75], vcc
; %bb.7469:
	s_mov_b32 s4, 0x3fffff
	v_and_b32_e32 v5, 0x400000, v24
	v_and_or_b32 v1, v24, s4, v1
	v_cmp_ne_u32_e32 vcc, 0, v5
	v_cmp_ne_u32_e64 s[4:5], 0, v1
	s_and_b64 s[4:5], vcc, s[4:5]
	v_lshrrev_b32_e32 v4, 23, v24
	v_cndmask_b32_e64 v1, 0, 1, s[4:5]
	v_add_u32_e32 v4, v4, v1
; %bb.7470:
	s_or_b64 exec, exec, s[74:75]
	s_xor_b64 vcc, exec, -1
	s_or_b64 s[4:5], s[92:93], exec
	flat_store_byte v[2:3], v4
.LBB47_7471:
	s_or_b64 exec, exec, s[80:81]
	s_andn2_b64 s[74:75], s[94:95], exec
	s_and_b64 vcc, vcc, exec
	s_or_b64 s[94:95], s[74:75], vcc
	s_andn2_b64 vcc, s[92:93], exec
	s_and_b64 s[4:5], s[4:5], exec
	s_or_b64 s[92:93], vcc, s[4:5]
.LBB47_7472:
	s_or_b64 exec, exec, s[96:97]
	v_readlane_b32 s4, v43, 14
	v_readlane_b32 s5, v43, 15
	s_andn2_b64 s[4:5], s[4:5], exec
	s_and_b64 vcc, s[94:95], exec
	s_or_b64 vcc, s[4:5], vcc
	s_and_b64 s[4:5], s[92:93], exec
                                        ; implicit-def: $vgpr24
                                        ; implicit-def: $vgpr2_vgpr3
.LBB47_7473:
	s_andn2_saveexec_b64 s[90:91], s[90:91]
	s_cbranch_execz .LBB47_7477
; %bb.7474:
	v_mov_b32_e32 v1, 29
	v_cmp_eq_u16_sdwa s[74:75], v11, v1 src0_sel:BYTE_0 src1_sel:DWORD
	s_mov_b64 s[94:95], -1
	s_mov_b64 s[92:93], s[4:5]
	s_and_saveexec_b64 s[80:81], s[74:75]
	s_cbranch_execz .LBB47_7476
; %bb.7475:
	v_trunc_f32_e32 v1, v24
	v_mul_f32_e32 v4, 0x2f800000, v1
	v_floor_f32_e32 v4, v4
	v_fmac_f32_e32 v1, 0xcf800000, v4
	v_cvt_u32_f32_e32 v5, v4
	v_cvt_u32_f32_e32 v4, v1
	s_xor_b64 s[94:95], exec, -1
	s_or_b64 s[92:93], s[4:5], exec
	flat_store_dwordx2 v[2:3], v[4:5]
.LBB47_7476:
	s_or_b64 exec, exec, s[80:81]
	s_andn2_b64 vcc, vcc, exec
	s_and_b64 s[74:75], s[94:95], exec
	s_or_b64 vcc, vcc, s[74:75]
	s_andn2_b64 s[4:5], s[4:5], exec
	s_and_b64 s[74:75], s[92:93], exec
	s_or_b64 s[4:5], s[4:5], s[74:75]
.LBB47_7477:
	s_or_b64 exec, exec, s[90:91]
	v_readlane_b32 s74, v43, 14
	v_readlane_b32 s75, v43, 15
	s_andn2_b64 s[74:75], s[74:75], exec
	s_and_b64 vcc, vcc, exec
	s_or_b64 s[90:91], s[74:75], vcc
	s_and_b64 s[4:5], s[4:5], exec
                                        ; implicit-def: $vgpr2_vgpr3
                                        ; implicit-def: $vgpr24
.LBB47_7478:
	s_andn2_saveexec_b64 s[86:87], s[86:87]
	s_cbranch_execz .LBB47_7494
; %bb.7479:
	v_mov_b32_e32 v1, 26
	v_cmp_gt_i16_sdwa vcc, v11, v1 src0_sel:BYTE_0 src1_sel:DWORD
	s_and_saveexec_b64 s[74:75], vcc
	s_xor_b64 vcc, exec, s[74:75]
	s_cbranch_execz .LBB47_7485
; %bb.7480:
	v_cvt_u32_f32_e32 v1, v24
	v_mov_b32_e32 v4, 27
	v_cmp_gt_i16_sdwa s[74:75], v11, v4 src0_sel:BYTE_0 src1_sel:DWORD
	s_and_saveexec_b64 s[76:77], s[74:75]
	s_xor_b64 s[76:77], exec, s[76:77]
	s_cbranch_execz .LBB47_7482
; %bb.7481:
	flat_store_dword v[2:3], v1
                                        ; implicit-def: $vgpr2_vgpr3
                                        ; implicit-def: $vgpr1
.LBB47_7482:
	s_andn2_saveexec_b64 s[76:77], s[76:77]
	s_cbranch_execz .LBB47_7484
; %bb.7483:
	flat_store_short v[2:3], v1
.LBB47_7484:
	s_or_b64 exec, exec, s[76:77]
                                        ; implicit-def: $vgpr2_vgpr3
                                        ; implicit-def: $vgpr24
.LBB47_7485:
	s_andn2_saveexec_b64 s[92:93], vcc
	s_cbranch_execz .LBB47_7493
; %bb.7486:
	v_and_b32_e32 v1, 0x7fffffff, v24
	s_mov_b32 vcc_lo, 0x43800000
	v_cmp_gt_u32_e32 vcc, vcc_lo, v1
	v_mov_b32_e32 v4, 0x80
	s_and_saveexec_b64 s[94:95], vcc
	s_cbranch_execz .LBB47_7492
; %bb.7487:
	s_mov_b32 vcc_lo, 0x3bffffff
	v_cmp_lt_u32_e32 vcc, vcc_lo, v1
	s_mov_b64 s[96:97], 0
                                        ; implicit-def: $vgpr1
	s_and_saveexec_b64 s[74:75], vcc
	s_xor_b64 vcc, exec, s[74:75]
	s_cbranch_execnz .LBB47_7847
; %bb.7488:
	s_or_saveexec_b64 s[80:81], vcc
                                        ; implicit-def: $sgpr76
	s_xor_b64 exec, exec, s[80:81]
	s_cbranch_execnz .LBB47_7848
.LBB47_7489:
	s_or_b64 exec, exec, s[80:81]
	v_mov_b32_e32 v4, s76
	s_and_saveexec_b64 vcc, s[96:97]
.LBB47_7490:
	v_lshrrev_b32_e32 v4, 24, v24
	s_movk_i32 s74, 0x80
	v_and_or_b32 v4, v4, s74, v1
.LBB47_7491:
	s_or_b64 exec, exec, vcc
.LBB47_7492:
	s_or_b64 exec, exec, s[94:95]
	flat_store_byte v[2:3], v4
.LBB47_7493:
	s_or_b64 exec, exec, s[92:93]
	s_or_b64 s[4:5], s[4:5], exec
.LBB47_7494:
	s_or_b64 exec, exec, s[86:87]
	v_readlane_b32 vcc_lo, v43, 14
	v_readlane_b32 vcc_hi, v43, 15
	s_andn2_b64 vcc, vcc, exec
	s_and_b64 s[74:75], s[90:91], exec
	s_or_b64 s[86:87], vcc, s[74:75]
	s_and_b64 s[4:5], s[4:5], exec
                                        ; implicit-def: $vgpr24
                                        ; implicit-def: $vgpr2_vgpr3
.LBB47_7495:
	s_andn2_saveexec_b64 s[88:89], s[88:89]
	s_cbranch_execz .LBB47_7539
; %bb.7496:
	v_mov_b32_e32 v1, 22
	v_cmp_gt_i16_sdwa vcc, v11, v1 src0_sel:BYTE_0 src1_sel:DWORD
	s_mov_b64 s[92:93], s[4:5]
	s_and_saveexec_b64 s[74:75], vcc
	s_xor_b64 s[90:91], exec, s[74:75]
	s_cbranch_execz .LBB47_7528
; %bb.7497:
	v_mov_b32_e32 v1, 23
	v_cmp_gt_i16_sdwa vcc, v11, v1 src0_sel:BYTE_0 src1_sel:DWORD
	s_and_saveexec_b64 s[74:75], vcc
	s_xor_b64 s[92:93], exec, s[74:75]
	s_cbranch_execz .LBB47_7517
; %bb.7498:
	v_mov_b32_e32 v1, 24
	v_cmp_gt_i16_sdwa vcc, v11, v1 src0_sel:BYTE_0 src1_sel:DWORD
	s_and_saveexec_b64 s[74:75], vcc
	s_xor_b64 s[94:95], exec, s[74:75]
	s_cbranch_execz .LBB47_7506
; %bb.7499:
	v_and_b32_e32 v1, 0x7fffffff, v24
	s_mov_b32 vcc_lo, 0x47800000
	v_cmp_gt_u32_e32 vcc, vcc_lo, v1
	v_mov_b32_e32 v4, 0x80
	s_and_saveexec_b64 s[96:97], vcc
	s_cbranch_execz .LBB47_7505
; %bb.7500:
	s_mov_b32 vcc_lo, 0x37ffffff
	v_cmp_lt_u32_e32 vcc, vcc_lo, v1
	s_mov_b64 s[78:79], 0
                                        ; implicit-def: $vgpr1
	s_and_saveexec_b64 s[74:75], vcc
	s_xor_b64 vcc, exec, s[74:75]
	s_cbranch_execnz .LBB47_7849
; %bb.7501:
	s_or_saveexec_b64 s[80:81], vcc
                                        ; implicit-def: $sgpr76
	s_xor_b64 exec, exec, s[80:81]
	s_cbranch_execnz .LBB47_7850
.LBB47_7502:
	s_or_b64 exec, exec, s[80:81]
	v_mov_b32_e32 v4, s76
	s_and_saveexec_b64 vcc, s[78:79]
.LBB47_7503:
	v_lshrrev_b32_e32 v4, 24, v24
	s_movk_i32 s74, 0x80
	v_and_or_b32 v4, v4, s74, v1
.LBB47_7504:
	s_or_b64 exec, exec, vcc
.LBB47_7505:
	s_or_b64 exec, exec, s[96:97]
	flat_store_byte v[2:3], v4
                                        ; implicit-def: $vgpr24
                                        ; implicit-def: $vgpr2_vgpr3
.LBB47_7506:
	s_andn2_saveexec_b64 s[94:95], s[94:95]
	s_cbranch_execz .LBB47_7516
; %bb.7507:
	v_and_b32_e32 v4, 0x7fffffff, v24
	s_mov_b32 vcc_lo, 0x43f00000
	v_cmp_gt_u32_e32 vcc, vcc_lo, v4
                                        ; implicit-def: $vgpr1
	s_and_saveexec_b64 s[74:75], vcc
	s_xor_b64 s[80:81], exec, s[74:75]
	s_cbranch_execz .LBB47_7513
; %bb.7508:
	s_mov_b32 vcc_lo, 0x3c7fffff
	v_cmp_lt_u32_e32 vcc, vcc_lo, v4
                                        ; implicit-def: $vgpr1
	s_and_saveexec_b64 s[74:75], vcc
	s_xor_b64 s[78:79], exec, s[74:75]
; %bb.7509:
	v_bfe_u32 v1, v24, 20, 1
	s_mov_b32 vcc_lo, 0x407ffff
	v_add3_u32 v1, v24, v1, vcc_lo
	v_lshrrev_b32_e32 v4, 20, v1
	v_and_b32_e32 v1, 0xff00000, v1
	s_mov_b32 vcc_lo, 0x7f00000
	v_mov_b32_e32 v5, 0x7e
	v_cmp_ne_u32_e32 vcc, vcc_lo, v1
	v_cndmask_b32_e32 v1, v5, v4, vcc
; %bb.7510:
	s_andn2_saveexec_b64 vcc, s[78:79]
; %bb.7511:
	s_mov_b32 s74, 0x46800000
	v_add_f32_e64 v1, |v24|, s74
; %bb.7512:
	s_or_b64 exec, exec, vcc
                                        ; implicit-def: $vgpr4
.LBB47_7513:
	s_andn2_saveexec_b64 s[80:81], s[80:81]
; %bb.7514:
	s_mov_b32 vcc_lo, 0x7f800000
	v_mov_b32_e32 v1, 0x7e
	v_mov_b32_e32 v5, 0x7f
	v_cmp_lt_u32_e32 vcc, vcc_lo, v4
	v_cndmask_b32_e32 v1, v1, v5, vcc
; %bb.7515:
	s_or_b64 exec, exec, s[80:81]
	v_lshrrev_b32_e32 v4, 24, v24
	s_movk_i32 vcc_lo, 0x80
	v_and_or_b32 v1, v4, vcc_lo, v1
	flat_store_byte v[2:3], v1
.LBB47_7516:
	s_or_b64 exec, exec, s[94:95]
                                        ; implicit-def: $vgpr24
                                        ; implicit-def: $vgpr2_vgpr3
.LBB47_7517:
	s_andn2_saveexec_b64 s[92:93], s[92:93]
	s_cbranch_execz .LBB47_7527
; %bb.7518:
	v_and_b32_e32 v4, 0x7fffffff, v24
	s_mov_b32 vcc_lo, 0x47800000
	v_cmp_gt_u32_e32 vcc, vcc_lo, v4
                                        ; implicit-def: $vgpr1
	s_and_saveexec_b64 s[74:75], vcc
	s_xor_b64 s[80:81], exec, s[74:75]
	s_cbranch_execz .LBB47_7524
; %bb.7519:
	s_mov_b32 vcc_lo, 0x387fffff
	v_cmp_lt_u32_e32 vcc, vcc_lo, v4
                                        ; implicit-def: $vgpr1
	s_and_saveexec_b64 s[74:75], vcc
	s_xor_b64 vcc, exec, s[74:75]
; %bb.7520:
	v_bfe_u32 v1, v24, 21, 1
	s_mov_b32 s74, 0x80fffff
	v_add3_u32 v1, v24, v1, s74
	v_lshrrev_b32_e32 v1, 21, v1
; %bb.7521:
	s_andn2_saveexec_b64 vcc, vcc
; %bb.7522:
	s_mov_b32 s74, 0x43000000
	v_add_f32_e64 v1, |v24|, s74
; %bb.7523:
	s_or_b64 exec, exec, vcc
                                        ; implicit-def: $vgpr4
.LBB47_7524:
	s_andn2_saveexec_b64 s[80:81], s[80:81]
; %bb.7525:
	s_mov_b32 vcc_lo, 0x7f800000
	v_mov_b32_e32 v1, 0x7c
	v_mov_b32_e32 v5, 0x7f
	v_cmp_lt_u32_e32 vcc, vcc_lo, v4
	v_cndmask_b32_e32 v1, v1, v5, vcc
; %bb.7526:
	s_or_b64 exec, exec, s[80:81]
	v_lshrrev_b32_e32 v4, 24, v24
	s_movk_i32 vcc_lo, 0x80
	v_and_or_b32 v1, v4, vcc_lo, v1
	flat_store_byte v[2:3], v1
.LBB47_7527:
	s_or_b64 exec, exec, s[92:93]
	s_or_b64 s[92:93], s[4:5], exec
                                        ; implicit-def: $vgpr24
                                        ; implicit-def: $vgpr2_vgpr3
.LBB47_7528:
	s_or_saveexec_b64 s[90:91], s[90:91]
	s_mov_b64 vcc, s[86:87]
	s_xor_b64 exec, exec, s[90:91]
	s_cbranch_execz .LBB47_7538
; %bb.7529:
	v_mov_b32_e32 v1, 14
	v_cmp_gt_i16_sdwa vcc, v11, v1 src0_sel:BYTE_0 src1_sel:DWORD
	s_mov_b64 s[94:95], s[92:93]
	s_mov_b64 s[96:97], s[86:87]
	s_and_saveexec_b64 s[74:75], vcc
	s_xor_b64 s[80:81], exec, s[74:75]
	s_cbranch_execz .LBB47_7533
; %bb.7530:
	v_mov_b32_e32 v1, 15
	v_cmp_eq_u16_sdwa s[74:75], v11, v1 src0_sel:BYTE_0 src1_sel:DWORD
	s_mov_b64 s[96:97], -1
	s_mov_b64 vcc, s[92:93]
	s_and_saveexec_b64 s[94:95], s[74:75]
	s_cbranch_execz .LBB47_7532
; %bb.7531:
	v_bfe_u32 v1, v24, 16, 1
	s_movk_i32 vcc_lo, 0x7fff
	v_add3_u32 v1, v24, v1, vcc_lo
	v_lshrrev_b32_e32 v1, 16, v1
	v_mov_b32_e32 v4, 0x7fc0
	v_cmp_o_f32_e32 vcc, v24, v24
	v_cndmask_b32_e32 v1, v4, v1, vcc
	flat_store_short v[2:3], v1
	s_xor_b64 s[96:97], exec, -1
	s_or_b64 vcc, s[92:93], exec
.LBB47_7532:
	s_or_b64 exec, exec, s[94:95]
	s_andn2_b64 s[74:75], s[86:87], exec
	s_and_b64 s[76:77], s[96:97], exec
	s_or_b64 s[96:97], s[74:75], s[76:77]
	s_andn2_b64 s[74:75], s[92:93], exec
	s_and_b64 vcc, vcc, exec
	s_or_b64 s[94:95], s[74:75], vcc
                                        ; implicit-def: $vgpr24
                                        ; implicit-def: $vgpr2_vgpr3
.LBB47_7533:
	s_andn2_saveexec_b64 s[80:81], s[80:81]
	s_cbranch_execz .LBB47_7537
; %bb.7534:
	v_mov_b32_e32 v1, 11
	v_cmp_eq_u16_sdwa s[74:75], v11, v1 src0_sel:BYTE_0 src1_sel:DWORD
	s_mov_b64 s[78:79], -1
	s_mov_b64 vcc, s[94:95]
	s_and_saveexec_b64 s[76:77], s[74:75]
	s_cbranch_execz .LBB47_7536
; %bb.7535:
	v_cmp_neq_f32_e32 vcc, 0, v24
	v_cndmask_b32_e64 v1, 0, 1, vcc
	flat_store_byte v[2:3], v1
	s_xor_b64 s[78:79], exec, -1
	s_or_b64 vcc, s[94:95], exec
.LBB47_7536:
	s_or_b64 exec, exec, s[76:77]
	s_andn2_b64 s[74:75], s[96:97], exec
	s_and_b64 s[76:77], s[78:79], exec
	s_or_b64 s[96:97], s[74:75], s[76:77]
	s_andn2_b64 s[74:75], s[94:95], exec
	s_and_b64 vcc, vcc, exec
	s_or_b64 s[94:95], s[74:75], vcc
.LBB47_7537:
	s_or_b64 exec, exec, s[80:81]
	s_andn2_b64 vcc, s[86:87], exec
	s_and_b64 s[74:75], s[96:97], exec
	s_or_b64 vcc, vcc, s[74:75]
	s_andn2_b64 s[74:75], s[92:93], exec
	s_and_b64 s[76:77], s[94:95], exec
	s_or_b64 s[92:93], s[74:75], s[76:77]
.LBB47_7538:
	s_or_b64 exec, exec, s[90:91]
	s_andn2_b64 s[74:75], s[86:87], exec
	s_and_b64 vcc, vcc, exec
	s_or_b64 s[86:87], s[74:75], vcc
	s_andn2_b64 s[4:5], s[4:5], exec
	s_and_b64 vcc, s[92:93], exec
	s_or_b64 s[4:5], s[4:5], vcc
.LBB47_7539:
	s_or_b64 exec, exec, s[88:89]
	v_readlane_b32 vcc_lo, v43, 14
	v_readlane_b32 vcc_hi, v43, 15
	s_andn2_b64 vcc, vcc, exec
	s_and_b64 s[74:75], s[86:87], exec
	s_or_b64 s[86:87], vcc, s[74:75]
	s_and_b64 s[4:5], s[4:5], exec
                                        ; implicit-def: $vgpr24
                                        ; implicit-def: $vgpr2_vgpr3
	s_andn2_saveexec_b64 s[82:83], s[82:83]
	s_cbranch_execz .LBB47_4000
.LBB47_7540:
	v_mov_b32_e32 v1, 4
	v_cmp_gt_i16_sdwa vcc, v11, v1 src0_sel:BYTE_0 src1_sel:DWORD
	s_and_saveexec_b64 s[74:75], vcc
	s_xor_b64 vcc, exec, s[74:75]
	s_cbranch_execz .LBB47_7562
; %bb.7541:
	v_mov_b32_e32 v1, 7
	v_cmp_gt_i16_sdwa s[74:75], v11, v1 src0_sel:BYTE_0 src1_sel:DWORD
	s_and_saveexec_b64 s[76:77], s[74:75]
	s_xor_b64 s[88:89], exec, s[76:77]
	s_cbranch_execz .LBB47_7551
; %bb.7542:
	v_mov_b32_e32 v1, 8
	v_cmp_gt_i16_sdwa s[74:75], v11, v1 src0_sel:BYTE_0 src1_sel:DWORD
	s_and_saveexec_b64 s[76:77], s[74:75]
	s_xor_b64 s[90:91], exec, s[76:77]
	;; [unrolled: 6-line block ×3, first 2 shown]
	s_cbranch_execz .LBB47_7545
; %bb.7544:
	v_mov_b32_e32 v26, 0
	v_cvt_f64_f32_e32 v[24:25], v24
	v_mov_b32_e32 v27, v26
	flat_store_dwordx4 v[2:3], v[24:27]
                                        ; implicit-def: $vgpr24
                                        ; implicit-def: $vgpr2_vgpr3
.LBB47_7545:
	s_andn2_saveexec_b64 s[76:77], s[78:79]
	s_cbranch_execz .LBB47_7547
; %bb.7546:
	v_mov_b32_e32 v25, 0
	flat_store_dwordx2 v[2:3], v[24:25]
.LBB47_7547:
	s_or_b64 exec, exec, s[76:77]
                                        ; implicit-def: $vgpr24
                                        ; implicit-def: $vgpr2_vgpr3
.LBB47_7548:
	s_andn2_saveexec_b64 s[76:77], s[90:91]
	s_cbranch_execz .LBB47_7550
; %bb.7549:
	v_cvt_f16_f32_e32 v1, v24
	flat_store_dword v[2:3], v1
.LBB47_7550:
	s_or_b64 exec, exec, s[76:77]
                                        ; implicit-def: $vgpr24
                                        ; implicit-def: $vgpr2_vgpr3
.LBB47_7551:
	s_andn2_saveexec_b64 s[88:89], s[88:89]
	s_cbranch_execz .LBB47_7561
; %bb.7552:
	v_mov_b32_e32 v1, 5
	v_cmp_gt_i16_sdwa s[74:75], v11, v1 src0_sel:BYTE_0 src1_sel:DWORD
	s_and_saveexec_b64 s[76:77], s[74:75]
	s_xor_b64 s[80:81], exec, s[76:77]
	s_cbranch_execz .LBB47_7558
; %bb.7553:
	v_mov_b32_e32 v1, 6
	v_cmp_gt_i16_sdwa s[74:75], v11, v1 src0_sel:BYTE_0 src1_sel:DWORD
	s_and_saveexec_b64 s[76:77], s[74:75]
	s_xor_b64 s[76:77], exec, s[76:77]
	s_cbranch_execz .LBB47_7555
; %bb.7554:
	v_cvt_f64_f32_e32 v[4:5], v24
	flat_store_dwordx2 v[2:3], v[4:5]
                                        ; implicit-def: $vgpr2_vgpr3
                                        ; implicit-def: $vgpr24
.LBB47_7555:
	s_andn2_saveexec_b64 s[76:77], s[76:77]
	s_cbranch_execz .LBB47_7557
; %bb.7556:
	flat_store_dword v[2:3], v24
.LBB47_7557:
	s_or_b64 exec, exec, s[76:77]
                                        ; implicit-def: $vgpr24
                                        ; implicit-def: $vgpr2_vgpr3
.LBB47_7558:
	s_andn2_saveexec_b64 s[76:77], s[80:81]
	s_cbranch_execz .LBB47_7560
; %bb.7559:
	v_cvt_f16_f32_e32 v1, v24
	flat_store_short v[2:3], v1
.LBB47_7560:
	s_or_b64 exec, exec, s[76:77]
.LBB47_7561:
	s_or_b64 exec, exec, s[88:89]
                                        ; implicit-def: $vgpr24
                                        ; implicit-def: $vgpr2_vgpr3
.LBB47_7562:
	s_andn2_saveexec_b64 s[88:89], vcc
	s_cbranch_execz .LBB47_7580
; %bb.7563:
	v_mov_b32_e32 v1, 1
	v_cmp_gt_i16_sdwa vcc, v11, v1 src0_sel:BYTE_0 src1_sel:DWORD
	s_and_saveexec_b64 s[74:75], vcc
	s_xor_b64 s[90:91], exec, s[74:75]
	s_cbranch_execz .LBB47_7573
; %bb.7564:
	v_mov_b32_e32 v1, 2
	v_cmp_gt_i16_sdwa vcc, v11, v1 src0_sel:BYTE_0 src1_sel:DWORD
	s_and_saveexec_b64 s[74:75], vcc
	s_xor_b64 s[92:93], exec, s[74:75]
	;; [unrolled: 6-line block ×3, first 2 shown]
	s_cbranch_execz .LBB47_7567
; %bb.7566:
	v_trunc_f32_e32 v1, v24
	s_mov_b32 s74, 0x2f800000
	v_mul_f32_e64 v4, |v1|, s74
	v_floor_f32_e32 v4, v4
	s_mov_b32 s74, 0xcf800000
	v_cvt_u32_f32_e32 v5, v4
	v_fma_f32 v4, v4, s74, |v1|
	v_cvt_u32_f32_e32 v4, v4
	v_ashrrev_i32_e32 v1, 31, v1
	v_xor_b32_e32 v5, v5, v1
                                        ; implicit-def: $vgpr24
	v_xor_b32_e32 v4, v4, v1
	v_sub_co_u32_e32 v4, vcc, v4, v1
	v_subb_co_u32_e32 v5, vcc, v5, v1, vcc
	flat_store_dwordx2 v[2:3], v[4:5]
                                        ; implicit-def: $vgpr2_vgpr3
.LBB47_7567:
	s_andn2_saveexec_b64 vcc, s[80:81]
	s_cbranch_execz .LBB47_7569
; %bb.7568:
	v_cvt_i32_f32_e32 v1, v24
	flat_store_dword v[2:3], v1
.LBB47_7569:
	s_or_b64 exec, exec, vcc
                                        ; implicit-def: $vgpr24
                                        ; implicit-def: $vgpr2_vgpr3
.LBB47_7570:
	s_andn2_saveexec_b64 vcc, s[92:93]
	s_cbranch_execz .LBB47_7572
; %bb.7571:
	v_cvt_i32_f32_e32 v1, v24
	flat_store_short v[2:3], v1
.LBB47_7572:
	s_or_b64 exec, exec, vcc
                                        ; implicit-def: $vgpr24
                                        ; implicit-def: $vgpr2_vgpr3
.LBB47_7573:
	s_andn2_saveexec_b64 vcc, s[90:91]
	s_cbranch_execz .LBB47_7579
; %bb.7574:
	v_mov_b32_e32 v1, 0
	v_cmp_gt_i16_sdwa s[74:75], v11, v1 src0_sel:BYTE_0 src1_sel:DWORD
	s_and_saveexec_b64 s[76:77], s[74:75]
	s_xor_b64 s[76:77], exec, s[76:77]
	s_cbranch_execz .LBB47_7576
; %bb.7575:
	v_cvt_i32_f32_e32 v1, v24
                                        ; implicit-def: $vgpr24
	flat_store_byte v[2:3], v1
                                        ; implicit-def: $vgpr2_vgpr3
.LBB47_7576:
	s_andn2_saveexec_b64 s[80:81], s[76:77]
	s_cbranch_execz .LBB47_7578
; %bb.7577:
	v_trunc_f32_e32 v1, v24
	s_mov_b32 s74, 0x2f800000
	v_mul_f32_e64 v4, |v1|, s74
	v_floor_f32_e32 v4, v4
	s_mov_b32 s74, 0xcf800000
	v_fma_f32 v4, v4, s74, |v1|
	v_cvt_u32_f32_e32 v4, v4
	v_ashrrev_i32_e32 v1, 31, v1
	v_xor_b32_e32 v4, v4, v1
	v_sub_u32_e32 v1, v4, v1
	flat_store_byte v[2:3], v1
.LBB47_7578:
	s_or_b64 exec, exec, s[80:81]
.LBB47_7579:
	s_or_b64 exec, exec, vcc
.LBB47_7580:
	s_or_b64 exec, exec, s[88:89]
	s_or_b64 s[4:5], s[4:5], exec
	s_or_b64 exec, exec, s[82:83]
	s_mov_b64 vcc, 0
	s_and_saveexec_b64 s[76:77], s[4:5]
	s_cbranch_execnz .LBB47_4001
	s_branch .LBB47_4002
.LBB47_7581:
	v_bfe_u32 v1, v36, 21, 1
	s_mov_b32 s76, 0x88fffff
	v_add3_u32 v1, v36, v1, s76
	s_mov_b64 s[74:75], exec
	v_lshrrev_b32_e32 v1, 21, v1
	s_or_saveexec_b64 s[76:77], vcc
                                        ; implicit-def: $sgpr78
	s_xor_b64 exec, exec, s[76:77]
	s_cbranch_execz .LBB47_6746
.LBB47_7582:
	s_mov_b32 s78, 0x42800000
	v_add_f32_e64 v1, |v36|, s78
	v_and_b32_e32 v1, 0xff, v1
	v_cmp_ne_u32_e32 vcc, 0, v1
	s_andn2_b64 s[74:75], s[74:75], exec
	s_and_b64 vcc, vcc, exec
	s_mov_b32 s78, 0
	s_or_b64 s[74:75], s[74:75], vcc
	s_or_b64 exec, exec, s[76:77]
	v_mov_b32_e32 v4, s78
	s_and_saveexec_b64 vcc, s[74:75]
	s_cbranch_execnz .LBB47_6747
	s_branch .LBB47_6748
.LBB47_7583:
	v_bfe_u32 v1, v34, 20, 1
	s_mov_b32 s78, 0x487ffff
	v_add3_u32 v1, v34, v1, s78
	s_mov_b64 s[76:77], exec
	v_lshrrev_b32_e32 v1, 20, v1
	s_or_saveexec_b64 s[78:79], vcc
                                        ; implicit-def: $sgpr80
	s_xor_b64 exec, exec, s[78:79]
	s_cbranch_execz .LBB47_6859
.LBB47_7584:
	s_mov_b32 s80, 0x46000000
	v_add_f32_e64 v1, |v34|, s80
	v_and_b32_e32 v1, 0xff, v1
	v_cmp_ne_u32_e32 vcc, 0, v1
	s_andn2_b64 s[76:77], s[76:77], exec
	s_and_b64 vcc, vcc, exec
	s_mov_b32 s80, 0
	s_or_b64 s[76:77], s[76:77], vcc
	s_or_b64 exec, exec, s[78:79]
	v_mov_b32_e32 v4, s80
	s_and_saveexec_b64 vcc, s[76:77]
	s_cbranch_execnz .LBB47_6860
	s_branch .LBB47_6861
.LBB47_7585:
	v_mov_b32_e32 v1, 25
	v_readlane_b32 s82, v43, 18
	v_cmp_gt_i16_sdwa vcc, v11, v1 src0_sel:BYTE_0 src1_sel:DWORD
	v_readlane_b32 s83, v43, 19
	s_and_saveexec_b64 s[74:75], vcc
	s_xor_b64 s[92:93], exec, s[74:75]
	s_cbranch_execz .LBB47_7621
; %bb.7586:
	v_mov_b32_e32 v1, 28
	v_readlane_b32 s94, v43, 18
	v_cmp_gt_i16_sdwa vcc, v11, v1 src0_sel:BYTE_0 src1_sel:DWORD
	v_readlane_b32 s95, v43, 19
	s_and_saveexec_b64 s[74:75], vcc
	s_xor_b64 s[90:91], exec, s[74:75]
	s_cbranch_execz .LBB47_7604
; %bb.7587:
	v_mov_b32_e32 v1, 43
	v_readlane_b32 vcc_lo, v43, 18
	v_cmp_gt_i16_sdwa s[74:75], v11, v1 src0_sel:BYTE_0 src1_sel:DWORD
	v_readlane_b32 vcc_hi, v43, 19
	s_and_saveexec_b64 s[76:77], s[74:75]
	s_xor_b64 s[76:77], exec, s[76:77]
	s_cbranch_execz .LBB47_7599
; %bb.7588:
	v_mov_b32_e32 v1, 45
	v_readlane_b32 s84, v43, 18
	v_cmp_gt_i16_sdwa s[4:5], v11, v1 src0_sel:BYTE_0 src1_sel:DWORD
	s_mov_b64 s[96:97], 0
	v_readlane_b32 s85, v43, 19
	s_and_saveexec_b64 vcc, s[4:5]
	s_xor_b64 s[4:5], exec, vcc
	s_cbranch_execz .LBB47_7592
; %bb.7589:
	v_mov_b32_e32 v1, 46
	v_cmp_eq_u16_sdwa s[74:75], v11, v1 src0_sel:BYTE_0 src1_sel:DWORD
	s_mov_b64 vcc, -1
	s_and_saveexec_b64 s[82:83], s[74:75]
	s_cbranch_execz .LBB47_7591
; %bb.7590:
	v_bfe_u32 v1, v22, 16, 1
	s_movk_i32 vcc_lo, 0x7fff
	v_add3_u32 v1, v22, v1, vcc_lo
	v_lshrrev_b32_e32 v1, 16, v1
	v_mov_b32_e32 v4, 0x7fc0
	v_cmp_o_f32_e32 vcc, v22, v22
	v_cndmask_b32_e32 v1, v4, v1, vcc
	s_mov_b64 s[80:81], exec
	flat_store_dword v[2:3], v1
	s_xor_b64 vcc, exec, -1
.LBB47_7591:
	s_or_b64 exec, exec, s[82:83]
	v_readlane_b32 s74, v43, 18
	v_readlane_b32 s75, v43, 19
	s_andn2_b64 s[74:75], s[74:75], exec
	s_and_b64 vcc, vcc, exec
	s_or_b64 s[84:85], s[74:75], vcc
	s_and_b64 s[96:97], s[80:81], exec
                                        ; implicit-def: $vgpr2_vgpr3
                                        ; implicit-def: $vgpr22
.LBB47_7592:
	s_andn2_saveexec_b64 s[94:95], s[4:5]
	s_cbranch_execz .LBB47_7598
; %bb.7593:
	v_mov_b32_e32 v1, 44
	v_cmp_eq_u16_sdwa s[74:75], v11, v1 src0_sel:BYTE_0 src1_sel:DWORD
	s_mov_b64 vcc, -1
	s_mov_b64 s[4:5], s[96:97]
	s_and_saveexec_b64 s[80:81], s[74:75]
	s_cbranch_execz .LBB47_7597
; %bb.7594:
	v_bfe_u32 v1, v22, 23, 8
	s_movk_i32 s4, 0xff
	v_cmp_ne_u32_e32 vcc, s4, v1
	v_mov_b32_e32 v4, 0xff
	s_and_saveexec_b64 s[82:83], vcc
; %bb.7595:
	s_mov_b32 s4, 0x3fffff
	v_and_b32_e32 v5, 0x400000, v22
	v_and_or_b32 v1, v22, s4, v1
	v_cmp_ne_u32_e32 vcc, 0, v5
	v_cmp_ne_u32_e64 s[4:5], 0, v1
	s_and_b64 s[4:5], vcc, s[4:5]
	v_lshrrev_b32_e32 v4, 23, v22
	v_cndmask_b32_e64 v1, 0, 1, s[4:5]
	v_add_u32_e32 v4, v4, v1
; %bb.7596:
	s_or_b64 exec, exec, s[82:83]
	s_xor_b64 vcc, exec, -1
	s_or_b64 s[4:5], s[96:97], exec
	flat_store_byte v[2:3], v4
.LBB47_7597:
	s_or_b64 exec, exec, s[80:81]
	s_andn2_b64 s[74:75], s[84:85], exec
	s_and_b64 vcc, vcc, exec
	s_or_b64 s[84:85], s[74:75], vcc
	s_andn2_b64 vcc, s[96:97], exec
	s_and_b64 s[4:5], s[4:5], exec
	s_or_b64 s[96:97], vcc, s[4:5]
.LBB47_7598:
	s_or_b64 exec, exec, s[94:95]
	v_readlane_b32 s4, v43, 18
	v_readlane_b32 s5, v43, 19
	s_andn2_b64 s[4:5], s[4:5], exec
	s_and_b64 vcc, s[84:85], exec
	s_or_b64 vcc, s[4:5], vcc
	s_and_b64 s[4:5], s[96:97], exec
                                        ; implicit-def: $vgpr22
                                        ; implicit-def: $vgpr2_vgpr3
.LBB47_7599:
	s_andn2_saveexec_b64 s[82:83], s[76:77]
	s_cbranch_execz .LBB47_7603
; %bb.7600:
	v_mov_b32_e32 v1, 29
	v_cmp_eq_u16_sdwa s[74:75], v11, v1 src0_sel:BYTE_0 src1_sel:DWORD
	s_mov_b64 s[94:95], -1
	s_mov_b64 s[84:85], s[4:5]
	s_and_saveexec_b64 s[80:81], s[74:75]
	s_cbranch_execz .LBB47_7602
; %bb.7601:
	v_trunc_f32_e32 v1, v22
	v_mul_f32_e32 v4, 0x2f800000, v1
	v_floor_f32_e32 v4, v4
	v_fmac_f32_e32 v1, 0xcf800000, v4
	v_cvt_u32_f32_e32 v5, v4
	v_cvt_u32_f32_e32 v4, v1
	s_xor_b64 s[94:95], exec, -1
	s_or_b64 s[84:85], s[4:5], exec
	flat_store_dwordx2 v[2:3], v[4:5]
.LBB47_7602:
	s_or_b64 exec, exec, s[80:81]
	s_andn2_b64 vcc, vcc, exec
	s_and_b64 s[74:75], s[94:95], exec
	s_or_b64 vcc, vcc, s[74:75]
	s_andn2_b64 s[4:5], s[4:5], exec
	s_and_b64 s[74:75], s[84:85], exec
	s_or_b64 s[4:5], s[4:5], s[74:75]
.LBB47_7603:
	s_or_b64 exec, exec, s[82:83]
	v_readlane_b32 s74, v43, 18
	v_readlane_b32 s75, v43, 19
	s_andn2_b64 s[74:75], s[74:75], exec
	s_and_b64 vcc, vcc, exec
	s_or_b64 s[94:95], s[74:75], vcc
	s_and_b64 s[4:5], s[4:5], exec
                                        ; implicit-def: $vgpr2_vgpr3
                                        ; implicit-def: $vgpr22
.LBB47_7604:
	s_andn2_saveexec_b64 s[90:91], s[90:91]
	s_cbranch_execz .LBB47_7620
; %bb.7605:
	v_mov_b32_e32 v1, 26
	v_cmp_gt_i16_sdwa vcc, v11, v1 src0_sel:BYTE_0 src1_sel:DWORD
	s_and_saveexec_b64 s[74:75], vcc
	s_xor_b64 vcc, exec, s[74:75]
	s_cbranch_execz .LBB47_7611
; %bb.7606:
	v_cvt_u32_f32_e32 v1, v22
	v_mov_b32_e32 v4, 27
	v_cmp_gt_i16_sdwa s[74:75], v11, v4 src0_sel:BYTE_0 src1_sel:DWORD
	s_and_saveexec_b64 s[76:77], s[74:75]
	s_xor_b64 s[76:77], exec, s[76:77]
	s_cbranch_execz .LBB47_7608
; %bb.7607:
	flat_store_dword v[2:3], v1
                                        ; implicit-def: $vgpr2_vgpr3
                                        ; implicit-def: $vgpr1
.LBB47_7608:
	s_andn2_saveexec_b64 s[76:77], s[76:77]
	s_cbranch_execz .LBB47_7610
; %bb.7609:
	flat_store_short v[2:3], v1
.LBB47_7610:
	s_or_b64 exec, exec, s[76:77]
                                        ; implicit-def: $vgpr2_vgpr3
                                        ; implicit-def: $vgpr22
.LBB47_7611:
	s_andn2_saveexec_b64 s[96:97], vcc
	s_cbranch_execz .LBB47_7619
; %bb.7612:
	v_and_b32_e32 v1, 0x7fffffff, v22
	s_mov_b32 vcc_lo, 0x43800000
	v_cmp_gt_u32_e32 vcc, vcc_lo, v1
	v_mov_b32_e32 v4, 0x80
	s_and_saveexec_b64 s[84:85], vcc
	s_cbranch_execz .LBB47_7618
; %bb.7613:
	s_mov_b32 vcc_lo, 0x3bffffff
	v_cmp_lt_u32_e32 vcc, vcc_lo, v1
	s_mov_b64 s[82:83], 0
                                        ; implicit-def: $vgpr1
	s_and_saveexec_b64 s[74:75], vcc
	s_xor_b64 vcc, exec, s[74:75]
	s_cbranch_execnz .LBB47_7851
; %bb.7614:
	s_or_saveexec_b64 s[80:81], vcc
                                        ; implicit-def: $sgpr76
	s_xor_b64 exec, exec, s[80:81]
	s_cbranch_execnz .LBB47_7852
.LBB47_7615:
	s_or_b64 exec, exec, s[80:81]
	v_mov_b32_e32 v4, s76
	s_and_saveexec_b64 vcc, s[82:83]
.LBB47_7616:
	v_lshrrev_b32_e32 v4, 24, v22
	s_movk_i32 s74, 0x80
	v_and_or_b32 v4, v4, s74, v1
.LBB47_7617:
	s_or_b64 exec, exec, vcc
.LBB47_7618:
	s_or_b64 exec, exec, s[84:85]
	flat_store_byte v[2:3], v4
.LBB47_7619:
	s_or_b64 exec, exec, s[96:97]
	s_or_b64 s[4:5], s[4:5], exec
.LBB47_7620:
	s_or_b64 exec, exec, s[90:91]
	v_readlane_b32 vcc_lo, v43, 18
	v_readlane_b32 vcc_hi, v43, 19
	s_andn2_b64 vcc, vcc, exec
	s_and_b64 s[74:75], s[94:95], exec
	s_or_b64 s[82:83], vcc, s[74:75]
	s_and_b64 s[4:5], s[4:5], exec
                                        ; implicit-def: $vgpr22
                                        ; implicit-def: $vgpr2_vgpr3
.LBB47_7621:
	s_andn2_saveexec_b64 s[92:93], s[92:93]
	s_cbranch_execz .LBB47_7665
; %bb.7622:
	v_mov_b32_e32 v1, 22
	v_cmp_gt_i16_sdwa vcc, v11, v1 src0_sel:BYTE_0 src1_sel:DWORD
	s_mov_b64 s[96:97], s[4:5]
	s_and_saveexec_b64 s[74:75], vcc
	s_xor_b64 s[94:95], exec, s[74:75]
	s_cbranch_execz .LBB47_7654
; %bb.7623:
	v_mov_b32_e32 v1, 23
	v_cmp_gt_i16_sdwa vcc, v11, v1 src0_sel:BYTE_0 src1_sel:DWORD
	s_and_saveexec_b64 s[74:75], vcc
	s_xor_b64 s[96:97], exec, s[74:75]
	s_cbranch_execz .LBB47_7643
; %bb.7624:
	v_mov_b32_e32 v1, 24
	v_cmp_gt_i16_sdwa vcc, v11, v1 src0_sel:BYTE_0 src1_sel:DWORD
	s_and_saveexec_b64 s[74:75], vcc
	s_xor_b64 s[84:85], exec, s[74:75]
	s_cbranch_execz .LBB47_7632
; %bb.7625:
	v_and_b32_e32 v1, 0x7fffffff, v22
	s_mov_b32 vcc_lo, 0x47800000
	v_cmp_gt_u32_e32 vcc, vcc_lo, v1
	v_mov_b32_e32 v4, 0x80
	s_and_saveexec_b64 s[78:79], vcc
	s_cbranch_execz .LBB47_7631
; %bb.7626:
	s_mov_b32 vcc_lo, 0x37ffffff
	v_cmp_lt_u32_e32 vcc, vcc_lo, v1
	s_mov_b64 s[90:91], 0
                                        ; implicit-def: $vgpr1
	s_and_saveexec_b64 s[74:75], vcc
	s_xor_b64 vcc, exec, s[74:75]
	s_cbranch_execnz .LBB47_7853
; %bb.7627:
	s_or_saveexec_b64 s[80:81], vcc
                                        ; implicit-def: $sgpr76
	s_xor_b64 exec, exec, s[80:81]
	s_cbranch_execnz .LBB47_7854
.LBB47_7628:
	s_or_b64 exec, exec, s[80:81]
	v_mov_b32_e32 v4, s76
	s_and_saveexec_b64 vcc, s[90:91]
.LBB47_7629:
	v_lshrrev_b32_e32 v4, 24, v22
	s_movk_i32 s74, 0x80
	v_and_or_b32 v4, v4, s74, v1
.LBB47_7630:
	s_or_b64 exec, exec, vcc
.LBB47_7631:
	s_or_b64 exec, exec, s[78:79]
	flat_store_byte v[2:3], v4
                                        ; implicit-def: $vgpr22
                                        ; implicit-def: $vgpr2_vgpr3
.LBB47_7632:
	s_andn2_saveexec_b64 s[84:85], s[84:85]
	s_cbranch_execz .LBB47_7642
; %bb.7633:
	v_and_b32_e32 v4, 0x7fffffff, v22
	s_mov_b32 vcc_lo, 0x43f00000
	v_cmp_gt_u32_e32 vcc, vcc_lo, v4
                                        ; implicit-def: $vgpr1
	s_and_saveexec_b64 s[74:75], vcc
	s_xor_b64 s[80:81], exec, s[74:75]
	s_cbranch_execz .LBB47_7639
; %bb.7634:
	s_mov_b32 vcc_lo, 0x3c7fffff
	v_cmp_lt_u32_e32 vcc, vcc_lo, v4
                                        ; implicit-def: $vgpr1
	s_and_saveexec_b64 s[74:75], vcc
	s_xor_b64 s[78:79], exec, s[74:75]
; %bb.7635:
	v_bfe_u32 v1, v22, 20, 1
	s_mov_b32 vcc_lo, 0x407ffff
	v_add3_u32 v1, v22, v1, vcc_lo
	v_lshrrev_b32_e32 v4, 20, v1
	v_and_b32_e32 v1, 0xff00000, v1
	s_mov_b32 vcc_lo, 0x7f00000
	v_mov_b32_e32 v5, 0x7e
	v_cmp_ne_u32_e32 vcc, vcc_lo, v1
	v_cndmask_b32_e32 v1, v5, v4, vcc
; %bb.7636:
	s_andn2_saveexec_b64 vcc, s[78:79]
; %bb.7637:
	s_mov_b32 s74, 0x46800000
	v_add_f32_e64 v1, |v22|, s74
; %bb.7638:
	s_or_b64 exec, exec, vcc
                                        ; implicit-def: $vgpr4
.LBB47_7639:
	s_andn2_saveexec_b64 s[80:81], s[80:81]
; %bb.7640:
	s_mov_b32 vcc_lo, 0x7f800000
	v_mov_b32_e32 v1, 0x7e
	v_mov_b32_e32 v5, 0x7f
	v_cmp_lt_u32_e32 vcc, vcc_lo, v4
	v_cndmask_b32_e32 v1, v1, v5, vcc
; %bb.7641:
	s_or_b64 exec, exec, s[80:81]
	v_lshrrev_b32_e32 v4, 24, v22
	s_movk_i32 vcc_lo, 0x80
	v_and_or_b32 v1, v4, vcc_lo, v1
	flat_store_byte v[2:3], v1
.LBB47_7642:
	s_or_b64 exec, exec, s[84:85]
                                        ; implicit-def: $vgpr22
                                        ; implicit-def: $vgpr2_vgpr3
.LBB47_7643:
	s_andn2_saveexec_b64 s[84:85], s[96:97]
	s_cbranch_execz .LBB47_7653
; %bb.7644:
	v_and_b32_e32 v4, 0x7fffffff, v22
	s_mov_b32 vcc_lo, 0x47800000
	v_cmp_gt_u32_e32 vcc, vcc_lo, v4
                                        ; implicit-def: $vgpr1
	s_and_saveexec_b64 s[74:75], vcc
	s_xor_b64 s[80:81], exec, s[74:75]
	s_cbranch_execz .LBB47_7650
; %bb.7645:
	s_mov_b32 vcc_lo, 0x387fffff
	v_cmp_lt_u32_e32 vcc, vcc_lo, v4
                                        ; implicit-def: $vgpr1
	s_and_saveexec_b64 s[74:75], vcc
	s_xor_b64 vcc, exec, s[74:75]
; %bb.7646:
	v_bfe_u32 v1, v22, 21, 1
	s_mov_b32 s74, 0x80fffff
	v_add3_u32 v1, v22, v1, s74
	v_lshrrev_b32_e32 v1, 21, v1
; %bb.7647:
	s_andn2_saveexec_b64 vcc, vcc
; %bb.7648:
	s_mov_b32 s74, 0x43000000
	v_add_f32_e64 v1, |v22|, s74
; %bb.7649:
	s_or_b64 exec, exec, vcc
                                        ; implicit-def: $vgpr4
.LBB47_7650:
	s_andn2_saveexec_b64 s[80:81], s[80:81]
; %bb.7651:
	s_mov_b32 vcc_lo, 0x7f800000
	v_mov_b32_e32 v1, 0x7c
	v_mov_b32_e32 v5, 0x7f
	v_cmp_lt_u32_e32 vcc, vcc_lo, v4
	v_cndmask_b32_e32 v1, v1, v5, vcc
; %bb.7652:
	s_or_b64 exec, exec, s[80:81]
	v_lshrrev_b32_e32 v4, 24, v22
	s_movk_i32 vcc_lo, 0x80
	v_and_or_b32 v1, v4, vcc_lo, v1
	flat_store_byte v[2:3], v1
.LBB47_7653:
	s_or_b64 exec, exec, s[84:85]
	s_or_b64 s[96:97], s[4:5], exec
                                        ; implicit-def: $vgpr22
                                        ; implicit-def: $vgpr2_vgpr3
.LBB47_7654:
	s_or_saveexec_b64 s[94:95], s[94:95]
	s_mov_b64 vcc, s[82:83]
	s_xor_b64 exec, exec, s[94:95]
	s_cbranch_execz .LBB47_7664
; %bb.7655:
	v_mov_b32_e32 v1, 14
	v_cmp_gt_i16_sdwa vcc, v11, v1 src0_sel:BYTE_0 src1_sel:DWORD
	s_mov_b64 s[84:85], s[96:97]
	s_mov_b64 s[90:91], s[82:83]
	s_and_saveexec_b64 s[74:75], vcc
	s_xor_b64 s[80:81], exec, s[74:75]
	s_cbranch_execz .LBB47_7659
; %bb.7656:
	v_mov_b32_e32 v1, 15
	v_cmp_eq_u16_sdwa s[74:75], v11, v1 src0_sel:BYTE_0 src1_sel:DWORD
	s_mov_b64 s[78:79], -1
	s_mov_b64 vcc, s[96:97]
	s_and_saveexec_b64 s[84:85], s[74:75]
	s_cbranch_execz .LBB47_7658
; %bb.7657:
	v_bfe_u32 v1, v22, 16, 1
	s_movk_i32 vcc_lo, 0x7fff
	v_add3_u32 v1, v22, v1, vcc_lo
	v_lshrrev_b32_e32 v1, 16, v1
	v_mov_b32_e32 v4, 0x7fc0
	v_cmp_o_f32_e32 vcc, v22, v22
	v_cndmask_b32_e32 v1, v4, v1, vcc
	flat_store_short v[2:3], v1
	s_xor_b64 s[78:79], exec, -1
	s_or_b64 vcc, s[96:97], exec
.LBB47_7658:
	s_or_b64 exec, exec, s[84:85]
	s_andn2_b64 s[74:75], s[82:83], exec
	s_and_b64 s[76:77], s[78:79], exec
	s_or_b64 s[90:91], s[74:75], s[76:77]
	s_andn2_b64 s[74:75], s[96:97], exec
	s_and_b64 vcc, vcc, exec
	s_or_b64 s[84:85], s[74:75], vcc
                                        ; implicit-def: $vgpr22
                                        ; implicit-def: $vgpr2_vgpr3
.LBB47_7659:
	s_andn2_saveexec_b64 s[80:81], s[80:81]
	s_cbranch_execz .LBB47_7663
; %bb.7660:
	v_mov_b32_e32 v1, 11
	v_cmp_eq_u16_sdwa s[74:75], v11, v1 src0_sel:BYTE_0 src1_sel:DWORD
	s_mov_b64 s[78:79], -1
	s_mov_b64 vcc, s[84:85]
	s_and_saveexec_b64 s[76:77], s[74:75]
	s_cbranch_execz .LBB47_7662
; %bb.7661:
	v_cmp_neq_f32_e32 vcc, 0, v22
	v_cndmask_b32_e64 v1, 0, 1, vcc
	flat_store_byte v[2:3], v1
	s_xor_b64 s[78:79], exec, -1
	s_or_b64 vcc, s[84:85], exec
.LBB47_7662:
	s_or_b64 exec, exec, s[76:77]
	s_andn2_b64 s[74:75], s[90:91], exec
	s_and_b64 s[76:77], s[78:79], exec
	s_or_b64 s[90:91], s[74:75], s[76:77]
	s_andn2_b64 s[74:75], s[84:85], exec
	s_and_b64 vcc, vcc, exec
	s_or_b64 s[84:85], s[74:75], vcc
.LBB47_7663:
	s_or_b64 exec, exec, s[80:81]
	s_andn2_b64 vcc, s[82:83], exec
	s_and_b64 s[74:75], s[90:91], exec
	s_or_b64 vcc, vcc, s[74:75]
	s_andn2_b64 s[74:75], s[96:97], exec
	s_and_b64 s[76:77], s[84:85], exec
	s_or_b64 s[96:97], s[74:75], s[76:77]
.LBB47_7664:
	s_or_b64 exec, exec, s[94:95]
	s_andn2_b64 s[74:75], s[82:83], exec
	s_and_b64 vcc, vcc, exec
	s_or_b64 s[82:83], s[74:75], vcc
	s_andn2_b64 s[4:5], s[4:5], exec
	s_and_b64 vcc, s[96:97], exec
	s_or_b64 s[4:5], s[4:5], vcc
.LBB47_7665:
	s_or_b64 exec, exec, s[92:93]
	v_readlane_b32 vcc_lo, v43, 18
	v_readlane_b32 vcc_hi, v43, 19
	s_andn2_b64 vcc, vcc, exec
	s_and_b64 s[74:75], s[82:83], exec
	s_or_b64 s[90:91], vcc, s[74:75]
	s_and_b64 s[4:5], s[4:5], exec
                                        ; implicit-def: $vgpr22
                                        ; implicit-def: $vgpr2_vgpr3
	s_andn2_saveexec_b64 s[86:87], s[86:87]
	s_cbranch_execz .LBB47_4007
.LBB47_7666:
	v_mov_b32_e32 v1, 4
	v_cmp_gt_i16_sdwa vcc, v11, v1 src0_sel:BYTE_0 src1_sel:DWORD
	s_and_saveexec_b64 s[74:75], vcc
	s_xor_b64 vcc, exec, s[74:75]
	s_cbranch_execz .LBB47_7688
; %bb.7667:
	v_mov_b32_e32 v1, 7
	v_cmp_gt_i16_sdwa s[74:75], v11, v1 src0_sel:BYTE_0 src1_sel:DWORD
	s_and_saveexec_b64 s[76:77], s[74:75]
	s_xor_b64 s[84:85], exec, s[76:77]
	s_cbranch_execz .LBB47_7677
; %bb.7668:
	v_mov_b32_e32 v1, 8
	v_cmp_gt_i16_sdwa s[74:75], v11, v1 src0_sel:BYTE_0 src1_sel:DWORD
	s_and_saveexec_b64 s[76:77], s[74:75]
	s_xor_b64 s[82:83], exec, s[76:77]
	;; [unrolled: 6-line block ×3, first 2 shown]
	s_cbranch_execz .LBB47_7671
; %bb.7670:
	v_mov_b32_e32 v24, 0
	v_cvt_f64_f32_e32 v[22:23], v22
	v_mov_b32_e32 v25, v24
	flat_store_dwordx4 v[2:3], v[22:25]
                                        ; implicit-def: $vgpr22
                                        ; implicit-def: $vgpr2_vgpr3
.LBB47_7671:
	s_andn2_saveexec_b64 s[76:77], s[78:79]
	s_cbranch_execz .LBB47_7673
; %bb.7672:
	v_mov_b32_e32 v23, 0
	flat_store_dwordx2 v[2:3], v[22:23]
.LBB47_7673:
	s_or_b64 exec, exec, s[76:77]
                                        ; implicit-def: $vgpr22
                                        ; implicit-def: $vgpr2_vgpr3
.LBB47_7674:
	s_andn2_saveexec_b64 s[76:77], s[82:83]
	s_cbranch_execz .LBB47_7676
; %bb.7675:
	v_cvt_f16_f32_e32 v1, v22
	flat_store_dword v[2:3], v1
.LBB47_7676:
	s_or_b64 exec, exec, s[76:77]
                                        ; implicit-def: $vgpr22
                                        ; implicit-def: $vgpr2_vgpr3
.LBB47_7677:
	s_andn2_saveexec_b64 s[82:83], s[84:85]
	s_cbranch_execz .LBB47_7687
; %bb.7678:
	v_mov_b32_e32 v1, 5
	v_cmp_gt_i16_sdwa s[74:75], v11, v1 src0_sel:BYTE_0 src1_sel:DWORD
	s_and_saveexec_b64 s[76:77], s[74:75]
	s_xor_b64 s[80:81], exec, s[76:77]
	s_cbranch_execz .LBB47_7684
; %bb.7679:
	v_mov_b32_e32 v1, 6
	v_cmp_gt_i16_sdwa s[74:75], v11, v1 src0_sel:BYTE_0 src1_sel:DWORD
	s_and_saveexec_b64 s[76:77], s[74:75]
	s_xor_b64 s[76:77], exec, s[76:77]
	s_cbranch_execz .LBB47_7681
; %bb.7680:
	v_cvt_f64_f32_e32 v[4:5], v22
	flat_store_dwordx2 v[2:3], v[4:5]
                                        ; implicit-def: $vgpr2_vgpr3
                                        ; implicit-def: $vgpr22
.LBB47_7681:
	s_andn2_saveexec_b64 s[76:77], s[76:77]
	s_cbranch_execz .LBB47_7683
; %bb.7682:
	flat_store_dword v[2:3], v22
.LBB47_7683:
	s_or_b64 exec, exec, s[76:77]
                                        ; implicit-def: $vgpr22
                                        ; implicit-def: $vgpr2_vgpr3
.LBB47_7684:
	s_andn2_saveexec_b64 s[76:77], s[80:81]
	s_cbranch_execz .LBB47_7686
; %bb.7685:
	v_cvt_f16_f32_e32 v1, v22
	flat_store_short v[2:3], v1
.LBB47_7686:
	s_or_b64 exec, exec, s[76:77]
.LBB47_7687:
	s_or_b64 exec, exec, s[82:83]
                                        ; implicit-def: $vgpr22
                                        ; implicit-def: $vgpr2_vgpr3
.LBB47_7688:
	s_andn2_saveexec_b64 s[92:93], vcc
	s_cbranch_execz .LBB47_7706
; %bb.7689:
	v_mov_b32_e32 v1, 1
	v_cmp_gt_i16_sdwa vcc, v11, v1 src0_sel:BYTE_0 src1_sel:DWORD
	s_and_saveexec_b64 s[74:75], vcc
	s_xor_b64 s[84:85], exec, s[74:75]
	s_cbranch_execz .LBB47_7699
; %bb.7690:
	v_mov_b32_e32 v1, 2
	v_cmp_gt_i16_sdwa vcc, v11, v1 src0_sel:BYTE_0 src1_sel:DWORD
	s_and_saveexec_b64 s[74:75], vcc
	s_xor_b64 s[82:83], exec, s[74:75]
	;; [unrolled: 6-line block ×3, first 2 shown]
	s_cbranch_execz .LBB47_7693
; %bb.7692:
	v_trunc_f32_e32 v1, v22
	s_mov_b32 s74, 0x2f800000
	v_mul_f32_e64 v4, |v1|, s74
	v_floor_f32_e32 v4, v4
	s_mov_b32 s74, 0xcf800000
	v_cvt_u32_f32_e32 v5, v4
	v_fma_f32 v4, v4, s74, |v1|
	v_cvt_u32_f32_e32 v4, v4
	v_ashrrev_i32_e32 v1, 31, v1
	v_xor_b32_e32 v5, v5, v1
                                        ; implicit-def: $vgpr22
	v_xor_b32_e32 v4, v4, v1
	v_sub_co_u32_e32 v4, vcc, v4, v1
	v_subb_co_u32_e32 v5, vcc, v5, v1, vcc
	flat_store_dwordx2 v[2:3], v[4:5]
                                        ; implicit-def: $vgpr2_vgpr3
.LBB47_7693:
	s_andn2_saveexec_b64 vcc, s[80:81]
	s_cbranch_execz .LBB47_7695
; %bb.7694:
	v_cvt_i32_f32_e32 v1, v22
	flat_store_dword v[2:3], v1
.LBB47_7695:
	s_or_b64 exec, exec, vcc
                                        ; implicit-def: $vgpr22
                                        ; implicit-def: $vgpr2_vgpr3
.LBB47_7696:
	s_andn2_saveexec_b64 vcc, s[82:83]
	s_cbranch_execz .LBB47_7698
; %bb.7697:
	v_cvt_i32_f32_e32 v1, v22
	flat_store_short v[2:3], v1
.LBB47_7698:
	s_or_b64 exec, exec, vcc
                                        ; implicit-def: $vgpr22
                                        ; implicit-def: $vgpr2_vgpr3
.LBB47_7699:
	s_andn2_saveexec_b64 vcc, s[84:85]
	s_cbranch_execz .LBB47_7705
; %bb.7700:
	v_mov_b32_e32 v1, 0
	v_cmp_gt_i16_sdwa s[74:75], v11, v1 src0_sel:BYTE_0 src1_sel:DWORD
	s_and_saveexec_b64 s[76:77], s[74:75]
	s_xor_b64 s[76:77], exec, s[76:77]
	s_cbranch_execz .LBB47_7702
; %bb.7701:
	v_cvt_i32_f32_e32 v1, v22
                                        ; implicit-def: $vgpr22
	flat_store_byte v[2:3], v1
                                        ; implicit-def: $vgpr2_vgpr3
.LBB47_7702:
	s_andn2_saveexec_b64 s[80:81], s[76:77]
	s_cbranch_execz .LBB47_7704
; %bb.7703:
	v_trunc_f32_e32 v1, v22
	s_mov_b32 s74, 0x2f800000
	v_mul_f32_e64 v4, |v1|, s74
	v_floor_f32_e32 v4, v4
	s_mov_b32 s74, 0xcf800000
	v_fma_f32 v4, v4, s74, |v1|
	v_cvt_u32_f32_e32 v4, v4
	v_ashrrev_i32_e32 v1, 31, v1
	v_xor_b32_e32 v4, v4, v1
	v_sub_u32_e32 v1, v4, v1
	flat_store_byte v[2:3], v1
.LBB47_7704:
	s_or_b64 exec, exec, s[80:81]
.LBB47_7705:
	s_or_b64 exec, exec, vcc
.LBB47_7706:
	s_or_b64 exec, exec, s[92:93]
	s_or_b64 s[4:5], s[4:5], exec
	s_or_b64 exec, exec, s[86:87]
	s_mov_b64 vcc, 0
	s_and_saveexec_b64 s[76:77], s[4:5]
	s_cbranch_execnz .LBB47_4008
	s_branch .LBB47_4009
.LBB47_7707:
	v_bfe_u32 v1, v34, 21, 1
	s_mov_b32 s80, 0x88fffff
	v_add3_u32 v1, v34, v1, s80
	s_mov_b64 s[78:79], exec
	v_lshrrev_b32_e32 v1, 21, v1
	s_or_saveexec_b64 s[80:81], vcc
                                        ; implicit-def: $sgpr82
	s_xor_b64 exec, exec, s[80:81]
	s_cbranch_execz .LBB47_6872
.LBB47_7708:
	s_mov_b32 s82, 0x42800000
	v_add_f32_e64 v1, |v34|, s82
	v_and_b32_e32 v1, 0xff, v1
	v_cmp_ne_u32_e32 vcc, 0, v1
	s_andn2_b64 s[78:79], s[78:79], exec
	s_and_b64 vcc, vcc, exec
	s_mov_b32 s82, 0
	s_or_b64 s[78:79], s[78:79], vcc
	s_or_b64 exec, exec, s[80:81]
	v_mov_b32_e32 v4, s82
	s_and_saveexec_b64 vcc, s[78:79]
	s_cbranch_execnz .LBB47_6873
	s_branch .LBB47_6874
.LBB47_7709:
	v_bfe_u32 v1, v32, 20, 1
	s_mov_b32 s82, 0x487ffff
	v_add3_u32 v1, v32, v1, s82
	s_mov_b64 s[80:81], exec
	v_lshrrev_b32_e32 v1, 20, v1
	s_or_saveexec_b64 s[82:83], vcc
                                        ; implicit-def: $sgpr84
	s_xor_b64 exec, exec, s[82:83]
	s_cbranch_execz .LBB47_6985
.LBB47_7710:
	s_mov_b32 s84, 0x46000000
	v_add_f32_e64 v1, |v32|, s84
	v_and_b32_e32 v1, 0xff, v1
	v_cmp_ne_u32_e32 vcc, 0, v1
	s_andn2_b64 s[80:81], s[80:81], exec
	s_and_b64 vcc, vcc, exec
	s_mov_b32 s84, 0
	s_or_b64 s[80:81], s[80:81], vcc
	s_or_b64 exec, exec, s[82:83]
	v_mov_b32_e32 v4, s84
	s_and_saveexec_b64 vcc, s[80:81]
	s_cbranch_execnz .LBB47_6986
	s_branch .LBB47_6987
.LBB47_7711:
	v_mov_b32_e32 v1, 25
	v_readlane_b32 s94, v43, 22
	v_cmp_gt_i16_sdwa s[4:5], v11, v1 src0_sel:BYTE_0 src1_sel:DWORD
	s_mov_b64 s[88:89], 0
	v_readlane_b32 s95, v43, 23
	s_and_saveexec_b64 vcc, s[4:5]
	s_xor_b64 s[96:97], exec, vcc
	s_cbranch_execz .LBB47_7747
; %bb.7712:
	v_mov_b32_e32 v1, 28
	v_readlane_b32 s94, v43, 22
	v_cmp_gt_i16_sdwa vcc, v11, v1 src0_sel:BYTE_0 src1_sel:DWORD
	s_mov_b64 s[4:5], 0
	v_readlane_b32 s95, v43, 23
	s_and_saveexec_b64 s[74:75], vcc
	s_xor_b64 s[88:89], exec, s[74:75]
	s_cbranch_execz .LBB47_7730
; %bb.7713:
	v_mov_b32_e32 v1, 43
	v_readlane_b32 vcc_lo, v43, 22
	v_cmp_gt_i16_sdwa s[74:75], v11, v1 src0_sel:BYTE_0 src1_sel:DWORD
	v_readlane_b32 vcc_hi, v43, 23
	s_and_saveexec_b64 s[76:77], s[74:75]
	s_xor_b64 s[76:77], exec, s[76:77]
	s_cbranch_execz .LBB47_7725
; %bb.7714:
	v_mov_b32_e32 v1, 45
	v_readlane_b32 s84, v43, 22
	v_cmp_gt_i16_sdwa s[4:5], v11, v1 src0_sel:BYTE_0 src1_sel:DWORD
	s_mov_b64 s[86:87], 0
	v_readlane_b32 s85, v43, 23
	s_and_saveexec_b64 vcc, s[4:5]
	s_xor_b64 s[4:5], exec, vcc
	s_cbranch_execz .LBB47_7718
; %bb.7715:
	v_mov_b32_e32 v1, 46
	v_cmp_eq_u16_sdwa s[74:75], v11, v1 src0_sel:BYTE_0 src1_sel:DWORD
	s_mov_b64 vcc, -1
	s_and_saveexec_b64 s[82:83], s[74:75]
	s_cbranch_execz .LBB47_7717
; %bb.7716:
	v_bfe_u32 v1, v20, 16, 1
	s_movk_i32 vcc_lo, 0x7fff
	v_add3_u32 v1, v20, v1, vcc_lo
	v_lshrrev_b32_e32 v1, 16, v1
	v_mov_b32_e32 v4, 0x7fc0
	v_cmp_o_f32_e32 vcc, v20, v20
	v_cndmask_b32_e32 v1, v4, v1, vcc
	s_mov_b64 s[80:81], exec
	flat_store_dword v[2:3], v1
	s_xor_b64 vcc, exec, -1
.LBB47_7717:
	s_or_b64 exec, exec, s[82:83]
	v_readlane_b32 s74, v43, 22
	v_readlane_b32 s75, v43, 23
	s_andn2_b64 s[74:75], s[74:75], exec
	s_and_b64 vcc, vcc, exec
	s_or_b64 s[84:85], s[74:75], vcc
	s_and_b64 s[86:87], s[80:81], exec
                                        ; implicit-def: $vgpr2_vgpr3
                                        ; implicit-def: $vgpr20
.LBB47_7718:
	s_andn2_saveexec_b64 s[94:95], s[4:5]
	s_cbranch_execz .LBB47_7724
; %bb.7719:
	v_mov_b32_e32 v1, 44
	v_cmp_eq_u16_sdwa s[74:75], v11, v1 src0_sel:BYTE_0 src1_sel:DWORD
	s_mov_b64 vcc, -1
	s_mov_b64 s[4:5], s[86:87]
	s_and_saveexec_b64 s[80:81], s[74:75]
	s_cbranch_execz .LBB47_7723
; %bb.7720:
	v_bfe_u32 v1, v20, 23, 8
	s_movk_i32 s4, 0xff
	v_cmp_ne_u32_e32 vcc, s4, v1
	v_mov_b32_e32 v4, 0xff
	s_and_saveexec_b64 s[82:83], vcc
; %bb.7721:
	s_mov_b32 s4, 0x3fffff
	v_and_b32_e32 v5, 0x400000, v20
	v_and_or_b32 v1, v20, s4, v1
	v_cmp_ne_u32_e32 vcc, 0, v5
	v_cmp_ne_u32_e64 s[4:5], 0, v1
	s_and_b64 s[4:5], vcc, s[4:5]
	v_lshrrev_b32_e32 v4, 23, v20
	v_cndmask_b32_e64 v1, 0, 1, s[4:5]
	v_add_u32_e32 v4, v4, v1
; %bb.7722:
	s_or_b64 exec, exec, s[82:83]
	s_xor_b64 vcc, exec, -1
	s_or_b64 s[4:5], s[86:87], exec
	flat_store_byte v[2:3], v4
.LBB47_7723:
	s_or_b64 exec, exec, s[80:81]
	s_andn2_b64 s[74:75], s[84:85], exec
	s_and_b64 vcc, vcc, exec
	s_or_b64 s[84:85], s[74:75], vcc
	s_andn2_b64 vcc, s[86:87], exec
	s_and_b64 s[4:5], s[4:5], exec
	s_or_b64 s[86:87], vcc, s[4:5]
.LBB47_7724:
	s_or_b64 exec, exec, s[94:95]
	v_readlane_b32 s4, v43, 22
	v_readlane_b32 s5, v43, 23
	s_andn2_b64 s[4:5], s[4:5], exec
	s_and_b64 vcc, s[84:85], exec
	s_or_b64 vcc, s[4:5], vcc
	s_and_b64 s[4:5], s[86:87], exec
                                        ; implicit-def: $vgpr20
                                        ; implicit-def: $vgpr2_vgpr3
.LBB47_7725:
	s_andn2_saveexec_b64 s[82:83], s[76:77]
	s_cbranch_execz .LBB47_7729
; %bb.7726:
	v_mov_b32_e32 v1, 29
	v_cmp_eq_u16_sdwa s[74:75], v11, v1 src0_sel:BYTE_0 src1_sel:DWORD
	s_mov_b64 s[86:87], -1
	s_mov_b64 s[84:85], s[4:5]
	s_and_saveexec_b64 s[80:81], s[74:75]
	s_cbranch_execz .LBB47_7728
; %bb.7727:
	v_trunc_f32_e32 v1, v20
	v_mul_f32_e32 v4, 0x2f800000, v1
	v_floor_f32_e32 v4, v4
	v_fmac_f32_e32 v1, 0xcf800000, v4
	v_cvt_u32_f32_e32 v5, v4
	v_cvt_u32_f32_e32 v4, v1
	s_xor_b64 s[86:87], exec, -1
	s_or_b64 s[84:85], s[4:5], exec
	flat_store_dwordx2 v[2:3], v[4:5]
.LBB47_7728:
	s_or_b64 exec, exec, s[80:81]
	s_andn2_b64 vcc, vcc, exec
	s_and_b64 s[74:75], s[86:87], exec
	s_or_b64 vcc, vcc, s[74:75]
	s_andn2_b64 s[4:5], s[4:5], exec
	s_and_b64 s[74:75], s[84:85], exec
	s_or_b64 s[4:5], s[4:5], s[74:75]
.LBB47_7729:
	s_or_b64 exec, exec, s[82:83]
	v_readlane_b32 s74, v43, 22
	v_readlane_b32 s75, v43, 23
	s_andn2_b64 s[74:75], s[74:75], exec
	s_and_b64 vcc, vcc, exec
	s_or_b64 s[94:95], s[74:75], vcc
	s_and_b64 s[4:5], s[4:5], exec
                                        ; implicit-def: $vgpr2_vgpr3
                                        ; implicit-def: $vgpr20
.LBB47_7730:
	s_andn2_saveexec_b64 s[88:89], s[88:89]
	s_cbranch_execz .LBB47_7746
; %bb.7731:
	v_mov_b32_e32 v1, 26
	v_cmp_gt_i16_sdwa vcc, v11, v1 src0_sel:BYTE_0 src1_sel:DWORD
	s_and_saveexec_b64 s[74:75], vcc
	s_xor_b64 vcc, exec, s[74:75]
	s_cbranch_execz .LBB47_7737
; %bb.7732:
	v_cvt_u32_f32_e32 v1, v20
	v_mov_b32_e32 v4, 27
	v_cmp_gt_i16_sdwa s[74:75], v11, v4 src0_sel:BYTE_0 src1_sel:DWORD
	s_and_saveexec_b64 s[76:77], s[74:75]
	s_xor_b64 s[76:77], exec, s[76:77]
	s_cbranch_execz .LBB47_7734
; %bb.7733:
	flat_store_dword v[2:3], v1
                                        ; implicit-def: $vgpr2_vgpr3
                                        ; implicit-def: $vgpr1
.LBB47_7734:
	s_andn2_saveexec_b64 s[76:77], s[76:77]
	s_cbranch_execz .LBB47_7736
; %bb.7735:
	flat_store_short v[2:3], v1
.LBB47_7736:
	s_or_b64 exec, exec, s[76:77]
                                        ; implicit-def: $vgpr2_vgpr3
                                        ; implicit-def: $vgpr20
.LBB47_7737:
	s_andn2_saveexec_b64 s[86:87], vcc
	s_cbranch_execz .LBB47_7745
; %bb.7738:
	v_and_b32_e32 v1, 0x7fffffff, v20
	s_mov_b32 vcc_lo, 0x43800000
	v_cmp_gt_u32_e32 vcc, vcc_lo, v1
	v_mov_b32_e32 v4, 0x80
	s_and_saveexec_b64 s[84:85], vcc
	s_cbranch_execz .LBB47_7744
; %bb.7739:
	s_mov_b32 vcc_lo, 0x3bffffff
	v_cmp_lt_u32_e32 vcc, vcc_lo, v1
	s_mov_b64 s[82:83], 0
                                        ; implicit-def: $vgpr1
	s_and_saveexec_b64 s[74:75], vcc
	s_xor_b64 vcc, exec, s[74:75]
	s_cbranch_execnz .LBB47_7855
; %bb.7740:
	s_or_saveexec_b64 s[80:81], vcc
                                        ; implicit-def: $sgpr76
	s_xor_b64 exec, exec, s[80:81]
	s_cbranch_execnz .LBB47_7856
.LBB47_7741:
	s_or_b64 exec, exec, s[80:81]
	v_mov_b32_e32 v4, s76
	s_and_saveexec_b64 vcc, s[82:83]
.LBB47_7742:
	v_lshrrev_b32_e32 v4, 24, v20
	s_movk_i32 s74, 0x80
	v_and_or_b32 v4, v4, s74, v1
.LBB47_7743:
	s_or_b64 exec, exec, vcc
.LBB47_7744:
	s_or_b64 exec, exec, s[84:85]
	flat_store_byte v[2:3], v4
.LBB47_7745:
	s_or_b64 exec, exec, s[86:87]
	s_or_b64 s[4:5], s[4:5], exec
.LBB47_7746:
	s_or_b64 exec, exec, s[88:89]
	v_readlane_b32 vcc_lo, v43, 22
	v_readlane_b32 vcc_hi, v43, 23
	s_andn2_b64 vcc, vcc, exec
	s_and_b64 s[74:75], s[94:95], exec
	s_or_b64 s[94:95], vcc, s[74:75]
	s_and_b64 s[88:89], s[4:5], exec
                                        ; implicit-def: $vgpr20
                                        ; implicit-def: $vgpr2_vgpr3
.LBB47_7747:
	s_andn2_saveexec_b64 s[96:97], s[96:97]
	s_cbranch_execz .LBB47_7791
; %bb.7748:
	v_mov_b32_e32 v1, 22
	v_cmp_gt_i16_sdwa vcc, v11, v1 src0_sel:BYTE_0 src1_sel:DWORD
	s_mov_b64 s[4:5], s[88:89]
	s_and_saveexec_b64 s[74:75], vcc
	s_xor_b64 s[86:87], exec, s[74:75]
	s_cbranch_execz .LBB47_7780
; %bb.7749:
	v_mov_b32_e32 v1, 23
	v_cmp_gt_i16_sdwa s[4:5], v11, v1 src0_sel:BYTE_0 src1_sel:DWORD
	s_and_saveexec_b64 vcc, s[4:5]
	s_xor_b64 vcc, exec, vcc
	v_writelane_b32 v43, vcc_lo, 28
	v_writelane_b32 v43, vcc_hi, 29
	s_cbranch_execz .LBB47_7769
; %bb.7750:
	v_mov_b32_e32 v1, 24
	v_cmp_gt_i16_sdwa s[4:5], v11, v1 src0_sel:BYTE_0 src1_sel:DWORD
	s_and_saveexec_b64 vcc, s[4:5]
	s_xor_b64 s[4:5], exec, vcc
	s_cbranch_execz .LBB47_7758
; %bb.7751:
	v_and_b32_e32 v1, 0x7fffffff, v20
	s_mov_b32 vcc_lo, 0x47800000
	v_cmp_gt_u32_e32 vcc, vcc_lo, v1
	v_mov_b32_e32 v4, 0x80
	s_and_saveexec_b64 s[84:85], vcc
	s_cbranch_execz .LBB47_7757
; %bb.7752:
	s_mov_b32 vcc_lo, 0x37ffffff
	v_cmp_lt_u32_e32 vcc, vcc_lo, v1
	s_mov_b64 s[82:83], 0
                                        ; implicit-def: $vgpr1
	s_and_saveexec_b64 s[74:75], vcc
	s_xor_b64 vcc, exec, s[74:75]
	s_cbranch_execnz .LBB47_7981
; %bb.7753:
	s_or_saveexec_b64 s[80:81], vcc
                                        ; implicit-def: $sgpr76
	s_xor_b64 exec, exec, s[80:81]
	s_cbranch_execnz .LBB47_7982
.LBB47_7754:
	s_or_b64 exec, exec, s[80:81]
	v_mov_b32_e32 v4, s76
	s_and_saveexec_b64 vcc, s[82:83]
.LBB47_7755:
	v_lshrrev_b32_e32 v4, 24, v20
	s_movk_i32 s74, 0x80
	v_and_or_b32 v4, v4, s74, v1
.LBB47_7756:
	s_or_b64 exec, exec, vcc
.LBB47_7757:
	s_or_b64 exec, exec, s[84:85]
	flat_store_byte v[2:3], v4
                                        ; implicit-def: $vgpr20
                                        ; implicit-def: $vgpr2_vgpr3
.LBB47_7758:
	s_andn2_saveexec_b64 s[4:5], s[4:5]
	s_cbranch_execz .LBB47_7768
; %bb.7759:
	v_and_b32_e32 v4, 0x7fffffff, v20
	s_mov_b32 vcc_lo, 0x43f00000
	v_cmp_gt_u32_e32 vcc, vcc_lo, v4
                                        ; implicit-def: $vgpr1
	s_and_saveexec_b64 s[74:75], vcc
	s_xor_b64 s[80:81], exec, s[74:75]
	s_cbranch_execz .LBB47_7765
; %bb.7760:
	s_mov_b32 vcc_lo, 0x3c7fffff
	v_cmp_lt_u32_e32 vcc, vcc_lo, v4
                                        ; implicit-def: $vgpr1
	s_and_saveexec_b64 s[74:75], vcc
	s_xor_b64 s[78:79], exec, s[74:75]
; %bb.7761:
	v_bfe_u32 v1, v20, 20, 1
	s_mov_b32 vcc_lo, 0x407ffff
	v_add3_u32 v1, v20, v1, vcc_lo
	v_lshrrev_b32_e32 v4, 20, v1
	v_and_b32_e32 v1, 0xff00000, v1
	s_mov_b32 vcc_lo, 0x7f00000
	v_mov_b32_e32 v5, 0x7e
	v_cmp_ne_u32_e32 vcc, vcc_lo, v1
	v_cndmask_b32_e32 v1, v5, v4, vcc
; %bb.7762:
	s_andn2_saveexec_b64 vcc, s[78:79]
; %bb.7763:
	s_mov_b32 s74, 0x46800000
	v_add_f32_e64 v1, |v20|, s74
; %bb.7764:
	s_or_b64 exec, exec, vcc
                                        ; implicit-def: $vgpr4
.LBB47_7765:
	s_andn2_saveexec_b64 s[80:81], s[80:81]
; %bb.7766:
	s_mov_b32 vcc_lo, 0x7f800000
	v_mov_b32_e32 v1, 0x7e
	v_mov_b32_e32 v5, 0x7f
	v_cmp_lt_u32_e32 vcc, vcc_lo, v4
	v_cndmask_b32_e32 v1, v1, v5, vcc
; %bb.7767:
	s_or_b64 exec, exec, s[80:81]
	v_lshrrev_b32_e32 v4, 24, v20
	s_movk_i32 vcc_lo, 0x80
	v_and_or_b32 v1, v4, vcc_lo, v1
	flat_store_byte v[2:3], v1
.LBB47_7768:
	s_or_b64 exec, exec, s[4:5]
                                        ; implicit-def: $vgpr20
                                        ; implicit-def: $vgpr2_vgpr3
.LBB47_7769:
	v_readlane_b32 s4, v43, 28
	v_readlane_b32 s5, v43, 29
	s_andn2_saveexec_b64 s[4:5], s[4:5]
	s_cbranch_execz .LBB47_7779
; %bb.7770:
	v_and_b32_e32 v4, 0x7fffffff, v20
	s_mov_b32 vcc_lo, 0x47800000
	v_cmp_gt_u32_e32 vcc, vcc_lo, v4
                                        ; implicit-def: $vgpr1
	s_and_saveexec_b64 s[74:75], vcc
	s_xor_b64 s[80:81], exec, s[74:75]
	s_cbranch_execz .LBB47_7776
; %bb.7771:
	s_mov_b32 vcc_lo, 0x387fffff
	v_cmp_lt_u32_e32 vcc, vcc_lo, v4
                                        ; implicit-def: $vgpr1
	s_and_saveexec_b64 s[74:75], vcc
	s_xor_b64 vcc, exec, s[74:75]
; %bb.7772:
	v_bfe_u32 v1, v20, 21, 1
	s_mov_b32 s74, 0x80fffff
	v_add3_u32 v1, v20, v1, s74
	v_lshrrev_b32_e32 v1, 21, v1
; %bb.7773:
	s_andn2_saveexec_b64 vcc, vcc
; %bb.7774:
	s_mov_b32 s74, 0x43000000
	v_add_f32_e64 v1, |v20|, s74
; %bb.7775:
	s_or_b64 exec, exec, vcc
                                        ; implicit-def: $vgpr4
.LBB47_7776:
	s_andn2_saveexec_b64 s[80:81], s[80:81]
; %bb.7777:
	s_mov_b32 vcc_lo, 0x7f800000
	v_mov_b32_e32 v1, 0x7c
	v_mov_b32_e32 v5, 0x7f
	v_cmp_lt_u32_e32 vcc, vcc_lo, v4
	v_cndmask_b32_e32 v1, v1, v5, vcc
; %bb.7778:
	s_or_b64 exec, exec, s[80:81]
	v_lshrrev_b32_e32 v4, 24, v20
	s_movk_i32 vcc_lo, 0x80
	v_and_or_b32 v1, v4, vcc_lo, v1
	flat_store_byte v[2:3], v1
.LBB47_7779:
	s_or_b64 exec, exec, s[4:5]
	s_or_b64 s[4:5], s[88:89], exec
                                        ; implicit-def: $vgpr20
                                        ; implicit-def: $vgpr2_vgpr3
.LBB47_7780:
	s_or_saveexec_b64 s[86:87], s[86:87]
	s_mov_b64 vcc, s[94:95]
	s_xor_b64 exec, exec, s[86:87]
	s_cbranch_execz .LBB47_7790
; %bb.7781:
	v_mov_b32_e32 v1, 14
	v_cmp_gt_i16_sdwa vcc, v11, v1 src0_sel:BYTE_0 src1_sel:DWORD
	s_mov_b64 s[84:85], s[4:5]
	s_mov_b64 s[82:83], s[94:95]
	s_and_saveexec_b64 s[74:75], vcc
	s_xor_b64 s[80:81], exec, s[74:75]
	s_cbranch_execz .LBB47_7785
; %bb.7782:
	v_mov_b32_e32 v1, 15
	v_cmp_eq_u16_sdwa s[74:75], v11, v1 src0_sel:BYTE_0 src1_sel:DWORD
	s_mov_b64 s[78:79], -1
	s_mov_b64 vcc, s[4:5]
	s_and_saveexec_b64 s[82:83], s[74:75]
	s_cbranch_execz .LBB47_7784
; %bb.7783:
	v_bfe_u32 v1, v20, 16, 1
	s_movk_i32 vcc_lo, 0x7fff
	v_add3_u32 v1, v20, v1, vcc_lo
	v_lshrrev_b32_e32 v1, 16, v1
	v_mov_b32_e32 v4, 0x7fc0
	v_cmp_o_f32_e32 vcc, v20, v20
	v_cndmask_b32_e32 v1, v4, v1, vcc
	flat_store_short v[2:3], v1
	s_xor_b64 s[78:79], exec, -1
	s_or_b64 vcc, s[4:5], exec
.LBB47_7784:
	s_or_b64 exec, exec, s[82:83]
	s_andn2_b64 s[74:75], s[94:95], exec
	s_and_b64 s[76:77], s[78:79], exec
	s_or_b64 s[82:83], s[74:75], s[76:77]
	s_andn2_b64 s[74:75], s[4:5], exec
	s_and_b64 vcc, vcc, exec
	s_or_b64 s[84:85], s[74:75], vcc
                                        ; implicit-def: $vgpr20
                                        ; implicit-def: $vgpr2_vgpr3
.LBB47_7785:
	s_andn2_saveexec_b64 s[80:81], s[80:81]
	s_cbranch_execz .LBB47_7789
; %bb.7786:
	v_mov_b32_e32 v1, 11
	v_cmp_eq_u16_sdwa s[74:75], v11, v1 src0_sel:BYTE_0 src1_sel:DWORD
	s_mov_b64 s[78:79], -1
	s_mov_b64 vcc, s[84:85]
	s_and_saveexec_b64 s[76:77], s[74:75]
	s_cbranch_execz .LBB47_7788
; %bb.7787:
	v_cmp_neq_f32_e32 vcc, 0, v20
	v_cndmask_b32_e64 v1, 0, 1, vcc
	flat_store_byte v[2:3], v1
	s_xor_b64 s[78:79], exec, -1
	s_or_b64 vcc, s[84:85], exec
.LBB47_7788:
	s_or_b64 exec, exec, s[76:77]
	s_andn2_b64 s[74:75], s[82:83], exec
	s_and_b64 s[76:77], s[78:79], exec
	s_or_b64 s[82:83], s[74:75], s[76:77]
	s_andn2_b64 s[74:75], s[84:85], exec
	s_and_b64 vcc, vcc, exec
	s_or_b64 s[84:85], s[74:75], vcc
.LBB47_7789:
	s_or_b64 exec, exec, s[80:81]
	s_andn2_b64 vcc, s[94:95], exec
	s_and_b64 s[74:75], s[82:83], exec
	s_or_b64 vcc, vcc, s[74:75]
	s_andn2_b64 s[4:5], s[4:5], exec
	s_and_b64 s[74:75], s[84:85], exec
	s_or_b64 s[4:5], s[4:5], s[74:75]
.LBB47_7790:
	s_or_b64 exec, exec, s[86:87]
	s_andn2_b64 s[74:75], s[94:95], exec
	s_and_b64 vcc, vcc, exec
	s_or_b64 s[94:95], s[74:75], vcc
	s_andn2_b64 vcc, s[88:89], exec
	s_and_b64 s[4:5], s[4:5], exec
	s_or_b64 s[88:89], vcc, s[4:5]
.LBB47_7791:
	s_or_b64 exec, exec, s[96:97]
	v_readlane_b32 s4, v43, 22
	v_readlane_b32 s5, v43, 23
	s_andn2_b64 s[4:5], s[4:5], exec
	s_and_b64 vcc, s[94:95], exec
	s_or_b64 s[94:95], s[4:5], vcc
	s_and_b64 s[4:5], s[88:89], exec
                                        ; implicit-def: $vgpr20
                                        ; implicit-def: $vgpr2_vgpr3
	s_andn2_saveexec_b64 s[90:91], s[90:91]
	s_cbranch_execz .LBB47_4014
.LBB47_7792:
	v_mov_b32_e32 v1, 4
	v_cmp_gt_i16_sdwa vcc, v11, v1 src0_sel:BYTE_0 src1_sel:DWORD
	s_and_saveexec_b64 s[74:75], vcc
	s_xor_b64 vcc, exec, s[74:75]
	s_cbranch_execz .LBB47_7814
; %bb.7793:
	v_mov_b32_e32 v1, 7
	v_cmp_gt_i16_sdwa s[74:75], v11, v1 src0_sel:BYTE_0 src1_sel:DWORD
	s_and_saveexec_b64 s[76:77], s[74:75]
	s_xor_b64 s[84:85], exec, s[76:77]
	s_cbranch_execz .LBB47_7803
; %bb.7794:
	v_mov_b32_e32 v1, 8
	v_cmp_gt_i16_sdwa s[74:75], v11, v1 src0_sel:BYTE_0 src1_sel:DWORD
	s_and_saveexec_b64 s[76:77], s[74:75]
	s_xor_b64 s[82:83], exec, s[76:77]
	s_cbranch_execz .LBB47_7800
; %bb.7795:
	v_mov_b32_e32 v1, 9
	v_cmp_gt_i16_sdwa s[74:75], v11, v1 src0_sel:BYTE_0 src1_sel:DWORD
	s_and_saveexec_b64 s[76:77], s[74:75]
	s_xor_b64 s[78:79], exec, s[76:77]
	s_cbranch_execz .LBB47_7797
; %bb.7796:
	v_mov_b32_e32 v22, 0
	v_cvt_f64_f32_e32 v[20:21], v20
	v_mov_b32_e32 v23, v22
	flat_store_dwordx4 v[2:3], v[20:23]
                                        ; implicit-def: $vgpr20
                                        ; implicit-def: $vgpr2_vgpr3
.LBB47_7797:
	s_andn2_saveexec_b64 s[76:77], s[78:79]
	s_cbranch_execz .LBB47_7799
; %bb.7798:
	v_mov_b32_e32 v21, 0
	flat_store_dwordx2 v[2:3], v[20:21]
.LBB47_7799:
	s_or_b64 exec, exec, s[76:77]
                                        ; implicit-def: $vgpr20
                                        ; implicit-def: $vgpr2_vgpr3
.LBB47_7800:
	s_andn2_saveexec_b64 s[76:77], s[82:83]
	s_cbranch_execz .LBB47_7802
; %bb.7801:
	v_cvt_f16_f32_e32 v1, v20
	flat_store_dword v[2:3], v1
.LBB47_7802:
	s_or_b64 exec, exec, s[76:77]
                                        ; implicit-def: $vgpr20
                                        ; implicit-def: $vgpr2_vgpr3
.LBB47_7803:
	s_andn2_saveexec_b64 s[82:83], s[84:85]
	s_cbranch_execz .LBB47_7813
; %bb.7804:
	v_mov_b32_e32 v1, 5
	v_cmp_gt_i16_sdwa s[74:75], v11, v1 src0_sel:BYTE_0 src1_sel:DWORD
	s_and_saveexec_b64 s[76:77], s[74:75]
	s_xor_b64 s[80:81], exec, s[76:77]
	s_cbranch_execz .LBB47_7810
; %bb.7805:
	v_mov_b32_e32 v1, 6
	v_cmp_gt_i16_sdwa s[74:75], v11, v1 src0_sel:BYTE_0 src1_sel:DWORD
	s_and_saveexec_b64 s[76:77], s[74:75]
	s_xor_b64 s[76:77], exec, s[76:77]
	s_cbranch_execz .LBB47_7807
; %bb.7806:
	v_cvt_f64_f32_e32 v[4:5], v20
	flat_store_dwordx2 v[2:3], v[4:5]
                                        ; implicit-def: $vgpr2_vgpr3
                                        ; implicit-def: $vgpr20
.LBB47_7807:
	s_andn2_saveexec_b64 s[76:77], s[76:77]
	s_cbranch_execz .LBB47_7809
; %bb.7808:
	flat_store_dword v[2:3], v20
.LBB47_7809:
	s_or_b64 exec, exec, s[76:77]
                                        ; implicit-def: $vgpr20
                                        ; implicit-def: $vgpr2_vgpr3
.LBB47_7810:
	s_andn2_saveexec_b64 s[76:77], s[80:81]
	s_cbranch_execz .LBB47_7812
; %bb.7811:
	v_cvt_f16_f32_e32 v1, v20
	flat_store_short v[2:3], v1
.LBB47_7812:
	s_or_b64 exec, exec, s[76:77]
.LBB47_7813:
	s_or_b64 exec, exec, s[82:83]
                                        ; implicit-def: $vgpr20
                                        ; implicit-def: $vgpr2_vgpr3
.LBB47_7814:
	s_andn2_saveexec_b64 s[88:89], vcc
	s_cbranch_execz .LBB47_7832
; %bb.7815:
	v_mov_b32_e32 v1, 1
	v_cmp_gt_i16_sdwa vcc, v11, v1 src0_sel:BYTE_0 src1_sel:DWORD
	s_and_saveexec_b64 s[74:75], vcc
	s_xor_b64 s[84:85], exec, s[74:75]
	s_cbranch_execz .LBB47_7825
; %bb.7816:
	v_mov_b32_e32 v1, 2
	v_cmp_gt_i16_sdwa vcc, v11, v1 src0_sel:BYTE_0 src1_sel:DWORD
	s_and_saveexec_b64 s[74:75], vcc
	s_xor_b64 s[82:83], exec, s[74:75]
	;; [unrolled: 6-line block ×3, first 2 shown]
	s_cbranch_execz .LBB47_7819
; %bb.7818:
	v_trunc_f32_e32 v1, v20
	s_mov_b32 s74, 0x2f800000
	v_mul_f32_e64 v4, |v1|, s74
	v_floor_f32_e32 v4, v4
	s_mov_b32 s74, 0xcf800000
	v_cvt_u32_f32_e32 v5, v4
	v_fma_f32 v4, v4, s74, |v1|
	v_cvt_u32_f32_e32 v4, v4
	v_ashrrev_i32_e32 v1, 31, v1
	v_xor_b32_e32 v5, v5, v1
                                        ; implicit-def: $vgpr20
	v_xor_b32_e32 v4, v4, v1
	v_sub_co_u32_e32 v4, vcc, v4, v1
	v_subb_co_u32_e32 v5, vcc, v5, v1, vcc
	flat_store_dwordx2 v[2:3], v[4:5]
                                        ; implicit-def: $vgpr2_vgpr3
.LBB47_7819:
	s_andn2_saveexec_b64 vcc, s[80:81]
	s_cbranch_execz .LBB47_7821
; %bb.7820:
	v_cvt_i32_f32_e32 v1, v20
	flat_store_dword v[2:3], v1
.LBB47_7821:
	s_or_b64 exec, exec, vcc
                                        ; implicit-def: $vgpr20
                                        ; implicit-def: $vgpr2_vgpr3
.LBB47_7822:
	s_andn2_saveexec_b64 vcc, s[82:83]
	s_cbranch_execz .LBB47_7824
; %bb.7823:
	v_cvt_i32_f32_e32 v1, v20
	flat_store_short v[2:3], v1
.LBB47_7824:
	s_or_b64 exec, exec, vcc
                                        ; implicit-def: $vgpr20
                                        ; implicit-def: $vgpr2_vgpr3
.LBB47_7825:
	s_andn2_saveexec_b64 vcc, s[84:85]
	s_cbranch_execz .LBB47_7831
; %bb.7826:
	v_mov_b32_e32 v1, 0
	v_cmp_gt_i16_sdwa s[74:75], v11, v1 src0_sel:BYTE_0 src1_sel:DWORD
	s_and_saveexec_b64 s[76:77], s[74:75]
	s_xor_b64 s[76:77], exec, s[76:77]
	s_cbranch_execz .LBB47_7828
; %bb.7827:
	v_cvt_i32_f32_e32 v1, v20
                                        ; implicit-def: $vgpr20
	flat_store_byte v[2:3], v1
                                        ; implicit-def: $vgpr2_vgpr3
.LBB47_7828:
	s_andn2_saveexec_b64 s[80:81], s[76:77]
	s_cbranch_execz .LBB47_7830
; %bb.7829:
	v_trunc_f32_e32 v1, v20
	s_mov_b32 s74, 0x2f800000
	v_mul_f32_e64 v4, |v1|, s74
	v_floor_f32_e32 v4, v4
	s_mov_b32 s74, 0xcf800000
	v_fma_f32 v4, v4, s74, |v1|
	v_cvt_u32_f32_e32 v4, v4
	v_ashrrev_i32_e32 v1, 31, v1
	v_xor_b32_e32 v4, v4, v1
	v_sub_u32_e32 v1, v4, v1
	flat_store_byte v[2:3], v1
.LBB47_7830:
	s_or_b64 exec, exec, s[80:81]
.LBB47_7831:
	s_or_b64 exec, exec, vcc
.LBB47_7832:
	s_or_b64 exec, exec, s[88:89]
	s_or_b64 s[4:5], s[4:5], exec
	s_or_b64 exec, exec, s[90:91]
	s_mov_b64 vcc, 0
	s_and_saveexec_b64 s[76:77], s[4:5]
	s_cbranch_execnz .LBB47_4015
	s_branch .LBB47_4016
.LBB47_7833:
	v_bfe_u32 v1, v32, 21, 1
	s_mov_b32 s84, 0x88fffff
	v_add3_u32 v1, v32, v1, s84
	s_mov_b64 s[82:83], exec
	v_lshrrev_b32_e32 v1, 21, v1
	s_or_saveexec_b64 s[84:85], vcc
                                        ; implicit-def: $sgpr86
	s_xor_b64 exec, exec, s[84:85]
	s_cbranch_execz .LBB47_6998
.LBB47_7834:
	s_mov_b32 s86, 0x42800000
	v_add_f32_e64 v1, |v32|, s86
	v_and_b32_e32 v1, 0xff, v1
	v_cmp_ne_u32_e32 vcc, 0, v1
	s_andn2_b64 s[82:83], s[82:83], exec
	s_and_b64 vcc, vcc, exec
	s_mov_b32 s86, 0
	s_or_b64 s[82:83], s[82:83], vcc
	s_or_b64 exec, exec, s[84:85]
	v_mov_b32_e32 v4, s86
	s_and_saveexec_b64 vcc, s[82:83]
	s_cbranch_execnz .LBB47_6999
	s_branch .LBB47_7000
.LBB47_7835:
	v_bfe_u32 v1, v30, 20, 1
	s_mov_b32 s86, 0x487ffff
	v_add3_u32 v1, v30, v1, s86
	s_mov_b64 s[84:85], exec
	v_lshrrev_b32_e32 v1, 20, v1
	s_or_saveexec_b64 s[86:87], vcc
                                        ; implicit-def: $sgpr88
	s_xor_b64 exec, exec, s[86:87]
	s_cbranch_execz .LBB47_7111
.LBB47_7836:
	s_mov_b32 s88, 0x46000000
	v_add_f32_e64 v1, |v30|, s88
	v_and_b32_e32 v1, 0xff, v1
	v_cmp_ne_u32_e32 vcc, 0, v1
	s_andn2_b64 s[84:85], s[84:85], exec
	s_and_b64 vcc, vcc, exec
	s_mov_b32 s88, 0
	s_or_b64 s[84:85], s[84:85], vcc
	s_or_b64 exec, exec, s[86:87]
	v_mov_b32_e32 v4, s88
	s_and_saveexec_b64 vcc, s[84:85]
	s_cbranch_execnz .LBB47_7112
	s_branch .LBB47_7113
.LBB47_7837:
	v_bfe_u32 v1, v30, 21, 1
	s_mov_b32 s88, 0x88fffff
	v_add3_u32 v1, v30, v1, s88
	s_mov_b64 s[86:87], exec
	v_lshrrev_b32_e32 v1, 21, v1
	s_or_saveexec_b64 s[88:89], vcc
                                        ; implicit-def: $sgpr90
	s_xor_b64 exec, exec, s[88:89]
	s_cbranch_execz .LBB47_7124
.LBB47_7838:
	s_mov_b32 s90, 0x42800000
	v_add_f32_e64 v1, |v30|, s90
	v_and_b32_e32 v1, 0xff, v1
	v_cmp_ne_u32_e32 vcc, 0, v1
	s_andn2_b64 s[86:87], s[86:87], exec
	s_and_b64 vcc, vcc, exec
	s_mov_b32 s90, 0
	s_or_b64 s[86:87], s[86:87], vcc
	s_or_b64 exec, exec, s[88:89]
	v_mov_b32_e32 v4, s90
	s_and_saveexec_b64 vcc, s[86:87]
	s_cbranch_execnz .LBB47_7125
	s_branch .LBB47_7126
.LBB47_7839:
	v_bfe_u32 v1, v28, 20, 1
	s_mov_b32 s90, 0x487ffff
	v_add3_u32 v1, v28, v1, s90
	s_mov_b64 s[88:89], exec
	v_lshrrev_b32_e32 v1, 20, v1
	s_or_saveexec_b64 s[90:91], vcc
                                        ; implicit-def: $sgpr92
	s_xor_b64 exec, exec, s[90:91]
	s_cbranch_execz .LBB47_7237
.LBB47_7840:
	s_mov_b32 s92, 0x46000000
	v_add_f32_e64 v1, |v28|, s92
	v_and_b32_e32 v1, 0xff, v1
	v_cmp_ne_u32_e32 vcc, 0, v1
	s_andn2_b64 s[88:89], s[88:89], exec
	s_and_b64 vcc, vcc, exec
	s_mov_b32 s92, 0
	s_or_b64 s[88:89], s[88:89], vcc
	s_or_b64 exec, exec, s[90:91]
	v_mov_b32_e32 v4, s92
	s_and_saveexec_b64 vcc, s[88:89]
	s_cbranch_execnz .LBB47_7238
	s_branch .LBB47_7239
.LBB47_7841:
	v_bfe_u32 v1, v28, 21, 1
	s_mov_b32 s92, 0x88fffff
	v_add3_u32 v1, v28, v1, s92
	s_mov_b64 s[90:91], exec
	v_lshrrev_b32_e32 v1, 21, v1
	s_or_saveexec_b64 s[92:93], vcc
                                        ; implicit-def: $sgpr94
	s_xor_b64 exec, exec, s[92:93]
	s_cbranch_execz .LBB47_7250
.LBB47_7842:
	s_mov_b32 s94, 0x42800000
	v_add_f32_e64 v1, |v28|, s94
	v_and_b32_e32 v1, 0xff, v1
	v_cmp_ne_u32_e32 vcc, 0, v1
	s_andn2_b64 s[90:91], s[90:91], exec
	s_and_b64 vcc, vcc, exec
	s_mov_b32 s94, 0
	s_or_b64 s[90:91], s[90:91], vcc
	s_or_b64 exec, exec, s[92:93]
	v_mov_b32_e32 v4, s94
	s_and_saveexec_b64 vcc, s[90:91]
	s_cbranch_execnz .LBB47_7251
	s_branch .LBB47_7252
.LBB47_7843:
	v_bfe_u32 v1, v26, 20, 1
	s_mov_b32 s74, 0x487ffff
	v_add3_u32 v1, v26, v1, s74
	s_mov_b64 s[92:93], exec
	v_lshrrev_b32_e32 v1, 20, v1
	s_or_saveexec_b64 s[94:95], vcc
                                        ; implicit-def: $sgpr76
	s_xor_b64 exec, exec, s[94:95]
	s_cbranch_execz .LBB47_7363
.LBB47_7844:
	s_mov_b32 s74, 0x46000000
	v_add_f32_e64 v1, |v26|, s74
	v_and_b32_e32 v1, 0xff, v1
	v_cmp_ne_u32_e32 vcc, 0, v1
	s_andn2_b64 s[74:75], s[92:93], exec
	s_and_b64 vcc, vcc, exec
	s_mov_b32 s76, 0
	s_or_b64 s[92:93], s[74:75], vcc
	s_or_b64 exec, exec, s[94:95]
	v_mov_b32_e32 v4, s76
	s_and_saveexec_b64 vcc, s[92:93]
	s_cbranch_execnz .LBB47_7364
	s_branch .LBB47_7365
.LBB47_7845:
	v_bfe_u32 v1, v26, 21, 1
	s_mov_b32 s74, 0x88fffff
	v_add3_u32 v1, v26, v1, s74
	s_mov_b64 s[94:95], exec
	v_lshrrev_b32_e32 v1, 21, v1
	s_or_saveexec_b64 s[96:97], vcc
                                        ; implicit-def: $sgpr76
	s_xor_b64 exec, exec, s[96:97]
	s_cbranch_execz .LBB47_7376
.LBB47_7846:
	s_mov_b32 s74, 0x42800000
	v_add_f32_e64 v1, |v26|, s74
	v_and_b32_e32 v1, 0xff, v1
	v_cmp_ne_u32_e32 vcc, 0, v1
	s_andn2_b64 s[74:75], s[94:95], exec
	s_and_b64 vcc, vcc, exec
	s_mov_b32 s76, 0
	s_or_b64 s[94:95], s[74:75], vcc
	s_or_b64 exec, exec, s[96:97]
	v_mov_b32_e32 v4, s76
	s_and_saveexec_b64 vcc, s[94:95]
	s_cbranch_execnz .LBB47_7377
	s_branch .LBB47_7378
.LBB47_7847:
	v_bfe_u32 v1, v24, 20, 1
	s_mov_b32 s74, 0x487ffff
	v_add3_u32 v1, v24, v1, s74
	s_mov_b64 s[96:97], exec
	v_lshrrev_b32_e32 v1, 20, v1
	s_or_saveexec_b64 s[80:81], vcc
                                        ; implicit-def: $sgpr76
	s_xor_b64 exec, exec, s[80:81]
	s_cbranch_execz .LBB47_7489
.LBB47_7848:
	s_mov_b32 s74, 0x46000000
	v_add_f32_e64 v1, |v24|, s74
	v_and_b32_e32 v1, 0xff, v1
	v_cmp_ne_u32_e32 vcc, 0, v1
	s_andn2_b64 s[74:75], s[96:97], exec
	s_and_b64 vcc, vcc, exec
	s_mov_b32 s76, 0
	s_or_b64 s[96:97], s[74:75], vcc
	s_or_b64 exec, exec, s[80:81]
	v_mov_b32_e32 v4, s76
	s_and_saveexec_b64 vcc, s[96:97]
	s_cbranch_execnz .LBB47_7490
	s_branch .LBB47_7491
.LBB47_7849:
	v_bfe_u32 v1, v24, 21, 1
	s_mov_b32 s74, 0x88fffff
	v_add3_u32 v1, v24, v1, s74
	s_mov_b64 s[78:79], exec
	v_lshrrev_b32_e32 v1, 21, v1
	s_or_saveexec_b64 s[80:81], vcc
                                        ; implicit-def: $sgpr76
	s_xor_b64 exec, exec, s[80:81]
	s_cbranch_execz .LBB47_7502
.LBB47_7850:
	s_mov_b32 s74, 0x42800000
	v_add_f32_e64 v1, |v24|, s74
	v_and_b32_e32 v1, 0xff, v1
	v_cmp_ne_u32_e32 vcc, 0, v1
	s_andn2_b64 s[74:75], s[78:79], exec
	s_and_b64 vcc, vcc, exec
	s_mov_b32 s76, 0
	s_or_b64 s[78:79], s[74:75], vcc
	s_or_b64 exec, exec, s[80:81]
	v_mov_b32_e32 v4, s76
	s_and_saveexec_b64 vcc, s[78:79]
	s_cbranch_execnz .LBB47_7503
	s_branch .LBB47_7504
.LBB47_7851:
	v_bfe_u32 v1, v22, 20, 1
	s_mov_b32 s74, 0x487ffff
	v_add3_u32 v1, v22, v1, s74
	s_mov_b64 s[82:83], exec
	v_lshrrev_b32_e32 v1, 20, v1
	s_or_saveexec_b64 s[80:81], vcc
                                        ; implicit-def: $sgpr76
	s_xor_b64 exec, exec, s[80:81]
	s_cbranch_execz .LBB47_7615
.LBB47_7852:
	s_mov_b32 s74, 0x46000000
	v_add_f32_e64 v1, |v22|, s74
	v_and_b32_e32 v1, 0xff, v1
	v_cmp_ne_u32_e32 vcc, 0, v1
	s_andn2_b64 s[74:75], s[82:83], exec
	s_and_b64 vcc, vcc, exec
	s_mov_b32 s76, 0
	s_or_b64 s[82:83], s[74:75], vcc
	s_or_b64 exec, exec, s[80:81]
	v_mov_b32_e32 v4, s76
	s_and_saveexec_b64 vcc, s[82:83]
	s_cbranch_execnz .LBB47_7616
	s_branch .LBB47_7617
.LBB47_7853:
	v_bfe_u32 v1, v22, 21, 1
	s_mov_b32 s74, 0x88fffff
	v_add3_u32 v1, v22, v1, s74
	s_mov_b64 s[90:91], exec
	v_lshrrev_b32_e32 v1, 21, v1
	s_or_saveexec_b64 s[80:81], vcc
                                        ; implicit-def: $sgpr76
	s_xor_b64 exec, exec, s[80:81]
	s_cbranch_execz .LBB47_7628
.LBB47_7854:
	s_mov_b32 s74, 0x42800000
	v_add_f32_e64 v1, |v22|, s74
	v_and_b32_e32 v1, 0xff, v1
	v_cmp_ne_u32_e32 vcc, 0, v1
	s_andn2_b64 s[74:75], s[90:91], exec
	s_and_b64 vcc, vcc, exec
	s_mov_b32 s76, 0
	s_or_b64 s[90:91], s[74:75], vcc
	s_or_b64 exec, exec, s[80:81]
	v_mov_b32_e32 v4, s76
	s_and_saveexec_b64 vcc, s[90:91]
	s_cbranch_execnz .LBB47_7629
	s_branch .LBB47_7630
.LBB47_7855:
	v_bfe_u32 v1, v20, 20, 1
	s_mov_b32 s74, 0x487ffff
	v_add3_u32 v1, v20, v1, s74
	s_mov_b64 s[82:83], exec
	v_lshrrev_b32_e32 v1, 20, v1
	s_or_saveexec_b64 s[80:81], vcc
                                        ; implicit-def: $sgpr76
	s_xor_b64 exec, exec, s[80:81]
	s_cbranch_execz .LBB47_7741
.LBB47_7856:
	s_mov_b32 s74, 0x46000000
	v_add_f32_e64 v1, |v20|, s74
	v_and_b32_e32 v1, 0xff, v1
	v_cmp_ne_u32_e32 vcc, 0, v1
	s_andn2_b64 s[74:75], s[82:83], exec
	s_and_b64 vcc, vcc, exec
	s_mov_b32 s76, 0
	s_or_b64 s[82:83], s[74:75], vcc
	s_or_b64 exec, exec, s[80:81]
	v_mov_b32_e32 v4, s76
	s_and_saveexec_b64 vcc, s[82:83]
	s_cbranch_execnz .LBB47_7742
	s_branch .LBB47_7743
.LBB47_7857:
	v_bfe_u32 v1, v18, 20, 1
	s_mov_b32 s74, 0x487ffff
	v_add3_u32 v1, v18, v1, s74
	s_mov_b64 s[82:83], exec
	v_lshrrev_b32_e32 v1, 20, v1
	s_or_saveexec_b64 s[80:81], vcc
                                        ; implicit-def: $sgpr76
	s_xor_b64 exec, exec, s[80:81]
	s_cbranch_execz .LBB47_4050
.LBB47_7858:
	s_mov_b32 s74, 0x46000000
	v_add_f32_e64 v1, |v18|, s74
	v_and_b32_e32 v1, 0xff, v1
	v_cmp_ne_u32_e32 vcc, 0, v1
	s_andn2_b64 s[74:75], s[82:83], exec
	s_and_b64 vcc, vcc, exec
	s_mov_b32 s76, 0
	s_or_b64 s[82:83], s[74:75], vcc
	s_or_b64 exec, exec, s[80:81]
	v_mov_b32_e32 v4, s76
	s_and_saveexec_b64 vcc, s[82:83]
	s_cbranch_execnz .LBB47_4051
	s_branch .LBB47_4052
.LBB47_7859:
	v_mov_b32_e32 v1, 25
	v_readlane_b32 s92, v43, 62
	v_cmp_gt_i16_sdwa s[4:5], v11, v1 src0_sel:BYTE_0 src1_sel:DWORD
	s_mov_b64 s[88:89], 0
	v_readlane_b32 s93, v43, 63
	s_and_saveexec_b64 vcc, s[4:5]
	s_xor_b64 s[90:91], exec, vcc
	s_cbranch_execz .LBB47_7895
; %bb.7860:
	v_mov_b32_e32 v1, 28
	v_readlane_b32 s92, v43, 62
	v_cmp_gt_i16_sdwa vcc, v11, v1 src0_sel:BYTE_0 src1_sel:DWORD
	s_mov_b64 s[4:5], 0
	v_readlane_b32 s93, v43, 63
	s_and_saveexec_b64 s[74:75], vcc
	s_xor_b64 s[88:89], exec, s[74:75]
	s_cbranch_execz .LBB47_7878
; %bb.7861:
	v_mov_b32_e32 v1, 43
	v_readlane_b32 vcc_lo, v43, 62
	v_cmp_gt_i16_sdwa s[74:75], v11, v1 src0_sel:BYTE_0 src1_sel:DWORD
	v_readlane_b32 vcc_hi, v43, 63
	s_and_saveexec_b64 s[76:77], s[74:75]
	s_xor_b64 s[76:77], exec, s[76:77]
	s_cbranch_execz .LBB47_7873
; %bb.7862:
	v_mov_b32_e32 v1, 45
	v_readlane_b32 s84, v43, 62
	v_cmp_gt_i16_sdwa s[4:5], v11, v1 src0_sel:BYTE_0 src1_sel:DWORD
	s_mov_b64 s[86:87], 0
	v_readlane_b32 s85, v43, 63
	s_and_saveexec_b64 vcc, s[4:5]
	s_xor_b64 s[4:5], exec, vcc
	s_cbranch_execz .LBB47_7866
; %bb.7863:
	v_mov_b32_e32 v1, 46
	v_cmp_eq_u16_sdwa s[74:75], v11, v1 src0_sel:BYTE_0 src1_sel:DWORD
	s_mov_b64 vcc, -1
	s_and_saveexec_b64 s[82:83], s[74:75]
	s_cbranch_execz .LBB47_7865
; %bb.7864:
	v_bfe_u32 v1, v8, 16, 1
	s_movk_i32 vcc_lo, 0x7fff
	v_add3_u32 v1, v8, v1, vcc_lo
	v_lshrrev_b32_e32 v1, 16, v1
	v_mov_b32_e32 v4, 0x7fc0
	v_cmp_o_f32_e32 vcc, v8, v8
	v_cndmask_b32_e32 v1, v4, v1, vcc
	s_mov_b64 s[80:81], exec
	flat_store_dword v[2:3], v1
	s_xor_b64 vcc, exec, -1
.LBB47_7865:
	s_or_b64 exec, exec, s[82:83]
	v_readlane_b32 s74, v43, 62
	v_readlane_b32 s75, v43, 63
	s_andn2_b64 s[74:75], s[74:75], exec
	s_and_b64 vcc, vcc, exec
	s_or_b64 s[84:85], s[74:75], vcc
	s_and_b64 s[86:87], s[80:81], exec
                                        ; implicit-def: $vgpr2_vgpr3
                                        ; implicit-def: $vgpr8
.LBB47_7866:
	s_andn2_saveexec_b64 s[92:93], s[4:5]
	s_cbranch_execz .LBB47_7872
; %bb.7867:
	v_mov_b32_e32 v1, 44
	v_cmp_eq_u16_sdwa s[74:75], v11, v1 src0_sel:BYTE_0 src1_sel:DWORD
	s_mov_b64 vcc, -1
	s_mov_b64 s[4:5], s[86:87]
	s_and_saveexec_b64 s[80:81], s[74:75]
	s_cbranch_execz .LBB47_7871
; %bb.7868:
	v_bfe_u32 v1, v8, 23, 8
	s_movk_i32 s4, 0xff
	v_cmp_ne_u32_e32 vcc, s4, v1
	v_mov_b32_e32 v4, 0xff
	s_and_saveexec_b64 s[82:83], vcc
; %bb.7869:
	s_mov_b32 s4, 0x3fffff
	v_and_b32_e32 v5, 0x400000, v8
	v_and_or_b32 v1, v8, s4, v1
	v_cmp_ne_u32_e32 vcc, 0, v5
	v_cmp_ne_u32_e64 s[4:5], 0, v1
	s_and_b64 s[4:5], vcc, s[4:5]
	v_lshrrev_b32_e32 v4, 23, v8
	v_cndmask_b32_e64 v1, 0, 1, s[4:5]
	v_add_u32_e32 v4, v4, v1
; %bb.7870:
	s_or_b64 exec, exec, s[82:83]
	s_xor_b64 vcc, exec, -1
	s_or_b64 s[4:5], s[86:87], exec
	flat_store_byte v[2:3], v4
.LBB47_7871:
	s_or_b64 exec, exec, s[80:81]
	s_andn2_b64 s[74:75], s[84:85], exec
	s_and_b64 vcc, vcc, exec
	s_or_b64 s[84:85], s[74:75], vcc
	s_andn2_b64 vcc, s[86:87], exec
	s_and_b64 s[4:5], s[4:5], exec
	s_or_b64 s[86:87], vcc, s[4:5]
.LBB47_7872:
	s_or_b64 exec, exec, s[92:93]
	v_readlane_b32 s4, v43, 62
	v_readlane_b32 s5, v43, 63
	s_andn2_b64 s[4:5], s[4:5], exec
	s_and_b64 vcc, s[84:85], exec
	s_or_b64 vcc, s[4:5], vcc
	s_and_b64 s[4:5], s[86:87], exec
                                        ; implicit-def: $vgpr8
                                        ; implicit-def: $vgpr2_vgpr3
.LBB47_7873:
	s_andn2_saveexec_b64 s[82:83], s[76:77]
	s_cbranch_execz .LBB47_7877
; %bb.7874:
	v_mov_b32_e32 v1, 29
	v_cmp_eq_u16_sdwa s[74:75], v11, v1 src0_sel:BYTE_0 src1_sel:DWORD
	s_mov_b64 s[86:87], -1
	s_mov_b64 s[84:85], s[4:5]
	s_and_saveexec_b64 s[80:81], s[74:75]
	s_cbranch_execz .LBB47_7876
; %bb.7875:
	v_trunc_f32_e32 v1, v8
	v_mul_f32_e32 v4, 0x2f800000, v1
	v_floor_f32_e32 v4, v4
	v_fmac_f32_e32 v1, 0xcf800000, v4
	v_cvt_u32_f32_e32 v5, v4
	v_cvt_u32_f32_e32 v4, v1
	s_xor_b64 s[86:87], exec, -1
	s_or_b64 s[84:85], s[4:5], exec
	flat_store_dwordx2 v[2:3], v[4:5]
.LBB47_7876:
	s_or_b64 exec, exec, s[80:81]
	s_andn2_b64 vcc, vcc, exec
	s_and_b64 s[74:75], s[86:87], exec
	s_or_b64 vcc, vcc, s[74:75]
	s_andn2_b64 s[4:5], s[4:5], exec
	s_and_b64 s[74:75], s[84:85], exec
	s_or_b64 s[4:5], s[4:5], s[74:75]
.LBB47_7877:
	s_or_b64 exec, exec, s[82:83]
	v_readlane_b32 s74, v43, 62
	v_readlane_b32 s75, v43, 63
	s_andn2_b64 s[74:75], s[74:75], exec
	s_and_b64 vcc, vcc, exec
	s_or_b64 s[92:93], s[74:75], vcc
	s_and_b64 s[4:5], s[4:5], exec
                                        ; implicit-def: $vgpr2_vgpr3
                                        ; implicit-def: $vgpr8
.LBB47_7878:
	s_andn2_saveexec_b64 s[88:89], s[88:89]
	s_cbranch_execz .LBB47_7894
; %bb.7879:
	v_mov_b32_e32 v1, 26
	v_cmp_gt_i16_sdwa vcc, v11, v1 src0_sel:BYTE_0 src1_sel:DWORD
	s_and_saveexec_b64 s[74:75], vcc
	s_xor_b64 vcc, exec, s[74:75]
	s_cbranch_execz .LBB47_7885
; %bb.7880:
	v_cvt_u32_f32_e32 v1, v8
	v_mov_b32_e32 v4, 27
	v_cmp_gt_i16_sdwa s[74:75], v11, v4 src0_sel:BYTE_0 src1_sel:DWORD
	s_and_saveexec_b64 s[76:77], s[74:75]
	s_xor_b64 s[76:77], exec, s[76:77]
	s_cbranch_execz .LBB47_7882
; %bb.7881:
	flat_store_dword v[2:3], v1
                                        ; implicit-def: $vgpr2_vgpr3
                                        ; implicit-def: $vgpr1
.LBB47_7882:
	s_andn2_saveexec_b64 s[76:77], s[76:77]
	s_cbranch_execz .LBB47_7884
; %bb.7883:
	flat_store_short v[2:3], v1
.LBB47_7884:
	s_or_b64 exec, exec, s[76:77]
                                        ; implicit-def: $vgpr2_vgpr3
                                        ; implicit-def: $vgpr8
.LBB47_7885:
	s_andn2_saveexec_b64 s[86:87], vcc
	s_cbranch_execz .LBB47_7893
; %bb.7886:
	v_and_b32_e32 v1, 0x7fffffff, v8
	s_mov_b32 vcc_lo, 0x43800000
	v_cmp_gt_u32_e32 vcc, vcc_lo, v1
	v_mov_b32_e32 v4, 0x80
	s_and_saveexec_b64 s[84:85], vcc
	s_cbranch_execz .LBB47_7892
; %bb.7887:
	s_mov_b32 vcc_lo, 0x3bffffff
	v_cmp_lt_u32_e32 vcc, vcc_lo, v1
	s_mov_b64 s[82:83], 0
                                        ; implicit-def: $vgpr1
	s_and_saveexec_b64 s[74:75], vcc
	s_xor_b64 vcc, exec, s[74:75]
	s_cbranch_execnz .LBB47_8001
; %bb.7888:
	s_or_saveexec_b64 s[80:81], vcc
                                        ; implicit-def: $sgpr76
	s_xor_b64 exec, exec, s[80:81]
	s_cbranch_execnz .LBB47_8002
.LBB47_7889:
	s_or_b64 exec, exec, s[80:81]
	v_mov_b32_e32 v4, s76
	s_and_saveexec_b64 vcc, s[82:83]
.LBB47_7890:
	v_lshrrev_b32_e32 v4, 24, v8
	s_movk_i32 s74, 0x80
	v_and_or_b32 v4, v4, s74, v1
.LBB47_7891:
	s_or_b64 exec, exec, vcc
.LBB47_7892:
	s_or_b64 exec, exec, s[84:85]
	flat_store_byte v[2:3], v4
.LBB47_7893:
	s_or_b64 exec, exec, s[86:87]
	s_or_b64 s[4:5], s[4:5], exec
.LBB47_7894:
	s_or_b64 exec, exec, s[88:89]
	v_readlane_b32 vcc_lo, v43, 62
	v_readlane_b32 vcc_hi, v43, 63
	s_andn2_b64 vcc, vcc, exec
	s_and_b64 s[74:75], s[92:93], exec
	s_or_b64 s[92:93], vcc, s[74:75]
	s_and_b64 s[88:89], s[4:5], exec
                                        ; implicit-def: $vgpr8
                                        ; implicit-def: $vgpr2_vgpr3
.LBB47_7895:
	s_andn2_saveexec_b64 s[90:91], s[90:91]
	s_cbranch_execz .LBB47_7939
; %bb.7896:
	v_mov_b32_e32 v1, 22
	v_cmp_gt_i16_sdwa vcc, v11, v1 src0_sel:BYTE_0 src1_sel:DWORD
	s_mov_b64 s[4:5], s[88:89]
	s_and_saveexec_b64 s[74:75], vcc
	s_xor_b64 s[86:87], exec, s[74:75]
	s_cbranch_execz .LBB47_7928
; %bb.7897:
	v_mov_b32_e32 v1, 23
	v_cmp_gt_i16_sdwa s[4:5], v11, v1 src0_sel:BYTE_0 src1_sel:DWORD
	s_and_saveexec_b64 vcc, s[4:5]
	s_xor_b64 vcc, exec, vcc
	v_writelane_b32 v42, vcc_lo, 8
	v_writelane_b32 v42, vcc_hi, 9
	s_cbranch_execz .LBB47_7917
; %bb.7898:
	v_mov_b32_e32 v1, 24
	v_cmp_gt_i16_sdwa s[4:5], v11, v1 src0_sel:BYTE_0 src1_sel:DWORD
	s_and_saveexec_b64 vcc, s[4:5]
	s_xor_b64 s[4:5], exec, vcc
	s_cbranch_execz .LBB47_7906
; %bb.7899:
	v_and_b32_e32 v1, 0x7fffffff, v8
	s_mov_b32 vcc_lo, 0x47800000
	v_cmp_gt_u32_e32 vcc, vcc_lo, v1
	v_mov_b32_e32 v4, 0x80
	s_and_saveexec_b64 s[84:85], vcc
	s_cbranch_execz .LBB47_7905
; %bb.7900:
	s_mov_b32 vcc_lo, 0x37ffffff
	v_cmp_lt_u32_e32 vcc, vcc_lo, v1
	s_mov_b64 s[82:83], 0
                                        ; implicit-def: $vgpr1
	s_and_saveexec_b64 s[74:75], vcc
	s_xor_b64 vcc, exec, s[74:75]
	s_cbranch_execnz .LBB47_8005
; %bb.7901:
	s_or_saveexec_b64 s[80:81], vcc
                                        ; implicit-def: $sgpr76
	s_xor_b64 exec, exec, s[80:81]
	s_cbranch_execnz .LBB47_8006
.LBB47_7902:
	s_or_b64 exec, exec, s[80:81]
	v_mov_b32_e32 v4, s76
	s_and_saveexec_b64 vcc, s[82:83]
.LBB47_7903:
	v_lshrrev_b32_e32 v4, 24, v8
	s_movk_i32 s74, 0x80
	v_and_or_b32 v4, v4, s74, v1
.LBB47_7904:
	s_or_b64 exec, exec, vcc
.LBB47_7905:
	s_or_b64 exec, exec, s[84:85]
	flat_store_byte v[2:3], v4
                                        ; implicit-def: $vgpr8
                                        ; implicit-def: $vgpr2_vgpr3
.LBB47_7906:
	s_andn2_saveexec_b64 s[4:5], s[4:5]
	s_cbranch_execz .LBB47_7916
; %bb.7907:
	v_and_b32_e32 v4, 0x7fffffff, v8
	s_mov_b32 vcc_lo, 0x43f00000
	v_cmp_gt_u32_e32 vcc, vcc_lo, v4
                                        ; implicit-def: $vgpr1
	s_and_saveexec_b64 s[74:75], vcc
	s_xor_b64 s[80:81], exec, s[74:75]
	s_cbranch_execz .LBB47_7913
; %bb.7908:
	s_mov_b32 vcc_lo, 0x3c7fffff
	v_cmp_lt_u32_e32 vcc, vcc_lo, v4
                                        ; implicit-def: $vgpr1
	s_and_saveexec_b64 s[74:75], vcc
	s_xor_b64 s[78:79], exec, s[74:75]
; %bb.7909:
	v_bfe_u32 v1, v8, 20, 1
	s_mov_b32 vcc_lo, 0x407ffff
	v_add3_u32 v1, v8, v1, vcc_lo
	v_lshrrev_b32_e32 v4, 20, v1
	v_and_b32_e32 v1, 0xff00000, v1
	s_mov_b32 vcc_lo, 0x7f00000
	v_mov_b32_e32 v5, 0x7e
	v_cmp_ne_u32_e32 vcc, vcc_lo, v1
	v_cndmask_b32_e32 v1, v5, v4, vcc
; %bb.7910:
	s_andn2_saveexec_b64 vcc, s[78:79]
; %bb.7911:
	s_mov_b32 s74, 0x46800000
	v_add_f32_e64 v1, |v8|, s74
; %bb.7912:
	s_or_b64 exec, exec, vcc
                                        ; implicit-def: $vgpr4
.LBB47_7913:
	s_andn2_saveexec_b64 s[80:81], s[80:81]
; %bb.7914:
	s_mov_b32 vcc_lo, 0x7f800000
	v_mov_b32_e32 v1, 0x7e
	v_mov_b32_e32 v5, 0x7f
	v_cmp_lt_u32_e32 vcc, vcc_lo, v4
	v_cndmask_b32_e32 v1, v1, v5, vcc
; %bb.7915:
	s_or_b64 exec, exec, s[80:81]
	v_lshrrev_b32_e32 v4, 24, v8
	s_movk_i32 vcc_lo, 0x80
	v_and_or_b32 v1, v4, vcc_lo, v1
	flat_store_byte v[2:3], v1
.LBB47_7916:
	s_or_b64 exec, exec, s[4:5]
                                        ; implicit-def: $vgpr8
                                        ; implicit-def: $vgpr2_vgpr3
.LBB47_7917:
	v_readlane_b32 s4, v42, 8
	v_readlane_b32 s5, v42, 9
	s_andn2_saveexec_b64 s[4:5], s[4:5]
	s_cbranch_execz .LBB47_7927
; %bb.7918:
	v_and_b32_e32 v4, 0x7fffffff, v8
	s_mov_b32 vcc_lo, 0x47800000
	v_cmp_gt_u32_e32 vcc, vcc_lo, v4
                                        ; implicit-def: $vgpr1
	s_and_saveexec_b64 s[74:75], vcc
	s_xor_b64 s[80:81], exec, s[74:75]
	s_cbranch_execz .LBB47_7924
; %bb.7919:
	s_mov_b32 vcc_lo, 0x387fffff
	v_cmp_lt_u32_e32 vcc, vcc_lo, v4
                                        ; implicit-def: $vgpr1
	s_and_saveexec_b64 s[74:75], vcc
	s_xor_b64 vcc, exec, s[74:75]
; %bb.7920:
	v_bfe_u32 v1, v8, 21, 1
	s_mov_b32 s74, 0x80fffff
	v_add3_u32 v1, v8, v1, s74
	v_lshrrev_b32_e32 v1, 21, v1
; %bb.7921:
	s_andn2_saveexec_b64 vcc, vcc
; %bb.7922:
	s_mov_b32 s74, 0x43000000
	v_add_f32_e64 v1, |v8|, s74
; %bb.7923:
	s_or_b64 exec, exec, vcc
                                        ; implicit-def: $vgpr4
.LBB47_7924:
	s_andn2_saveexec_b64 s[80:81], s[80:81]
; %bb.7925:
	s_mov_b32 vcc_lo, 0x7f800000
	v_mov_b32_e32 v1, 0x7c
	v_mov_b32_e32 v5, 0x7f
	v_cmp_lt_u32_e32 vcc, vcc_lo, v4
	v_cndmask_b32_e32 v1, v1, v5, vcc
; %bb.7926:
	s_or_b64 exec, exec, s[80:81]
	v_lshrrev_b32_e32 v4, 24, v8
	s_movk_i32 vcc_lo, 0x80
	v_and_or_b32 v1, v4, vcc_lo, v1
	flat_store_byte v[2:3], v1
.LBB47_7927:
	s_or_b64 exec, exec, s[4:5]
	s_or_b64 s[4:5], s[88:89], exec
                                        ; implicit-def: $vgpr8
                                        ; implicit-def: $vgpr2_vgpr3
.LBB47_7928:
	s_or_saveexec_b64 s[86:87], s[86:87]
	s_mov_b64 vcc, s[92:93]
	s_xor_b64 exec, exec, s[86:87]
	s_cbranch_execz .LBB47_7938
; %bb.7929:
	v_mov_b32_e32 v1, 14
	v_cmp_gt_i16_sdwa vcc, v11, v1 src0_sel:BYTE_0 src1_sel:DWORD
	s_mov_b64 s[84:85], s[4:5]
	s_mov_b64 s[82:83], s[92:93]
	s_and_saveexec_b64 s[74:75], vcc
	s_xor_b64 s[80:81], exec, s[74:75]
	s_cbranch_execz .LBB47_7933
; %bb.7930:
	v_mov_b32_e32 v1, 15
	v_cmp_eq_u16_sdwa s[74:75], v11, v1 src0_sel:BYTE_0 src1_sel:DWORD
	s_mov_b64 s[78:79], -1
	s_mov_b64 vcc, s[4:5]
	s_and_saveexec_b64 s[82:83], s[74:75]
	s_cbranch_execz .LBB47_7932
; %bb.7931:
	v_bfe_u32 v1, v8, 16, 1
	s_movk_i32 vcc_lo, 0x7fff
	v_add3_u32 v1, v8, v1, vcc_lo
	v_lshrrev_b32_e32 v1, 16, v1
	v_mov_b32_e32 v4, 0x7fc0
	v_cmp_o_f32_e32 vcc, v8, v8
	v_cndmask_b32_e32 v1, v4, v1, vcc
	flat_store_short v[2:3], v1
	s_xor_b64 s[78:79], exec, -1
	s_or_b64 vcc, s[4:5], exec
.LBB47_7932:
	s_or_b64 exec, exec, s[82:83]
	s_andn2_b64 s[74:75], s[92:93], exec
	s_and_b64 s[76:77], s[78:79], exec
	s_or_b64 s[82:83], s[74:75], s[76:77]
	s_andn2_b64 s[74:75], s[4:5], exec
	s_and_b64 vcc, vcc, exec
	s_or_b64 s[84:85], s[74:75], vcc
                                        ; implicit-def: $vgpr8
                                        ; implicit-def: $vgpr2_vgpr3
.LBB47_7933:
	s_andn2_saveexec_b64 s[80:81], s[80:81]
	s_cbranch_execz .LBB47_7937
; %bb.7934:
	v_mov_b32_e32 v1, 11
	v_cmp_eq_u16_sdwa s[74:75], v11, v1 src0_sel:BYTE_0 src1_sel:DWORD
	s_mov_b64 s[78:79], -1
	s_mov_b64 vcc, s[84:85]
	s_and_saveexec_b64 s[76:77], s[74:75]
	s_cbranch_execz .LBB47_7936
; %bb.7935:
	v_cmp_neq_f32_e32 vcc, 0, v8
	v_cndmask_b32_e64 v1, 0, 1, vcc
	flat_store_byte v[2:3], v1
	s_xor_b64 s[78:79], exec, -1
	s_or_b64 vcc, s[84:85], exec
.LBB47_7936:
	s_or_b64 exec, exec, s[76:77]
	s_andn2_b64 s[74:75], s[82:83], exec
	s_and_b64 s[76:77], s[78:79], exec
	s_or_b64 s[82:83], s[74:75], s[76:77]
	s_andn2_b64 s[74:75], s[84:85], exec
	s_and_b64 vcc, vcc, exec
	s_or_b64 s[84:85], s[74:75], vcc
.LBB47_7937:
	s_or_b64 exec, exec, s[80:81]
	s_andn2_b64 vcc, s[92:93], exec
	s_and_b64 s[74:75], s[82:83], exec
	s_or_b64 vcc, vcc, s[74:75]
	s_andn2_b64 s[4:5], s[4:5], exec
	s_and_b64 s[74:75], s[84:85], exec
	s_or_b64 s[4:5], s[4:5], s[74:75]
.LBB47_7938:
	s_or_b64 exec, exec, s[86:87]
	s_andn2_b64 s[74:75], s[92:93], exec
	s_and_b64 vcc, vcc, exec
	s_or_b64 s[92:93], s[74:75], vcc
	s_andn2_b64 vcc, s[88:89], exec
	s_and_b64 s[4:5], s[4:5], exec
	s_or_b64 s[88:89], vcc, s[4:5]
.LBB47_7939:
	s_or_b64 exec, exec, s[90:91]
	v_readlane_b32 s4, v43, 62
	v_readlane_b32 s5, v43, 63
	s_andn2_b64 s[4:5], s[4:5], exec
	s_and_b64 vcc, s[92:93], exec
	s_or_b64 s[90:91], s[4:5], vcc
	s_and_b64 s[4:5], s[88:89], exec
                                        ; implicit-def: $vgpr8
                                        ; implicit-def: $vgpr2_vgpr3
	s_andn2_saveexec_b64 s[92:93], s[96:97]
	s_cbranch_execz .LBB47_4666
.LBB47_7940:
	v_mov_b32_e32 v1, 4
	v_cmp_gt_i16_sdwa vcc, v11, v1 src0_sel:BYTE_0 src1_sel:DWORD
	s_and_saveexec_b64 s[74:75], vcc
	s_xor_b64 vcc, exec, s[74:75]
	s_cbranch_execz .LBB47_7962
; %bb.7941:
	v_mov_b32_e32 v1, 7
	v_cmp_gt_i16_sdwa s[74:75], v11, v1 src0_sel:BYTE_0 src1_sel:DWORD
	s_and_saveexec_b64 s[76:77], s[74:75]
	s_xor_b64 s[84:85], exec, s[76:77]
	s_cbranch_execz .LBB47_7951
; %bb.7942:
	v_mov_b32_e32 v1, 8
	v_cmp_gt_i16_sdwa s[74:75], v11, v1 src0_sel:BYTE_0 src1_sel:DWORD
	s_and_saveexec_b64 s[76:77], s[74:75]
	s_xor_b64 s[82:83], exec, s[76:77]
	;; [unrolled: 6-line block ×3, first 2 shown]
	s_cbranch_execz .LBB47_7945
; %bb.7944:
	v_mov_b32_e32 v16, 0
	v_cvt_f64_f32_e32 v[14:15], v8
	v_mov_b32_e32 v17, v16
	flat_store_dwordx4 v[2:3], v[14:17]
                                        ; implicit-def: $vgpr8
                                        ; implicit-def: $vgpr2_vgpr3
.LBB47_7945:
	s_andn2_saveexec_b64 s[76:77], s[78:79]
	s_cbranch_execz .LBB47_7947
; %bb.7946:
	v_mov_b32_e32 v9, 0
	flat_store_dwordx2 v[2:3], v[8:9]
.LBB47_7947:
	s_or_b64 exec, exec, s[76:77]
                                        ; implicit-def: $vgpr8
                                        ; implicit-def: $vgpr2_vgpr3
.LBB47_7948:
	s_andn2_saveexec_b64 s[76:77], s[82:83]
	s_cbranch_execz .LBB47_7950
; %bb.7949:
	v_cvt_f16_f32_e32 v1, v8
	flat_store_dword v[2:3], v1
.LBB47_7950:
	s_or_b64 exec, exec, s[76:77]
                                        ; implicit-def: $vgpr8
                                        ; implicit-def: $vgpr2_vgpr3
.LBB47_7951:
	s_andn2_saveexec_b64 s[82:83], s[84:85]
	s_cbranch_execz .LBB47_7961
; %bb.7952:
	v_mov_b32_e32 v1, 5
	v_cmp_gt_i16_sdwa s[74:75], v11, v1 src0_sel:BYTE_0 src1_sel:DWORD
	s_and_saveexec_b64 s[76:77], s[74:75]
	s_xor_b64 s[80:81], exec, s[76:77]
	s_cbranch_execz .LBB47_7958
; %bb.7953:
	v_mov_b32_e32 v1, 6
	v_cmp_gt_i16_sdwa s[74:75], v11, v1 src0_sel:BYTE_0 src1_sel:DWORD
	s_and_saveexec_b64 s[76:77], s[74:75]
	s_xor_b64 s[76:77], exec, s[76:77]
	s_cbranch_execz .LBB47_7955
; %bb.7954:
	v_cvt_f64_f32_e32 v[4:5], v8
	flat_store_dwordx2 v[2:3], v[4:5]
                                        ; implicit-def: $vgpr2_vgpr3
                                        ; implicit-def: $vgpr8
.LBB47_7955:
	s_andn2_saveexec_b64 s[76:77], s[76:77]
	s_cbranch_execz .LBB47_7957
; %bb.7956:
	flat_store_dword v[2:3], v8
.LBB47_7957:
	s_or_b64 exec, exec, s[76:77]
                                        ; implicit-def: $vgpr8
                                        ; implicit-def: $vgpr2_vgpr3
.LBB47_7958:
	s_andn2_saveexec_b64 s[76:77], s[80:81]
	s_cbranch_execz .LBB47_7960
; %bb.7959:
	v_cvt_f16_f32_e32 v1, v8
	flat_store_short v[2:3], v1
.LBB47_7960:
	s_or_b64 exec, exec, s[76:77]
.LBB47_7961:
	s_or_b64 exec, exec, s[82:83]
                                        ; implicit-def: $vgpr8
                                        ; implicit-def: $vgpr2_vgpr3
.LBB47_7962:
	s_andn2_saveexec_b64 s[88:89], vcc
	s_cbranch_execz .LBB47_7980
; %bb.7963:
	v_mov_b32_e32 v1, 1
	v_cmp_gt_i16_sdwa vcc, v11, v1 src0_sel:BYTE_0 src1_sel:DWORD
	s_and_saveexec_b64 s[74:75], vcc
	s_xor_b64 s[84:85], exec, s[74:75]
	s_cbranch_execz .LBB47_7973
; %bb.7964:
	v_mov_b32_e32 v1, 2
	v_cmp_gt_i16_sdwa vcc, v11, v1 src0_sel:BYTE_0 src1_sel:DWORD
	s_and_saveexec_b64 s[74:75], vcc
	s_xor_b64 s[82:83], exec, s[74:75]
	;; [unrolled: 6-line block ×3, first 2 shown]
	s_cbranch_execz .LBB47_7967
; %bb.7966:
	v_trunc_f32_e32 v1, v8
	s_mov_b32 s74, 0x2f800000
	v_mul_f32_e64 v4, |v1|, s74
	v_floor_f32_e32 v4, v4
	s_mov_b32 s74, 0xcf800000
	v_cvt_u32_f32_e32 v5, v4
	v_fma_f32 v4, v4, s74, |v1|
	v_cvt_u32_f32_e32 v4, v4
	v_ashrrev_i32_e32 v1, 31, v1
	v_xor_b32_e32 v5, v5, v1
                                        ; implicit-def: $vgpr8
	v_xor_b32_e32 v4, v4, v1
	v_sub_co_u32_e32 v4, vcc, v4, v1
	v_subb_co_u32_e32 v5, vcc, v5, v1, vcc
	flat_store_dwordx2 v[2:3], v[4:5]
                                        ; implicit-def: $vgpr2_vgpr3
.LBB47_7967:
	s_andn2_saveexec_b64 vcc, s[80:81]
	s_cbranch_execz .LBB47_7969
; %bb.7968:
	v_cvt_i32_f32_e32 v1, v8
	flat_store_dword v[2:3], v1
.LBB47_7969:
	s_or_b64 exec, exec, vcc
                                        ; implicit-def: $vgpr8
                                        ; implicit-def: $vgpr2_vgpr3
.LBB47_7970:
	s_andn2_saveexec_b64 vcc, s[82:83]
	s_cbranch_execz .LBB47_7972
; %bb.7971:
	v_cvt_i32_f32_e32 v1, v8
	flat_store_short v[2:3], v1
.LBB47_7972:
	s_or_b64 exec, exec, vcc
                                        ; implicit-def: $vgpr8
                                        ; implicit-def: $vgpr2_vgpr3
.LBB47_7973:
	s_andn2_saveexec_b64 vcc, s[84:85]
	s_cbranch_execz .LBB47_7979
; %bb.7974:
	v_mov_b32_e32 v1, 0
	v_cmp_gt_i16_sdwa s[74:75], v11, v1 src0_sel:BYTE_0 src1_sel:DWORD
	s_and_saveexec_b64 s[76:77], s[74:75]
	s_xor_b64 s[76:77], exec, s[76:77]
	s_cbranch_execz .LBB47_7976
; %bb.7975:
	v_cvt_i32_f32_e32 v1, v8
                                        ; implicit-def: $vgpr8
	flat_store_byte v[2:3], v1
                                        ; implicit-def: $vgpr2_vgpr3
.LBB47_7976:
	s_andn2_saveexec_b64 s[80:81], s[76:77]
	s_cbranch_execz .LBB47_7978
; %bb.7977:
	v_trunc_f32_e32 v1, v8
	s_mov_b32 s74, 0x2f800000
	v_mul_f32_e64 v4, |v1|, s74
	v_floor_f32_e32 v4, v4
	s_mov_b32 s74, 0xcf800000
	v_fma_f32 v4, v4, s74, |v1|
	v_cvt_u32_f32_e32 v4, v4
	v_ashrrev_i32_e32 v1, 31, v1
	v_xor_b32_e32 v4, v4, v1
	v_sub_u32_e32 v1, v4, v1
	flat_store_byte v[2:3], v1
.LBB47_7978:
	s_or_b64 exec, exec, s[80:81]
.LBB47_7979:
	s_or_b64 exec, exec, vcc
.LBB47_7980:
	s_or_b64 exec, exec, s[88:89]
	s_or_b64 s[4:5], s[4:5], exec
	s_or_b64 exec, exec, s[92:93]
	s_mov_b64 vcc, 0
	s_and_saveexec_b64 s[76:77], s[4:5]
	s_cbranch_execnz .LBB47_4667
	s_branch .LBB47_4668
.LBB47_7981:
	v_bfe_u32 v1, v20, 21, 1
	s_mov_b32 s74, 0x88fffff
	v_add3_u32 v1, v20, v1, s74
	s_mov_b64 s[82:83], exec
	v_lshrrev_b32_e32 v1, 21, v1
	s_or_saveexec_b64 s[80:81], vcc
                                        ; implicit-def: $sgpr76
	s_xor_b64 exec, exec, s[80:81]
	s_cbranch_execz .LBB47_7754
.LBB47_7982:
	s_mov_b32 s74, 0x42800000
	v_add_f32_e64 v1, |v20|, s74
	v_and_b32_e32 v1, 0xff, v1
	v_cmp_ne_u32_e32 vcc, 0, v1
	s_andn2_b64 s[74:75], s[82:83], exec
	s_and_b64 vcc, vcc, exec
	s_mov_b32 s76, 0
	s_or_b64 s[82:83], s[74:75], vcc
	s_or_b64 exec, exec, s[80:81]
	v_mov_b32_e32 v4, s76
	s_and_saveexec_b64 vcc, s[82:83]
	s_cbranch_execnz .LBB47_7755
	s_branch .LBB47_7756
.LBB47_7983:
	v_bfe_u32 v1, v18, 21, 1
	s_mov_b32 s74, 0x88fffff
	v_add3_u32 v1, v18, v1, s74
	s_mov_b64 s[82:83], exec
	v_lshrrev_b32_e32 v1, 21, v1
	s_or_saveexec_b64 s[80:81], vcc
                                        ; implicit-def: $sgpr76
	s_xor_b64 exec, exec, s[80:81]
	s_cbranch_execz .LBB47_4063
.LBB47_7984:
	s_mov_b32 s74, 0x42800000
	v_add_f32_e64 v1, |v18|, s74
	v_and_b32_e32 v1, 0xff, v1
	v_cmp_ne_u32_e32 vcc, 0, v1
	s_andn2_b64 s[74:75], s[82:83], exec
	s_and_b64 vcc, vcc, exec
	s_mov_b32 s76, 0
	s_or_b64 s[82:83], s[74:75], vcc
	s_or_b64 exec, exec, s[80:81]
	v_mov_b32_e32 v4, s76
	s_and_saveexec_b64 vcc, s[82:83]
	s_cbranch_execnz .LBB47_4064
	s_branch .LBB47_4065
.LBB47_7985:
	v_bfe_u32 v1, v16, 20, 1
	s_mov_b32 s74, 0x487ffff
	v_add3_u32 v1, v16, v1, s74
	s_mov_b64 s[82:83], exec
	v_lshrrev_b32_e32 v1, 20, v1
	s_or_saveexec_b64 s[80:81], vcc
                                        ; implicit-def: $sgpr76
	s_xor_b64 exec, exec, s[80:81]
	s_cbranch_execz .LBB47_4179
.LBB47_7986:
	s_mov_b32 s74, 0x46000000
	v_add_f32_e64 v1, |v16|, s74
	v_and_b32_e32 v1, 0xff, v1
	v_cmp_ne_u32_e32 vcc, 0, v1
	s_andn2_b64 s[74:75], s[82:83], exec
	s_and_b64 vcc, vcc, exec
	s_mov_b32 s76, 0
	s_or_b64 s[82:83], s[74:75], vcc
	s_or_b64 exec, exec, s[80:81]
	v_mov_b32_e32 v4, s76
	s_and_saveexec_b64 vcc, s[82:83]
	s_cbranch_execnz .LBB47_4180
	s_branch .LBB47_4181
.LBB47_7987:
	v_bfe_u32 v1, v16, 21, 1
	s_mov_b32 s74, 0x88fffff
	v_add3_u32 v1, v16, v1, s74
	s_mov_b64 s[82:83], exec
	v_lshrrev_b32_e32 v1, 21, v1
	s_or_saveexec_b64 s[80:81], vcc
                                        ; implicit-def: $sgpr76
	s_xor_b64 exec, exec, s[80:81]
	s_cbranch_execz .LBB47_4192
.LBB47_7988:
	s_mov_b32 s74, 0x42800000
	v_add_f32_e64 v1, |v16|, s74
	v_and_b32_e32 v1, 0xff, v1
	v_cmp_ne_u32_e32 vcc, 0, v1
	s_andn2_b64 s[74:75], s[82:83], exec
	s_and_b64 vcc, vcc, exec
	s_mov_b32 s76, 0
	s_or_b64 s[82:83], s[74:75], vcc
	s_or_b64 exec, exec, s[80:81]
	v_mov_b32_e32 v4, s76
	s_and_saveexec_b64 vcc, s[82:83]
	s_cbranch_execnz .LBB47_4193
	s_branch .LBB47_4194
.LBB47_7989:
	v_bfe_u32 v1, v14, 20, 1
	s_mov_b32 s74, 0x487ffff
	v_add3_u32 v1, v14, v1, s74
	s_mov_b64 s[82:83], exec
	v_lshrrev_b32_e32 v1, 20, v1
	s_or_saveexec_b64 s[80:81], vcc
                                        ; implicit-def: $sgpr76
	s_xor_b64 exec, exec, s[80:81]
	s_cbranch_execz .LBB47_4308
.LBB47_7990:
	s_mov_b32 s74, 0x46000000
	v_add_f32_e64 v1, |v14|, s74
	v_and_b32_e32 v1, 0xff, v1
	v_cmp_ne_u32_e32 vcc, 0, v1
	s_andn2_b64 s[74:75], s[82:83], exec
	s_and_b64 vcc, vcc, exec
	s_mov_b32 s76, 0
	s_or_b64 s[82:83], s[74:75], vcc
	s_or_b64 exec, exec, s[80:81]
	v_mov_b32_e32 v4, s76
	s_and_saveexec_b64 vcc, s[82:83]
	s_cbranch_execnz .LBB47_4309
	s_branch .LBB47_4310
.LBB47_7991:
	v_bfe_u32 v1, v14, 21, 1
	s_mov_b32 s74, 0x88fffff
	v_add3_u32 v1, v14, v1, s74
	s_mov_b64 s[82:83], exec
	v_lshrrev_b32_e32 v1, 21, v1
	s_or_saveexec_b64 s[80:81], vcc
                                        ; implicit-def: $sgpr76
	s_xor_b64 exec, exec, s[80:81]
	s_cbranch_execz .LBB47_4321
.LBB47_7992:
	s_mov_b32 s74, 0x42800000
	v_add_f32_e64 v1, |v14|, s74
	v_and_b32_e32 v1, 0xff, v1
	v_cmp_ne_u32_e32 vcc, 0, v1
	s_andn2_b64 s[74:75], s[82:83], exec
	s_and_b64 vcc, vcc, exec
	s_mov_b32 s76, 0
	s_or_b64 s[82:83], s[74:75], vcc
	s_or_b64 exec, exec, s[80:81]
	v_mov_b32_e32 v4, s76
	s_and_saveexec_b64 vcc, s[82:83]
	s_cbranch_execnz .LBB47_4322
	s_branch .LBB47_4323
.LBB47_7993:
	v_bfe_u32 v1, v112, 20, 1
	s_mov_b32 s74, 0x487ffff
	v_add3_u32 v1, v112, v1, s74
	s_mov_b64 s[82:83], exec
	v_lshrrev_b32_e32 v1, 20, v1
	s_or_saveexec_b64 s[80:81], vcc
                                        ; implicit-def: $sgpr76
	s_xor_b64 exec, exec, s[80:81]
	s_cbranch_execz .LBB47_4437
.LBB47_7994:
	s_mov_b32 s74, 0x46000000
	v_add_f32_e64 v1, |v112|, s74
	v_and_b32_e32 v1, 0xff, v1
	v_cmp_ne_u32_e32 vcc, 0, v1
	s_andn2_b64 s[74:75], s[82:83], exec
	s_and_b64 vcc, vcc, exec
	s_mov_b32 s76, 0
	s_or_b64 s[82:83], s[74:75], vcc
	s_or_b64 exec, exec, s[80:81]
	v_mov_b32_e32 v4, s76
	s_and_saveexec_b64 vcc, s[82:83]
	s_cbranch_execnz .LBB47_4438
	s_branch .LBB47_4439
.LBB47_7995:
	v_bfe_u32 v1, v112, 21, 1
	s_mov_b32 s74, 0x88fffff
	v_add3_u32 v1, v112, v1, s74
	s_mov_b64 s[82:83], exec
	v_lshrrev_b32_e32 v1, 21, v1
	s_or_saveexec_b64 s[80:81], vcc
                                        ; implicit-def: $sgpr76
	s_xor_b64 exec, exec, s[80:81]
	s_cbranch_execz .LBB47_4450
.LBB47_7996:
	s_mov_b32 s74, 0x42800000
	v_add_f32_e64 v1, |v112|, s74
	v_and_b32_e32 v1, 0xff, v1
	v_cmp_ne_u32_e32 vcc, 0, v1
	s_andn2_b64 s[74:75], s[82:83], exec
	s_and_b64 vcc, vcc, exec
	s_mov_b32 s76, 0
	s_or_b64 s[82:83], s[74:75], vcc
	s_or_b64 exec, exec, s[80:81]
	v_mov_b32_e32 v4, s76
	s_and_saveexec_b64 vcc, s[82:83]
	s_cbranch_execnz .LBB47_4451
	s_branch .LBB47_4452
.LBB47_7997:
	v_bfe_u32 v1, v102, 20, 1
	s_mov_b32 s74, 0x487ffff
	v_add3_u32 v1, v102, v1, s74
	s_mov_b64 s[82:83], exec
	v_lshrrev_b32_e32 v1, 20, v1
	s_or_saveexec_b64 s[80:81], vcc
                                        ; implicit-def: $sgpr76
	s_xor_b64 exec, exec, s[80:81]
	s_cbranch_execz .LBB47_4566
.LBB47_7998:
	s_mov_b32 s74, 0x46000000
	v_add_f32_e64 v1, |v102|, s74
	v_and_b32_e32 v1, 0xff, v1
	v_cmp_ne_u32_e32 vcc, 0, v1
	s_andn2_b64 s[74:75], s[82:83], exec
	s_and_b64 vcc, vcc, exec
	s_mov_b32 s76, 0
	s_or_b64 s[82:83], s[74:75], vcc
	s_or_b64 exec, exec, s[80:81]
	v_mov_b32_e32 v4, s76
	s_and_saveexec_b64 vcc, s[82:83]
	s_cbranch_execnz .LBB47_4567
	s_branch .LBB47_4568
.LBB47_7999:
	v_bfe_u32 v1, v102, 21, 1
	s_mov_b32 s74, 0x88fffff
	v_add3_u32 v1, v102, v1, s74
	s_mov_b64 s[82:83], exec
	v_lshrrev_b32_e32 v1, 21, v1
	s_or_saveexec_b64 s[80:81], vcc
                                        ; implicit-def: $sgpr76
	s_xor_b64 exec, exec, s[80:81]
	s_cbranch_execz .LBB47_4579
.LBB47_8000:
	s_mov_b32 s74, 0x42800000
	v_add_f32_e64 v1, |v102|, s74
	v_and_b32_e32 v1, 0xff, v1
	v_cmp_ne_u32_e32 vcc, 0, v1
	s_andn2_b64 s[74:75], s[82:83], exec
	s_and_b64 vcc, vcc, exec
	s_mov_b32 s76, 0
	s_or_b64 s[82:83], s[74:75], vcc
	s_or_b64 exec, exec, s[80:81]
	v_mov_b32_e32 v4, s76
	s_and_saveexec_b64 vcc, s[82:83]
	s_cbranch_execnz .LBB47_4580
	s_branch .LBB47_4581
.LBB47_8001:
	v_bfe_u32 v1, v8, 20, 1
	s_mov_b32 s74, 0x487ffff
	v_add3_u32 v1, v8, v1, s74
	s_mov_b64 s[82:83], exec
	v_lshrrev_b32_e32 v1, 20, v1
	s_or_saveexec_b64 s[80:81], vcc
                                        ; implicit-def: $sgpr76
	s_xor_b64 exec, exec, s[80:81]
	s_cbranch_execz .LBB47_7889
.LBB47_8002:
	s_mov_b32 s74, 0x46000000
	v_add_f32_e64 v1, |v8|, s74
	v_and_b32_e32 v1, 0xff, v1
	v_cmp_ne_u32_e32 vcc, 0, v1
	s_andn2_b64 s[74:75], s[82:83], exec
	s_and_b64 vcc, vcc, exec
	s_mov_b32 s76, 0
	s_or_b64 s[82:83], s[74:75], vcc
	s_or_b64 exec, exec, s[80:81]
	v_mov_b32_e32 v4, s76
	s_and_saveexec_b64 vcc, s[82:83]
	s_cbranch_execnz .LBB47_7890
	s_branch .LBB47_7891
.LBB47_8003:
	v_bfe_u32 v1, v0, 20, 1
	s_mov_b32 s74, 0x487ffff
	v_add3_u32 v1, v0, v1, s74
	s_mov_b64 s[82:83], exec
	v_lshrrev_b32_e32 v1, 20, v1
	s_or_saveexec_b64 s[80:81], vcc
                                        ; implicit-def: $sgpr76
	s_xor_b64 exec, exec, s[80:81]
	s_cbranch_execz .LBB47_4702
.LBB47_8004:
	s_mov_b32 s74, 0x46000000
	v_add_f32_e64 v1, |v0|, s74
	v_and_b32_e32 v1, 0xff, v1
	v_cmp_ne_u32_e32 vcc, 0, v1
	s_andn2_b64 s[74:75], s[82:83], exec
	s_and_b64 vcc, vcc, exec
	s_mov_b32 s76, 0
	s_or_b64 s[82:83], s[74:75], vcc
	s_or_b64 exec, exec, s[80:81]
	v_mov_b32_e32 v5, s76
	s_and_saveexec_b64 vcc, s[82:83]
	s_cbranch_execnz .LBB47_4703
	s_branch .LBB47_4704
.LBB47_8005:
	v_bfe_u32 v1, v8, 21, 1
	s_mov_b32 s74, 0x88fffff
	v_add3_u32 v1, v8, v1, s74
	s_mov_b64 s[82:83], exec
	v_lshrrev_b32_e32 v1, 21, v1
	s_or_saveexec_b64 s[80:81], vcc
                                        ; implicit-def: $sgpr76
	s_xor_b64 exec, exec, s[80:81]
	s_cbranch_execz .LBB47_7902
.LBB47_8006:
	s_mov_b32 s74, 0x42800000
	v_add_f32_e64 v1, |v8|, s74
	v_and_b32_e32 v1, 0xff, v1
	v_cmp_ne_u32_e32 vcc, 0, v1
	s_andn2_b64 s[74:75], s[82:83], exec
	s_and_b64 vcc, vcc, exec
	s_mov_b32 s76, 0
	s_or_b64 s[82:83], s[74:75], vcc
	s_or_b64 exec, exec, s[80:81]
	v_mov_b32_e32 v4, s76
	s_and_saveexec_b64 vcc, s[82:83]
	s_cbranch_execnz .LBB47_7903
	s_branch .LBB47_7904
.LBB47_8007:
	v_bfe_u32 v1, v0, 21, 1
	s_mov_b32 s74, 0x88fffff
	v_add3_u32 v1, v0, v1, s74
	s_mov_b64 s[82:83], exec
	v_lshrrev_b32_e32 v1, 21, v1
	s_or_saveexec_b64 s[80:81], vcc
                                        ; implicit-def: $sgpr76
	s_xor_b64 exec, exec, s[80:81]
	s_cbranch_execz .LBB47_4715
.LBB47_8008:
	s_mov_b32 s74, 0x42800000
	v_add_f32_e64 v1, |v0|, s74
	v_and_b32_e32 v1, 0xff, v1
	v_cmp_ne_u32_e32 vcc, 0, v1
	s_andn2_b64 s[74:75], s[82:83], exec
	s_and_b64 vcc, vcc, exec
	s_mov_b32 s76, 0
	s_or_b64 s[82:83], s[74:75], vcc
	s_or_b64 exec, exec, s[80:81]
	v_mov_b32_e32 v5, s76
	s_and_saveexec_b64 vcc, s[82:83]
	s_cbranch_execnz .LBB47_4716
	s_branch .LBB47_4717
.Lfunc_end47:
	.size	_ZN2at6native25elementwise_kernel_helperILb1ENS0_13BinaryFunctorIfffZZZNS0_12_GLOBAL__N_133hermite_polynomial_he_kernel_cudaERNS_18TensorIteratorBaseEENKUlvE_clEvENKUlvE0_clEvEUlffE_EENS0_6memory8policies11unroll_baseILi512ESt5arrayIPcLm3EE23TrivialOffsetCalculatorILi2EjESG_ILi1EjENSA_12LoadWithCastILi2EEENSA_13StoreWithCastILi1EEELi32ELi1EEEEEvT0_T1_, .Lfunc_end47-_ZN2at6native25elementwise_kernel_helperILb1ENS0_13BinaryFunctorIfffZZZNS0_12_GLOBAL__N_133hermite_polynomial_he_kernel_cudaERNS_18TensorIteratorBaseEENKUlvE_clEvENKUlvE0_clEvEUlffE_EENS0_6memory8policies11unroll_baseILi512ESt5arrayIPcLm3EE23TrivialOffsetCalculatorILi2EjESG_ILi1EjENSA_12LoadWithCastILi2EEENSA_13StoreWithCastILi1EEELi32ELi1EEEEEvT0_T1_
                                        ; -- End function
	.section	.AMDGPU.csdata,"",@progbits
; Function info:
; codeLenInByte = 171212
; NumSgprs: 102
; NumVgprs: 120
; NumAgprs: 0
; TotalNumVgprs: 120
; ScratchSize: 288
; MemoryBound: 1
	.section	.text._ZN2at6native39vectorized_templated_elementwise_kernelILi8ENS0_13BinaryFunctorIfffZZZNS0_12_GLOBAL__N_133hermite_polynomial_he_kernel_cudaERNS_18TensorIteratorBaseEENKUlvE_clEvENKUlvE0_clEvEUlffE_EESt5arrayIPcLm3EE23TrivialOffsetCalculatorILi2EjESD_ILi1EjENS0_6memory12LoadWithCastILi2EEENSG_13StoreWithCastILi1EEEfJfN3c108BFloat16EEEEviT0_T1_T2_T3_T4_T5_,"axG",@progbits,_ZN2at6native39vectorized_templated_elementwise_kernelILi8ENS0_13BinaryFunctorIfffZZZNS0_12_GLOBAL__N_133hermite_polynomial_he_kernel_cudaERNS_18TensorIteratorBaseEENKUlvE_clEvENKUlvE0_clEvEUlffE_EESt5arrayIPcLm3EE23TrivialOffsetCalculatorILi2EjESD_ILi1EjENS0_6memory12LoadWithCastILi2EEENSG_13StoreWithCastILi1EEEfJfN3c108BFloat16EEEEviT0_T1_T2_T3_T4_T5_,comdat
	.globl	_ZN2at6native39vectorized_templated_elementwise_kernelILi8ENS0_13BinaryFunctorIfffZZZNS0_12_GLOBAL__N_133hermite_polynomial_he_kernel_cudaERNS_18TensorIteratorBaseEENKUlvE_clEvENKUlvE0_clEvEUlffE_EESt5arrayIPcLm3EE23TrivialOffsetCalculatorILi2EjESD_ILi1EjENS0_6memory12LoadWithCastILi2EEENSG_13StoreWithCastILi1EEEfJfN3c108BFloat16EEEEviT0_T1_T2_T3_T4_T5_ ; -- Begin function _ZN2at6native39vectorized_templated_elementwise_kernelILi8ENS0_13BinaryFunctorIfffZZZNS0_12_GLOBAL__N_133hermite_polynomial_he_kernel_cudaERNS_18TensorIteratorBaseEENKUlvE_clEvENKUlvE0_clEvEUlffE_EESt5arrayIPcLm3EE23TrivialOffsetCalculatorILi2EjESD_ILi1EjENS0_6memory12LoadWithCastILi2EEENSG_13StoreWithCastILi1EEEfJfN3c108BFloat16EEEEviT0_T1_T2_T3_T4_T5_
	.p2align	8
	.type	_ZN2at6native39vectorized_templated_elementwise_kernelILi8ENS0_13BinaryFunctorIfffZZZNS0_12_GLOBAL__N_133hermite_polynomial_he_kernel_cudaERNS_18TensorIteratorBaseEENKUlvE_clEvENKUlvE0_clEvEUlffE_EESt5arrayIPcLm3EE23TrivialOffsetCalculatorILi2EjESD_ILi1EjENS0_6memory12LoadWithCastILi2EEENSG_13StoreWithCastILi1EEEfJfN3c108BFloat16EEEEviT0_T1_T2_T3_T4_T5_,@function
_ZN2at6native39vectorized_templated_elementwise_kernelILi8ENS0_13BinaryFunctorIfffZZZNS0_12_GLOBAL__N_133hermite_polynomial_he_kernel_cudaERNS_18TensorIteratorBaseEENKUlvE_clEvENKUlvE0_clEvEUlffE_EESt5arrayIPcLm3EE23TrivialOffsetCalculatorILi2EjESD_ILi1EjENS0_6memory12LoadWithCastILi2EEENSG_13StoreWithCastILi1EEEfJfN3c108BFloat16EEEEviT0_T1_T2_T3_T4_T5_: ; @_ZN2at6native39vectorized_templated_elementwise_kernelILi8ENS0_13BinaryFunctorIfffZZZNS0_12_GLOBAL__N_133hermite_polynomial_he_kernel_cudaERNS_18TensorIteratorBaseEENKUlvE_clEvENKUlvE0_clEvEUlffE_EESt5arrayIPcLm3EE23TrivialOffsetCalculatorILi2EjESD_ILi1EjENS0_6memory12LoadWithCastILi2EEENSG_13StoreWithCastILi1EEEfJfN3c108BFloat16EEEEviT0_T1_T2_T3_T4_T5_
; %bb.0:
	s_add_u32 flat_scratch_lo, s6, s9
	s_addc_u32 flat_scratch_hi, s7, 0
	s_add_u32 s0, s0, s9
	s_load_dword s6, s[4:5], 0x38
	s_load_dwordx2 s[10:11], s[4:5], 0x18
	s_load_dword s7, s[4:5], 0x0
	s_load_dwordx4 s[16:19], s[4:5], 0x8
	s_addc_u32 s1, s1, 0
	s_mov_b32 s12, s8
	s_not_b32 s8, s8
	s_waitcnt lgkmcnt(0)
	s_add_i32 s6, s6, s8
	s_lshl_b32 s14, s6, 14
	s_sub_i32 s13, s7, s14
	s_cmpk_gt_i32 s13, 0x3fff
	s_mov_b64 s[6:7], -1
	s_mov_b32 s32, 0
	s_cbranch_scc1 .LBB48_3
; %bb.1:
	s_and_b64 vcc, exec, s[6:7]
	s_cbranch_vccnz .LBB48_388
.LBB48_2:
	s_endpgm
.LBB48_3:
	s_ashr_i32 s15, s14, 31
	s_lshl_b64 s[8:9], s[14:15], 2
	s_add_u32 s20, s18, s8
	s_addc_u32 s21, s19, s9
	v_lshlrev_b32_e32 v56, 5, v0
	v_mov_b32_e32 v1, s21
	v_add_co_u32_e32 v6, vcc, s20, v56
	v_addc_co_u32_e32 v8, vcc, 0, v1, vcc
	v_add_co_u32_e32 v2, vcc, 0x4000, v6
	v_addc_co_u32_e64 v3, s[6:7], 0, v8, vcc
	v_addc_co_u32_e32 v5, vcc, 0, v8, vcc
	v_add_co_u32_e32 v6, vcc, 0xc000, v6
	v_addc_co_u32_e64 v7, s[6:7], 0, v8, vcc
	v_or_b32_e32 v10, 0x400, v0
	s_lshl_b64 s[6:7], s[14:15], 1
	v_mov_b32_e32 v4, v2
	v_lshlrev_b32_e32 v1, 5, v10
	v_addc_co_u32_e32 v9, vcc, 0, v8, vcc
	v_mov_b32_e32 v8, v6
	s_add_u32 s6, s10, s6
	global_load_dwordx4 v[26:29], v56, s[20:21] offset:16
	global_load_dwordx4 v[52:55], v56, s[20:21]
	global_load_dwordx4 v[48:51], v[4:5], off
	global_load_dwordx4 v[40:43], v[2:3], off offset:16
	global_load_dwordx4 v[22:25], v1, s[20:21] offset:16
	global_load_dwordx4 v[34:37], v1, s[20:21]
	global_load_dwordx4 v[14:17], v[8:9], off
	s_nop 0
	global_load_dwordx4 v[2:5], v[6:7], off offset:16
	s_addc_u32 s7, s11, s7
	v_lshlrev_b32_e32 v6, 4, v0
	global_load_dwordx4 v[18:21], v6, s[6:7]
	v_mov_b32_e32 v7, s7
	v_add_co_u32_e32 v8, vcc, s6, v6
	v_addc_co_u32_e32 v9, vcc, 0, v7, vcc
	s_movk_i32 s14, 0x2000
	v_add_co_u32_e32 v6, vcc, s14, v8
	v_addc_co_u32_e32 v7, vcc, 0, v9, vcc
	s_movk_i32 s14, 0x6000
	global_load_dwordx4 v[44:47], v[6:7], off
	v_lshlrev_b32_e32 v38, 4, v10
	v_add_co_u32_e32 v6, vcc, s14, v8
	v_addc_co_u32_e32 v7, vcc, 0, v9, vcc
	global_load_dwordx4 v[30:33], v38, s[6:7]
	global_load_dwordx4 v[10:13], v[6:7], off
	s_mov_b32 s6, 0x2f800000
	s_mov_b32 s7, 0xcf800000
	s_waitcnt vmcnt(3)
	v_lshlrev_b32_e32 v6, 16, v18
	v_trunc_f32_e32 v6, v6
	v_mul_f32_e64 v7, |v6|, s6
	v_floor_f32_e32 v7, v7
	v_fma_f32 v8, v7, s7, |v6|
	v_cvt_u32_f32_e32 v8, v8
	v_cvt_u32_f32_e32 v7, v7
	v_ashrrev_i32_e32 v6, 31, v6
	v_xor_b32_e32 v8, v8, v6
	v_xor_b32_e32 v7, v7, v6
	v_sub_co_u32_e32 v8, vcc, v8, v6
	v_subb_co_u32_e32 v9, vcc, v7, v6, vcc
	v_cmp_lt_i64_e32 vcc, -1, v[8:9]
	v_mov_b32_e32 v6, 0
	s_and_saveexec_b64 s[6:7], vcc
	s_cbranch_execz .LBB48_15
; %bb.4:
	v_cmp_lt_i64_e32 vcc, 0, v[8:9]
	v_mov_b32_e32 v6, 1.0
	s_and_saveexec_b64 s[14:15], vcc
	s_cbranch_execz .LBB48_14
; %bb.5:
	v_cmp_ne_u64_e32 vcc, 1, v[8:9]
                                        ; implicit-def: $vgpr6
	s_and_saveexec_b64 s[20:21], vcc
	s_xor_b64 s[20:21], exec, s[20:21]
	s_cbranch_execz .LBB48_11
; %bb.6:
	s_mov_b64 s[22:23], 0x81
	v_cmp_gt_u64_e32 vcc, s[22:23], v[8:9]
	v_mov_b32_e32 v6, 0x7fc00000
	s_and_saveexec_b64 s[22:23], vcc
	s_cbranch_execz .LBB48_10
; %bb.7:
	s_mov_b64 s[26:27], 1
	s_mov_b64 s[24:25], 0
	v_mov_b32_e32 v7, 1.0
	v_mov_b32_e32 v6, v52
.LBB48_8:                               ; =>This Inner Loop Header: Depth=1
	s_flbit_i32_b32 s28, s27
	s_min_u32 s30, s28, 32
	s_lshl_b64 s[28:29], s[26:27], s30
	s_min_u32 s28, s28, 1
	s_or_b32 s28, s29, s28
	v_cvt_f32_u32_e32 v38, s28
	s_sub_i32 s30, 32, s30
	s_add_u32 s26, s26, 1
	s_addc_u32 s27, s27, 0
	v_ldexp_f32 v38, v38, s30
	v_cmp_eq_u64_e32 vcc, s[26:27], v[8:9]
	v_mul_f32_e32 v38, v7, v38
	s_or_b64 s[24:25], vcc, s[24:25]
	v_mov_b32_e32 v7, v6
	v_fma_f32 v6, v52, v6, -v38
	s_andn2_b64 exec, exec, s[24:25]
	s_cbranch_execnz .LBB48_8
; %bb.9:
	s_or_b64 exec, exec, s[24:25]
.LBB48_10:
	s_or_b64 exec, exec, s[22:23]
.LBB48_11:
	s_andn2_saveexec_b64 s[20:21], s[20:21]
; %bb.12:
	v_mov_b32_e32 v6, v52
; %bb.13:
	s_or_b64 exec, exec, s[20:21]
.LBB48_14:
	s_or_b64 exec, exec, s[14:15]
.LBB48_15:
	s_or_b64 exec, exec, s[6:7]
	v_and_b32_e32 v7, 0xffff0000, v18
	v_trunc_f32_e32 v7, v7
	s_mov_b32 s6, 0x2f800000
	v_mul_f32_e64 v8, |v7|, s6
	v_floor_f32_e32 v8, v8
	s_mov_b32 s6, 0xcf800000
	v_fma_f32 v9, v8, s6, |v7|
	v_cvt_u32_f32_e32 v8, v8
	v_cvt_u32_f32_e32 v9, v9
	v_ashrrev_i32_e32 v7, 31, v7
	v_xor_b32_e32 v18, v8, v7
	v_xor_b32_e32 v8, v9, v7
	v_sub_co_u32_e32 v8, vcc, v8, v7
	v_subb_co_u32_e32 v9, vcc, v18, v7, vcc
	v_cmp_lt_i64_e32 vcc, -1, v[8:9]
	v_mov_b32_e32 v7, 0
	s_and_saveexec_b64 s[6:7], vcc
	s_cbranch_execz .LBB48_27
; %bb.16:
	v_cmp_lt_i64_e32 vcc, 0, v[8:9]
	v_mov_b32_e32 v7, 1.0
	s_and_saveexec_b64 s[14:15], vcc
	s_cbranch_execz .LBB48_26
; %bb.17:
	v_cmp_ne_u64_e32 vcc, 1, v[8:9]
	s_and_saveexec_b64 s[20:21], vcc
	s_xor_b64 s[20:21], exec, s[20:21]
	s_cbranch_execz .LBB48_23
; %bb.18:
	s_mov_b64 s[22:23], 0x81
	v_cmp_gt_u64_e32 vcc, s[22:23], v[8:9]
	v_mov_b32_e32 v7, 0x7fc00000
	s_and_saveexec_b64 s[22:23], vcc
	s_cbranch_execz .LBB48_22
; %bb.19:
	s_mov_b64 s[26:27], 1
	s_mov_b64 s[24:25], 0
	v_mov_b32_e32 v18, 1.0
	v_mov_b32_e32 v7, v53
.LBB48_20:                              ; =>This Inner Loop Header: Depth=1
	s_flbit_i32_b32 s28, s27
	s_min_u32 s30, s28, 32
	s_lshl_b64 s[28:29], s[26:27], s30
	s_min_u32 s28, s28, 1
	s_or_b32 s28, s29, s28
	v_cvt_f32_u32_e32 v38, s28
	s_sub_i32 s30, 32, s30
	s_add_u32 s26, s26, 1
	s_addc_u32 s27, s27, 0
	v_ldexp_f32 v38, v38, s30
	v_cmp_eq_u64_e32 vcc, s[26:27], v[8:9]
	v_mul_f32_e32 v38, v18, v38
	s_or_b64 s[24:25], vcc, s[24:25]
	v_mov_b32_e32 v18, v7
	v_fma_f32 v7, v53, v7, -v38
	s_andn2_b64 exec, exec, s[24:25]
	s_cbranch_execnz .LBB48_20
; %bb.21:
	s_or_b64 exec, exec, s[24:25]
.LBB48_22:
	s_or_b64 exec, exec, s[22:23]
.LBB48_23:
	s_andn2_saveexec_b64 s[20:21], s[20:21]
; %bb.24:
	v_mov_b32_e32 v7, v53
; %bb.25:
	s_or_b64 exec, exec, s[20:21]
.LBB48_26:
	s_or_b64 exec, exec, s[14:15]
.LBB48_27:
	s_or_b64 exec, exec, s[6:7]
	v_lshlrev_b32_e32 v8, 16, v19
	v_trunc_f32_e32 v8, v8
	s_mov_b32 s6, 0x2f800000
	v_mul_f32_e64 v9, |v8|, s6
	v_floor_f32_e32 v9, v9
	s_mov_b32 s6, 0xcf800000
	v_cvt_u32_f32_e32 v18, v9
	v_fma_f32 v9, v9, s6, |v8|
	v_cvt_u32_f32_e32 v9, v9
	v_ashrrev_i32_e32 v8, 31, v8
	v_xor_b32_e32 v18, v18, v8
	v_xor_b32_e32 v9, v9, v8
	v_sub_co_u32_e32 v38, vcc, v9, v8
	v_subb_co_u32_e32 v39, vcc, v18, v8, vcc
	v_cmp_lt_i64_e32 vcc, -1, v[38:39]
	v_mov_b32_e32 v8, 0
	s_and_saveexec_b64 s[6:7], vcc
	s_cbranch_execz .LBB48_39
; %bb.28:
	v_cmp_lt_i64_e32 vcc, 0, v[38:39]
	v_mov_b32_e32 v8, 1.0
	s_and_saveexec_b64 s[14:15], vcc
	s_cbranch_execz .LBB48_38
; %bb.29:
	v_cmp_ne_u64_e32 vcc, 1, v[38:39]
	s_and_saveexec_b64 s[20:21], vcc
	s_xor_b64 s[20:21], exec, s[20:21]
	s_cbranch_execz .LBB48_35
; %bb.30:
	s_mov_b64 s[22:23], 0x81
	v_cmp_gt_u64_e32 vcc, s[22:23], v[38:39]
	v_mov_b32_e32 v8, 0x7fc00000
	s_and_saveexec_b64 s[22:23], vcc
	s_cbranch_execz .LBB48_34
; %bb.31:
	s_mov_b64 s[26:27], 1
	s_mov_b64 s[24:25], 0
	v_mov_b32_e32 v9, 1.0
	v_mov_b32_e32 v8, v54
.LBB48_32:                              ; =>This Inner Loop Header: Depth=1
	s_flbit_i32_b32 s28, s27
	s_min_u32 s30, s28, 32
	s_lshl_b64 s[28:29], s[26:27], s30
	s_min_u32 s28, s28, 1
	s_or_b32 s28, s29, s28
	v_cvt_f32_u32_e32 v18, s28
	s_sub_i32 s30, 32, s30
	s_add_u32 s26, s26, 1
	s_addc_u32 s27, s27, 0
	v_ldexp_f32 v18, v18, s30
	v_cmp_eq_u64_e32 vcc, s[26:27], v[38:39]
	v_mul_f32_e32 v18, v9, v18
	s_or_b64 s[24:25], vcc, s[24:25]
	v_mov_b32_e32 v9, v8
	v_fma_f32 v8, v54, v8, -v18
	s_andn2_b64 exec, exec, s[24:25]
	s_cbranch_execnz .LBB48_32
; %bb.33:
	s_or_b64 exec, exec, s[24:25]
.LBB48_34:
	s_or_b64 exec, exec, s[22:23]
.LBB48_35:
	s_andn2_saveexec_b64 s[20:21], s[20:21]
; %bb.36:
	v_mov_b32_e32 v8, v54
; %bb.37:
	s_or_b64 exec, exec, s[20:21]
.LBB48_38:
	s_or_b64 exec, exec, s[14:15]
.LBB48_39:
	s_or_b64 exec, exec, s[6:7]
	v_and_b32_e32 v9, 0xffff0000, v19
	v_trunc_f32_e32 v9, v9
	s_mov_b32 s6, 0x2f800000
	v_mul_f32_e64 v18, |v9|, s6
	v_floor_f32_e32 v18, v18
	s_mov_b32 s6, 0xcf800000
	v_fma_f32 v19, v18, s6, |v9|
	v_cvt_u32_f32_e32 v18, v18
	v_cvt_u32_f32_e32 v19, v19
	v_ashrrev_i32_e32 v9, 31, v9
	v_xor_b32_e32 v38, v18, v9
	v_xor_b32_e32 v18, v19, v9
	v_sub_co_u32_e32 v18, vcc, v18, v9
	v_subb_co_u32_e32 v19, vcc, v38, v9, vcc
	v_cmp_lt_i64_e32 vcc, -1, v[18:19]
	v_mov_b32_e32 v9, 0
	s_and_saveexec_b64 s[6:7], vcc
	s_cbranch_execz .LBB48_51
; %bb.40:
	v_cmp_lt_i64_e32 vcc, 0, v[18:19]
	v_mov_b32_e32 v9, 1.0
	s_and_saveexec_b64 s[14:15], vcc
	s_cbranch_execz .LBB48_50
; %bb.41:
	v_cmp_ne_u64_e32 vcc, 1, v[18:19]
	s_and_saveexec_b64 s[20:21], vcc
	s_xor_b64 s[20:21], exec, s[20:21]
	s_cbranch_execz .LBB48_47
; %bb.42:
	s_mov_b64 s[22:23], 0x81
	v_cmp_gt_u64_e32 vcc, s[22:23], v[18:19]
	v_mov_b32_e32 v9, 0x7fc00000
	s_and_saveexec_b64 s[22:23], vcc
	s_cbranch_execz .LBB48_46
; %bb.43:
	s_mov_b64 s[26:27], 1
	s_mov_b64 s[24:25], 0
	v_mov_b32_e32 v38, 1.0
	v_mov_b32_e32 v9, v55
.LBB48_44:                              ; =>This Inner Loop Header: Depth=1
	s_flbit_i32_b32 s28, s27
	s_min_u32 s30, s28, 32
	s_lshl_b64 s[28:29], s[26:27], s30
	s_min_u32 s28, s28, 1
	s_or_b32 s28, s29, s28
	v_cvt_f32_u32_e32 v39, s28
	s_sub_i32 s30, 32, s30
	s_add_u32 s26, s26, 1
	s_addc_u32 s27, s27, 0
	v_ldexp_f32 v39, v39, s30
	v_cmp_eq_u64_e32 vcc, s[26:27], v[18:19]
	v_mul_f32_e32 v39, v38, v39
	s_or_b64 s[24:25], vcc, s[24:25]
	v_mov_b32_e32 v38, v9
	v_fma_f32 v9, v55, v9, -v39
	s_andn2_b64 exec, exec, s[24:25]
	s_cbranch_execnz .LBB48_44
; %bb.45:
	s_or_b64 exec, exec, s[24:25]
.LBB48_46:
	s_or_b64 exec, exec, s[22:23]
                                        ; implicit-def: $vgpr55
.LBB48_47:
	s_andn2_saveexec_b64 s[20:21], s[20:21]
; %bb.48:
	v_mov_b32_e32 v9, v55
; %bb.49:
	s_or_b64 exec, exec, s[20:21]
.LBB48_50:
	s_or_b64 exec, exec, s[14:15]
.LBB48_51:
	s_or_b64 exec, exec, s[6:7]
	v_lshlrev_b32_e32 v18, 16, v20
	v_trunc_f32_e32 v18, v18
	s_mov_b32 s6, 0x2f800000
	v_mul_f32_e64 v19, |v18|, s6
	v_floor_f32_e32 v19, v19
	s_mov_b32 s6, 0xcf800000
	v_cvt_u32_f32_e32 v38, v19
	v_fma_f32 v19, v19, s6, |v18|
	v_cvt_u32_f32_e32 v19, v19
	v_ashrrev_i32_e32 v18, 31, v18
	v_xor_b32_e32 v39, v38, v18
	v_xor_b32_e32 v19, v19, v18
	v_sub_co_u32_e32 v38, vcc, v19, v18
	v_subb_co_u32_e32 v39, vcc, v39, v18, vcc
	v_cmp_lt_i64_e32 vcc, -1, v[38:39]
	v_mov_b32_e32 v18, 0
	s_and_saveexec_b64 s[6:7], vcc
	s_cbranch_execz .LBB48_63
; %bb.52:
	v_cmp_lt_i64_e32 vcc, 0, v[38:39]
	v_mov_b32_e32 v18, 1.0
	s_and_saveexec_b64 s[14:15], vcc
	s_cbranch_execz .LBB48_62
; %bb.53:
	v_cmp_ne_u64_e32 vcc, 1, v[38:39]
                                        ; implicit-def: $vgpr18
	s_and_saveexec_b64 s[20:21], vcc
	s_xor_b64 s[20:21], exec, s[20:21]
	s_cbranch_execz .LBB48_59
; %bb.54:
	s_mov_b64 s[22:23], 0x81
	v_cmp_gt_u64_e32 vcc, s[22:23], v[38:39]
	v_mov_b32_e32 v18, 0x7fc00000
	s_and_saveexec_b64 s[22:23], vcc
	s_cbranch_execz .LBB48_58
; %bb.55:
	s_mov_b64 s[26:27], 1
	s_mov_b64 s[24:25], 0
	v_mov_b32_e32 v19, 1.0
	v_mov_b32_e32 v18, v26
.LBB48_56:                              ; =>This Inner Loop Header: Depth=1
	s_flbit_i32_b32 s28, s27
	s_min_u32 s30, s28, 32
	s_lshl_b64 s[28:29], s[26:27], s30
	s_min_u32 s28, s28, 1
	s_or_b32 s28, s29, s28
	v_cvt_f32_u32_e32 v52, s28
	s_sub_i32 s30, 32, s30
	s_add_u32 s26, s26, 1
	s_addc_u32 s27, s27, 0
	v_ldexp_f32 v52, v52, s30
	v_cmp_eq_u64_e32 vcc, s[26:27], v[38:39]
	v_mul_f32_e32 v52, v19, v52
	s_or_b64 s[24:25], vcc, s[24:25]
	v_mov_b32_e32 v19, v18
	v_fma_f32 v18, v26, v18, -v52
	s_andn2_b64 exec, exec, s[24:25]
	s_cbranch_execnz .LBB48_56
; %bb.57:
	s_or_b64 exec, exec, s[24:25]
.LBB48_58:
	s_or_b64 exec, exec, s[22:23]
.LBB48_59:
	s_andn2_saveexec_b64 s[20:21], s[20:21]
; %bb.60:
	v_mov_b32_e32 v18, v26
; %bb.61:
	s_or_b64 exec, exec, s[20:21]
.LBB48_62:
	s_or_b64 exec, exec, s[14:15]
.LBB48_63:
	s_or_b64 exec, exec, s[6:7]
	v_and_b32_e32 v19, 0xffff0000, v20
	v_trunc_f32_e32 v19, v19
	s_mov_b32 s6, 0x2f800000
	v_mul_f32_e64 v20, |v19|, s6
	v_floor_f32_e32 v20, v20
	s_mov_b32 s6, 0xcf800000
	v_fma_f32 v26, v20, s6, |v19|
	v_cvt_u32_f32_e32 v26, v26
	v_cvt_u32_f32_e32 v20, v20
	v_ashrrev_i32_e32 v19, 31, v19
	v_xor_b32_e32 v26, v26, v19
	v_xor_b32_e32 v20, v20, v19
	v_sub_co_u32_e32 v38, vcc, v26, v19
	v_subb_co_u32_e32 v39, vcc, v20, v19, vcc
	v_cmp_lt_i64_e32 vcc, -1, v[38:39]
	v_mov_b32_e32 v19, 0
	s_and_saveexec_b64 s[6:7], vcc
	s_cbranch_execz .LBB48_75
; %bb.64:
	v_cmp_lt_i64_e32 vcc, 0, v[38:39]
	v_mov_b32_e32 v19, 1.0
	s_and_saveexec_b64 s[14:15], vcc
	s_cbranch_execz .LBB48_74
; %bb.65:
	v_cmp_ne_u64_e32 vcc, 1, v[38:39]
	s_and_saveexec_b64 s[20:21], vcc
	s_xor_b64 s[20:21], exec, s[20:21]
	s_cbranch_execz .LBB48_71
; %bb.66:
	s_mov_b64 s[22:23], 0x81
	v_cmp_gt_u64_e32 vcc, s[22:23], v[38:39]
	v_mov_b32_e32 v19, 0x7fc00000
	s_and_saveexec_b64 s[22:23], vcc
	s_cbranch_execz .LBB48_70
; %bb.67:
	s_mov_b64 s[26:27], 1
	s_mov_b64 s[24:25], 0
	v_mov_b32_e32 v20, 1.0
	v_mov_b32_e32 v19, v27
.LBB48_68:                              ; =>This Inner Loop Header: Depth=1
	s_flbit_i32_b32 s28, s27
	s_min_u32 s30, s28, 32
	s_lshl_b64 s[28:29], s[26:27], s30
	s_min_u32 s28, s28, 1
	s_or_b32 s28, s29, s28
	v_cvt_f32_u32_e32 v26, s28
	s_sub_i32 s30, 32, s30
	s_add_u32 s26, s26, 1
	s_addc_u32 s27, s27, 0
	v_ldexp_f32 v26, v26, s30
	v_cmp_eq_u64_e32 vcc, s[26:27], v[38:39]
	v_mul_f32_e32 v26, v20, v26
	s_or_b64 s[24:25], vcc, s[24:25]
	v_mov_b32_e32 v20, v19
	v_fma_f32 v19, v27, v19, -v26
	s_andn2_b64 exec, exec, s[24:25]
	s_cbranch_execnz .LBB48_68
; %bb.69:
	s_or_b64 exec, exec, s[24:25]
.LBB48_70:
	s_or_b64 exec, exec, s[22:23]
.LBB48_71:
	s_andn2_saveexec_b64 s[20:21], s[20:21]
; %bb.72:
	v_mov_b32_e32 v19, v27
; %bb.73:
	s_or_b64 exec, exec, s[20:21]
.LBB48_74:
	s_or_b64 exec, exec, s[14:15]
.LBB48_75:
	s_or_b64 exec, exec, s[6:7]
	v_lshlrev_b32_e32 v20, 16, v21
	v_trunc_f32_e32 v20, v20
	s_mov_b32 s6, 0x2f800000
	v_mul_f32_e64 v26, |v20|, s6
	v_floor_f32_e32 v26, v26
	s_mov_b32 s6, 0xcf800000
	v_cvt_u32_f32_e32 v27, v26
	v_fma_f32 v26, v26, s6, |v20|
	v_cvt_u32_f32_e32 v26, v26
	v_ashrrev_i32_e32 v20, 31, v20
	v_xor_b32_e32 v27, v27, v20
	v_xor_b32_e32 v26, v26, v20
	v_sub_co_u32_e32 v26, vcc, v26, v20
	v_subb_co_u32_e32 v27, vcc, v27, v20, vcc
	v_cmp_lt_i64_e32 vcc, -1, v[26:27]
	v_mov_b32_e32 v20, 0
	s_and_saveexec_b64 s[6:7], vcc
	s_cbranch_execz .LBB48_87
; %bb.76:
	v_cmp_lt_i64_e32 vcc, 0, v[26:27]
	v_mov_b32_e32 v20, 1.0
	s_and_saveexec_b64 s[14:15], vcc
	s_cbranch_execz .LBB48_86
; %bb.77:
	v_cmp_ne_u64_e32 vcc, 1, v[26:27]
	s_and_saveexec_b64 s[20:21], vcc
	s_xor_b64 s[20:21], exec, s[20:21]
	s_cbranch_execz .LBB48_83
; %bb.78:
	s_mov_b64 s[22:23], 0x81
	v_cmp_gt_u64_e32 vcc, s[22:23], v[26:27]
	v_mov_b32_e32 v20, 0x7fc00000
	s_and_saveexec_b64 s[22:23], vcc
	s_cbranch_execz .LBB48_82
; %bb.79:
	s_mov_b64 s[26:27], 1
	s_mov_b64 s[24:25], 0
	v_mov_b32_e32 v38, 1.0
	v_mov_b32_e32 v20, v28
.LBB48_80:                              ; =>This Inner Loop Header: Depth=1
	s_flbit_i32_b32 s28, s27
	s_min_u32 s30, s28, 32
	s_lshl_b64 s[28:29], s[26:27], s30
	s_min_u32 s28, s28, 1
	s_or_b32 s28, s29, s28
	v_cvt_f32_u32_e32 v39, s28
	s_sub_i32 s30, 32, s30
	s_add_u32 s26, s26, 1
	s_addc_u32 s27, s27, 0
	v_ldexp_f32 v39, v39, s30
	v_cmp_eq_u64_e32 vcc, s[26:27], v[26:27]
	v_mul_f32_e32 v39, v38, v39
	s_or_b64 s[24:25], vcc, s[24:25]
	v_mov_b32_e32 v38, v20
	v_fma_f32 v20, v28, v20, -v39
	s_andn2_b64 exec, exec, s[24:25]
	s_cbranch_execnz .LBB48_80
; %bb.81:
	s_or_b64 exec, exec, s[24:25]
.LBB48_82:
	s_or_b64 exec, exec, s[22:23]
.LBB48_83:
	s_andn2_saveexec_b64 s[20:21], s[20:21]
; %bb.84:
	v_mov_b32_e32 v20, v28
; %bb.85:
	s_or_b64 exec, exec, s[20:21]
.LBB48_86:
	s_or_b64 exec, exec, s[14:15]
.LBB48_87:
	s_or_b64 exec, exec, s[6:7]
	v_and_b32_e32 v21, 0xffff0000, v21
	v_trunc_f32_e32 v21, v21
	s_mov_b32 s6, 0x2f800000
	v_mul_f32_e64 v26, |v21|, s6
	v_floor_f32_e32 v26, v26
	s_mov_b32 s6, 0xcf800000
	v_fma_f32 v27, v26, s6, |v21|
	v_cvt_u32_f32_e32 v26, v26
	v_cvt_u32_f32_e32 v27, v27
	v_ashrrev_i32_e32 v21, 31, v21
	v_xor_b32_e32 v28, v26, v21
	v_xor_b32_e32 v26, v27, v21
	v_sub_co_u32_e32 v26, vcc, v26, v21
	v_subb_co_u32_e32 v27, vcc, v28, v21, vcc
	v_cmp_lt_i64_e32 vcc, -1, v[26:27]
	v_mov_b32_e32 v21, 0
	s_and_saveexec_b64 s[6:7], vcc
	s_cbranch_execz .LBB48_99
; %bb.88:
	v_cmp_lt_i64_e32 vcc, 0, v[26:27]
	v_mov_b32_e32 v21, 1.0
	s_and_saveexec_b64 s[14:15], vcc
	s_cbranch_execz .LBB48_98
; %bb.89:
	v_cmp_ne_u64_e32 vcc, 1, v[26:27]
	s_and_saveexec_b64 s[20:21], vcc
	s_xor_b64 s[20:21], exec, s[20:21]
	s_cbranch_execz .LBB48_95
; %bb.90:
	s_mov_b64 s[22:23], 0x81
	v_cmp_gt_u64_e32 vcc, s[22:23], v[26:27]
	v_mov_b32_e32 v21, 0x7fc00000
	s_and_saveexec_b64 s[22:23], vcc
	s_cbranch_execz .LBB48_94
; %bb.91:
	s_mov_b64 s[26:27], 1
	s_mov_b64 s[24:25], 0
	v_mov_b32_e32 v28, 1.0
	v_mov_b32_e32 v21, v29
.LBB48_92:                              ; =>This Inner Loop Header: Depth=1
	s_flbit_i32_b32 s28, s27
	s_min_u32 s30, s28, 32
	s_lshl_b64 s[28:29], s[26:27], s30
	s_min_u32 s28, s28, 1
	s_or_b32 s28, s29, s28
	v_cvt_f32_u32_e32 v38, s28
	s_sub_i32 s30, 32, s30
	s_add_u32 s26, s26, 1
	s_addc_u32 s27, s27, 0
	v_ldexp_f32 v38, v38, s30
	v_cmp_eq_u64_e32 vcc, s[26:27], v[26:27]
	v_mul_f32_e32 v38, v28, v38
	s_or_b64 s[24:25], vcc, s[24:25]
	v_mov_b32_e32 v28, v21
	v_fma_f32 v21, v29, v21, -v38
	s_andn2_b64 exec, exec, s[24:25]
	s_cbranch_execnz .LBB48_92
; %bb.93:
	s_or_b64 exec, exec, s[24:25]
.LBB48_94:
	s_or_b64 exec, exec, s[22:23]
                                        ; implicit-def: $vgpr29
.LBB48_95:
	s_andn2_saveexec_b64 s[20:21], s[20:21]
; %bb.96:
	v_mov_b32_e32 v21, v29
; %bb.97:
	s_or_b64 exec, exec, s[20:21]
.LBB48_98:
	s_or_b64 exec, exec, s[14:15]
.LBB48_99:
	s_or_b64 exec, exec, s[6:7]
	s_waitcnt vmcnt(2)
	v_lshlrev_b32_e32 v26, 16, v44
	v_trunc_f32_e32 v26, v26
	s_mov_b32 s6, 0x2f800000
	v_mul_f32_e64 v27, |v26|, s6
	v_floor_f32_e32 v27, v27
	s_mov_b32 s6, 0xcf800000
	v_cvt_u32_f32_e32 v28, v27
	v_fma_f32 v27, v27, s6, |v26|
	v_cvt_u32_f32_e32 v27, v27
	v_ashrrev_i32_e32 v26, 31, v26
	v_xor_b32_e32 v29, v28, v26
	v_xor_b32_e32 v27, v27, v26
	v_sub_co_u32_e32 v28, vcc, v27, v26
	v_subb_co_u32_e32 v29, vcc, v29, v26, vcc
	v_cmp_lt_i64_e32 vcc, -1, v[28:29]
	v_mov_b32_e32 v26, 0
	s_and_saveexec_b64 s[6:7], vcc
	s_cbranch_execz .LBB48_111
; %bb.100:
	v_cmp_lt_i64_e32 vcc, 0, v[28:29]
	v_mov_b32_e32 v26, 1.0
	s_and_saveexec_b64 s[14:15], vcc
	s_cbranch_execz .LBB48_110
; %bb.101:
	v_cmp_ne_u64_e32 vcc, 1, v[28:29]
                                        ; implicit-def: $vgpr26
	s_and_saveexec_b64 s[20:21], vcc
	s_xor_b64 s[20:21], exec, s[20:21]
	s_cbranch_execz .LBB48_107
; %bb.102:
	s_mov_b64 s[22:23], 0x81
	v_cmp_gt_u64_e32 vcc, s[22:23], v[28:29]
	v_mov_b32_e32 v26, 0x7fc00000
	s_and_saveexec_b64 s[22:23], vcc
	s_cbranch_execz .LBB48_106
; %bb.103:
	s_mov_b64 s[26:27], 1
	s_mov_b64 s[24:25], 0
	v_mov_b32_e32 v27, 1.0
	v_mov_b32_e32 v26, v48
.LBB48_104:                             ; =>This Inner Loop Header: Depth=1
	s_flbit_i32_b32 s28, s27
	s_min_u32 s30, s28, 32
	s_lshl_b64 s[28:29], s[26:27], s30
	s_min_u32 s28, s28, 1
	s_or_b32 s28, s29, s28
	v_cvt_f32_u32_e32 v38, s28
	s_sub_i32 s30, 32, s30
	s_add_u32 s26, s26, 1
	s_addc_u32 s27, s27, 0
	v_ldexp_f32 v38, v38, s30
	v_cmp_eq_u64_e32 vcc, s[26:27], v[28:29]
	v_mul_f32_e32 v38, v27, v38
	s_or_b64 s[24:25], vcc, s[24:25]
	v_mov_b32_e32 v27, v26
	v_fma_f32 v26, v48, v26, -v38
	s_andn2_b64 exec, exec, s[24:25]
	s_cbranch_execnz .LBB48_104
; %bb.105:
	s_or_b64 exec, exec, s[24:25]
.LBB48_106:
	s_or_b64 exec, exec, s[22:23]
.LBB48_107:
	s_andn2_saveexec_b64 s[20:21], s[20:21]
; %bb.108:
	v_mov_b32_e32 v26, v48
; %bb.109:
	s_or_b64 exec, exec, s[20:21]
.LBB48_110:
	s_or_b64 exec, exec, s[14:15]
.LBB48_111:
	s_or_b64 exec, exec, s[6:7]
	v_and_b32_e32 v27, 0xffff0000, v44
	v_trunc_f32_e32 v27, v27
	s_mov_b32 s6, 0x2f800000
	v_mul_f32_e64 v28, |v27|, s6
	v_floor_f32_e32 v28, v28
	s_mov_b32 s6, 0xcf800000
	v_fma_f32 v29, v28, s6, |v27|
	v_cvt_u32_f32_e32 v28, v28
	v_cvt_u32_f32_e32 v29, v29
	v_ashrrev_i32_e32 v27, 31, v27
	v_xor_b32_e32 v38, v28, v27
	v_xor_b32_e32 v28, v29, v27
	v_sub_co_u32_e32 v28, vcc, v28, v27
	v_subb_co_u32_e32 v29, vcc, v38, v27, vcc
	v_cmp_lt_i64_e32 vcc, -1, v[28:29]
	v_mov_b32_e32 v27, 0
	s_and_saveexec_b64 s[6:7], vcc
	s_cbranch_execz .LBB48_123
; %bb.112:
	v_cmp_lt_i64_e32 vcc, 0, v[28:29]
	v_mov_b32_e32 v27, 1.0
	s_and_saveexec_b64 s[14:15], vcc
	s_cbranch_execz .LBB48_122
; %bb.113:
	v_cmp_ne_u64_e32 vcc, 1, v[28:29]
	s_and_saveexec_b64 s[20:21], vcc
	s_xor_b64 s[20:21], exec, s[20:21]
	s_cbranch_execz .LBB48_119
; %bb.114:
	s_mov_b64 s[22:23], 0x81
	v_cmp_gt_u64_e32 vcc, s[22:23], v[28:29]
	v_mov_b32_e32 v27, 0x7fc00000
	s_and_saveexec_b64 s[22:23], vcc
	s_cbranch_execz .LBB48_118
; %bb.115:
	s_mov_b64 s[26:27], 1
	s_mov_b64 s[24:25], 0
	v_mov_b32_e32 v38, 1.0
	v_mov_b32_e32 v27, v49
.LBB48_116:                             ; =>This Inner Loop Header: Depth=1
	s_flbit_i32_b32 s28, s27
	s_min_u32 s30, s28, 32
	s_lshl_b64 s[28:29], s[26:27], s30
	s_min_u32 s28, s28, 1
	s_or_b32 s28, s29, s28
	v_cvt_f32_u32_e32 v39, s28
	s_sub_i32 s30, 32, s30
	s_add_u32 s26, s26, 1
	s_addc_u32 s27, s27, 0
	v_ldexp_f32 v39, v39, s30
	v_cmp_eq_u64_e32 vcc, s[26:27], v[28:29]
	v_mul_f32_e32 v39, v38, v39
	s_or_b64 s[24:25], vcc, s[24:25]
	v_mov_b32_e32 v38, v27
	v_fma_f32 v27, v49, v27, -v39
	s_andn2_b64 exec, exec, s[24:25]
	s_cbranch_execnz .LBB48_116
; %bb.117:
	s_or_b64 exec, exec, s[24:25]
.LBB48_118:
	s_or_b64 exec, exec, s[22:23]
.LBB48_119:
	s_andn2_saveexec_b64 s[20:21], s[20:21]
; %bb.120:
	v_mov_b32_e32 v27, v49
; %bb.121:
	s_or_b64 exec, exec, s[20:21]
.LBB48_122:
	s_or_b64 exec, exec, s[14:15]
.LBB48_123:
	s_or_b64 exec, exec, s[6:7]
	v_lshlrev_b32_e32 v28, 16, v45
	v_trunc_f32_e32 v28, v28
	s_mov_b32 s6, 0x2f800000
	v_mul_f32_e64 v29, |v28|, s6
	v_floor_f32_e32 v29, v29
	s_mov_b32 s6, 0xcf800000
	v_cvt_u32_f32_e32 v38, v29
	v_fma_f32 v29, v29, s6, |v28|
	v_cvt_u32_f32_e32 v29, v29
	v_ashrrev_i32_e32 v28, 31, v28
	v_xor_b32_e32 v39, v38, v28
	v_xor_b32_e32 v29, v29, v28
	v_sub_co_u32_e32 v38, vcc, v29, v28
	v_subb_co_u32_e32 v39, vcc, v39, v28, vcc
	v_cmp_lt_i64_e32 vcc, -1, v[38:39]
	v_mov_b32_e32 v28, 0
	s_and_saveexec_b64 s[6:7], vcc
	s_cbranch_execz .LBB48_135
; %bb.124:
	v_cmp_lt_i64_e32 vcc, 0, v[38:39]
	v_mov_b32_e32 v28, 1.0
	s_and_saveexec_b64 s[14:15], vcc
	s_cbranch_execz .LBB48_134
; %bb.125:
	v_cmp_ne_u64_e32 vcc, 1, v[38:39]
	s_and_saveexec_b64 s[20:21], vcc
	s_xor_b64 s[20:21], exec, s[20:21]
	s_cbranch_execz .LBB48_131
; %bb.126:
	s_mov_b64 s[22:23], 0x81
	v_cmp_gt_u64_e32 vcc, s[22:23], v[38:39]
	v_mov_b32_e32 v28, 0x7fc00000
	s_and_saveexec_b64 s[22:23], vcc
	s_cbranch_execz .LBB48_130
; %bb.127:
	s_mov_b64 s[26:27], 1
	s_mov_b64 s[24:25], 0
	v_mov_b32_e32 v29, 1.0
	v_mov_b32_e32 v28, v50
.LBB48_128:                             ; =>This Inner Loop Header: Depth=1
	s_flbit_i32_b32 s28, s27
	s_min_u32 s30, s28, 32
	s_lshl_b64 s[28:29], s[26:27], s30
	s_min_u32 s28, s28, 1
	s_or_b32 s28, s29, s28
	v_cvt_f32_u32_e32 v44, s28
	s_sub_i32 s30, 32, s30
	s_add_u32 s26, s26, 1
	s_addc_u32 s27, s27, 0
	v_ldexp_f32 v44, v44, s30
	v_cmp_eq_u64_e32 vcc, s[26:27], v[38:39]
	v_mul_f32_e32 v44, v29, v44
	s_or_b64 s[24:25], vcc, s[24:25]
	v_mov_b32_e32 v29, v28
	v_fma_f32 v28, v50, v28, -v44
	s_andn2_b64 exec, exec, s[24:25]
	s_cbranch_execnz .LBB48_128
; %bb.129:
	s_or_b64 exec, exec, s[24:25]
.LBB48_130:
	s_or_b64 exec, exec, s[22:23]
.LBB48_131:
	s_andn2_saveexec_b64 s[20:21], s[20:21]
; %bb.132:
	v_mov_b32_e32 v28, v50
; %bb.133:
	s_or_b64 exec, exec, s[20:21]
.LBB48_134:
	s_or_b64 exec, exec, s[14:15]
.LBB48_135:
	s_or_b64 exec, exec, s[6:7]
	v_and_b32_e32 v29, 0xffff0000, v45
	v_trunc_f32_e32 v29, v29
	s_mov_b32 s6, 0x2f800000
	v_mul_f32_e64 v38, |v29|, s6
	v_floor_f32_e32 v38, v38
	s_mov_b32 s6, 0xcf800000
	v_fma_f32 v39, v38, s6, |v29|
	v_cvt_u32_f32_e32 v38, v38
	v_cvt_u32_f32_e32 v39, v39
	v_ashrrev_i32_e32 v29, 31, v29
	v_xor_b32_e32 v44, v38, v29
	v_xor_b32_e32 v38, v39, v29
	v_sub_co_u32_e32 v38, vcc, v38, v29
	v_subb_co_u32_e32 v39, vcc, v44, v29, vcc
	v_cmp_lt_i64_e32 vcc, -1, v[38:39]
	v_mov_b32_e32 v29, 0
	s_and_saveexec_b64 s[6:7], vcc
	s_cbranch_execz .LBB48_147
; %bb.136:
	v_cmp_lt_i64_e32 vcc, 0, v[38:39]
	v_mov_b32_e32 v29, 1.0
	s_and_saveexec_b64 s[14:15], vcc
	s_cbranch_execz .LBB48_146
; %bb.137:
	v_cmp_ne_u64_e32 vcc, 1, v[38:39]
	s_and_saveexec_b64 s[20:21], vcc
	s_xor_b64 s[20:21], exec, s[20:21]
	s_cbranch_execz .LBB48_143
; %bb.138:
	s_mov_b64 s[22:23], 0x81
	v_cmp_gt_u64_e32 vcc, s[22:23], v[38:39]
	v_mov_b32_e32 v29, 0x7fc00000
	s_and_saveexec_b64 s[22:23], vcc
	s_cbranch_execz .LBB48_142
; %bb.139:
	s_mov_b64 s[26:27], 1
	s_mov_b64 s[24:25], 0
	v_mov_b32_e32 v44, 1.0
	v_mov_b32_e32 v29, v51
.LBB48_140:                             ; =>This Inner Loop Header: Depth=1
	s_flbit_i32_b32 s28, s27
	s_min_u32 s30, s28, 32
	s_lshl_b64 s[28:29], s[26:27], s30
	s_min_u32 s28, s28, 1
	s_or_b32 s28, s29, s28
	v_cvt_f32_u32_e32 v45, s28
	s_sub_i32 s30, 32, s30
	s_add_u32 s26, s26, 1
	s_addc_u32 s27, s27, 0
	v_ldexp_f32 v45, v45, s30
	v_cmp_eq_u64_e32 vcc, s[26:27], v[38:39]
	v_mul_f32_e32 v45, v44, v45
	s_or_b64 s[24:25], vcc, s[24:25]
	v_mov_b32_e32 v44, v29
	v_fma_f32 v29, v51, v29, -v45
	s_andn2_b64 exec, exec, s[24:25]
	s_cbranch_execnz .LBB48_140
; %bb.141:
	s_or_b64 exec, exec, s[24:25]
.LBB48_142:
	s_or_b64 exec, exec, s[22:23]
                                        ; implicit-def: $vgpr51
.LBB48_143:
	s_andn2_saveexec_b64 s[20:21], s[20:21]
; %bb.144:
	v_mov_b32_e32 v29, v51
; %bb.145:
	s_or_b64 exec, exec, s[20:21]
.LBB48_146:
	s_or_b64 exec, exec, s[14:15]
.LBB48_147:
	s_or_b64 exec, exec, s[6:7]
	v_lshlrev_b32_e32 v38, 16, v46
	v_trunc_f32_e32 v38, v38
	s_mov_b32 s6, 0x2f800000
	v_mul_f32_e64 v39, |v38|, s6
	v_floor_f32_e32 v39, v39
	s_mov_b32 s6, 0xcf800000
	v_cvt_u32_f32_e32 v44, v39
	v_fma_f32 v39, v39, s6, |v38|
	v_cvt_u32_f32_e32 v39, v39
	v_ashrrev_i32_e32 v38, 31, v38
	v_xor_b32_e32 v45, v44, v38
	v_xor_b32_e32 v39, v39, v38
	v_sub_co_u32_e32 v44, vcc, v39, v38
	v_subb_co_u32_e32 v45, vcc, v45, v38, vcc
	v_cmp_lt_i64_e32 vcc, -1, v[44:45]
	v_mov_b32_e32 v38, 0
	s_and_saveexec_b64 s[6:7], vcc
	s_cbranch_execz .LBB48_159
; %bb.148:
	v_cmp_lt_i64_e32 vcc, 0, v[44:45]
	v_mov_b32_e32 v38, 1.0
	s_and_saveexec_b64 s[14:15], vcc
	s_cbranch_execz .LBB48_158
; %bb.149:
	v_cmp_ne_u64_e32 vcc, 1, v[44:45]
                                        ; implicit-def: $vgpr38
	s_and_saveexec_b64 s[20:21], vcc
	s_xor_b64 s[20:21], exec, s[20:21]
	s_cbranch_execz .LBB48_155
; %bb.150:
	s_mov_b64 s[22:23], 0x81
	v_cmp_gt_u64_e32 vcc, s[22:23], v[44:45]
	v_mov_b32_e32 v38, 0x7fc00000
	s_and_saveexec_b64 s[22:23], vcc
	s_cbranch_execz .LBB48_154
; %bb.151:
	s_mov_b64 s[26:27], 1
	s_mov_b64 s[24:25], 0
	v_mov_b32_e32 v39, 1.0
	v_mov_b32_e32 v38, v40
.LBB48_152:                             ; =>This Inner Loop Header: Depth=1
	s_flbit_i32_b32 s28, s27
	s_min_u32 s30, s28, 32
	s_lshl_b64 s[28:29], s[26:27], s30
	s_min_u32 s28, s28, 1
	s_or_b32 s28, s29, s28
	v_cvt_f32_u32_e32 v48, s28
	s_sub_i32 s30, 32, s30
	s_add_u32 s26, s26, 1
	s_addc_u32 s27, s27, 0
	v_ldexp_f32 v48, v48, s30
	v_cmp_eq_u64_e32 vcc, s[26:27], v[44:45]
	v_mul_f32_e32 v48, v39, v48
	s_or_b64 s[24:25], vcc, s[24:25]
	v_mov_b32_e32 v39, v38
	v_fma_f32 v38, v40, v38, -v48
	s_andn2_b64 exec, exec, s[24:25]
	s_cbranch_execnz .LBB48_152
; %bb.153:
	s_or_b64 exec, exec, s[24:25]
.LBB48_154:
	s_or_b64 exec, exec, s[22:23]
.LBB48_155:
	s_andn2_saveexec_b64 s[20:21], s[20:21]
; %bb.156:
	v_mov_b32_e32 v38, v40
; %bb.157:
	s_or_b64 exec, exec, s[20:21]
.LBB48_158:
	s_or_b64 exec, exec, s[14:15]
.LBB48_159:
	s_or_b64 exec, exec, s[6:7]
	v_and_b32_e32 v39, 0xffff0000, v46
	v_trunc_f32_e32 v39, v39
	s_mov_b32 s6, 0x2f800000
	v_mul_f32_e64 v40, |v39|, s6
	v_floor_f32_e32 v40, v40
	s_mov_b32 s6, 0xcf800000
	v_fma_f32 v44, v40, s6, |v39|
	v_cvt_u32_f32_e32 v44, v44
	v_cvt_u32_f32_e32 v40, v40
	v_ashrrev_i32_e32 v39, 31, v39
	v_xor_b32_e32 v44, v44, v39
	v_xor_b32_e32 v40, v40, v39
	v_sub_co_u32_e32 v44, vcc, v44, v39
	v_subb_co_u32_e32 v45, vcc, v40, v39, vcc
	v_cmp_lt_i64_e32 vcc, -1, v[44:45]
	v_mov_b32_e32 v39, 0
	s_and_saveexec_b64 s[6:7], vcc
	s_cbranch_execz .LBB48_171
; %bb.160:
	v_cmp_lt_i64_e32 vcc, 0, v[44:45]
	v_mov_b32_e32 v39, 1.0
	s_and_saveexec_b64 s[14:15], vcc
	s_cbranch_execz .LBB48_170
; %bb.161:
	v_cmp_ne_u64_e32 vcc, 1, v[44:45]
	s_and_saveexec_b64 s[20:21], vcc
	s_xor_b64 s[20:21], exec, s[20:21]
	s_cbranch_execz .LBB48_167
; %bb.162:
	s_mov_b64 s[22:23], 0x81
	v_cmp_gt_u64_e32 vcc, s[22:23], v[44:45]
	v_mov_b32_e32 v39, 0x7fc00000
	s_and_saveexec_b64 s[22:23], vcc
	s_cbranch_execz .LBB48_166
; %bb.163:
	s_mov_b64 s[26:27], 1
	s_mov_b64 s[24:25], 0
	v_mov_b32_e32 v40, 1.0
	v_mov_b32_e32 v39, v41
.LBB48_164:                             ; =>This Inner Loop Header: Depth=1
	s_flbit_i32_b32 s28, s27
	s_min_u32 s30, s28, 32
	s_lshl_b64 s[28:29], s[26:27], s30
	s_min_u32 s28, s28, 1
	s_or_b32 s28, s29, s28
	v_cvt_f32_u32_e32 v46, s28
	s_sub_i32 s30, 32, s30
	s_add_u32 s26, s26, 1
	s_addc_u32 s27, s27, 0
	v_ldexp_f32 v46, v46, s30
	v_cmp_eq_u64_e32 vcc, s[26:27], v[44:45]
	v_mul_f32_e32 v46, v40, v46
	s_or_b64 s[24:25], vcc, s[24:25]
	v_mov_b32_e32 v40, v39
	v_fma_f32 v39, v41, v39, -v46
	s_andn2_b64 exec, exec, s[24:25]
	s_cbranch_execnz .LBB48_164
; %bb.165:
	s_or_b64 exec, exec, s[24:25]
.LBB48_166:
	s_or_b64 exec, exec, s[22:23]
.LBB48_167:
	s_andn2_saveexec_b64 s[20:21], s[20:21]
; %bb.168:
	v_mov_b32_e32 v39, v41
; %bb.169:
	s_or_b64 exec, exec, s[20:21]
.LBB48_170:
	s_or_b64 exec, exec, s[14:15]
.LBB48_171:
	s_or_b64 exec, exec, s[6:7]
	v_lshlrev_b32_e32 v40, 16, v47
	v_trunc_f32_e32 v40, v40
	s_mov_b32 s6, 0x2f800000
	v_mul_f32_e64 v41, |v40|, s6
	v_floor_f32_e32 v41, v41
	s_mov_b32 s6, 0xcf800000
	v_cvt_u32_f32_e32 v44, v41
	v_fma_f32 v41, v41, s6, |v40|
	v_cvt_u32_f32_e32 v41, v41
	v_ashrrev_i32_e32 v40, 31, v40
	v_xor_b32_e32 v45, v44, v40
	v_xor_b32_e32 v41, v41, v40
	v_sub_co_u32_e32 v44, vcc, v41, v40
	v_subb_co_u32_e32 v45, vcc, v45, v40, vcc
	v_cmp_lt_i64_e32 vcc, -1, v[44:45]
	v_mov_b32_e32 v40, 0
	s_and_saveexec_b64 s[6:7], vcc
	s_cbranch_execz .LBB48_183
; %bb.172:
	v_cmp_lt_i64_e32 vcc, 0, v[44:45]
	v_mov_b32_e32 v40, 1.0
	s_and_saveexec_b64 s[14:15], vcc
	s_cbranch_execz .LBB48_182
; %bb.173:
	v_cmp_ne_u64_e32 vcc, 1, v[44:45]
	s_and_saveexec_b64 s[20:21], vcc
	s_xor_b64 s[20:21], exec, s[20:21]
	s_cbranch_execz .LBB48_179
; %bb.174:
	s_mov_b64 s[22:23], 0x81
	v_cmp_gt_u64_e32 vcc, s[22:23], v[44:45]
	v_mov_b32_e32 v40, 0x7fc00000
	s_and_saveexec_b64 s[22:23], vcc
	s_cbranch_execz .LBB48_178
; %bb.175:
	s_mov_b64 s[26:27], 1
	s_mov_b64 s[24:25], 0
	v_mov_b32_e32 v41, 1.0
	v_mov_b32_e32 v40, v42
.LBB48_176:                             ; =>This Inner Loop Header: Depth=1
	s_flbit_i32_b32 s28, s27
	s_min_u32 s30, s28, 32
	s_lshl_b64 s[28:29], s[26:27], s30
	s_min_u32 s28, s28, 1
	s_or_b32 s28, s29, s28
	v_cvt_f32_u32_e32 v46, s28
	s_sub_i32 s30, 32, s30
	s_add_u32 s26, s26, 1
	s_addc_u32 s27, s27, 0
	v_ldexp_f32 v46, v46, s30
	v_cmp_eq_u64_e32 vcc, s[26:27], v[44:45]
	v_mul_f32_e32 v46, v41, v46
	s_or_b64 s[24:25], vcc, s[24:25]
	v_mov_b32_e32 v41, v40
	v_fma_f32 v40, v42, v40, -v46
	s_andn2_b64 exec, exec, s[24:25]
	s_cbranch_execnz .LBB48_176
; %bb.177:
	s_or_b64 exec, exec, s[24:25]
.LBB48_178:
	s_or_b64 exec, exec, s[22:23]
.LBB48_179:
	s_andn2_saveexec_b64 s[20:21], s[20:21]
; %bb.180:
	v_mov_b32_e32 v40, v42
; %bb.181:
	s_or_b64 exec, exec, s[20:21]
.LBB48_182:
	s_or_b64 exec, exec, s[14:15]
.LBB48_183:
	s_or_b64 exec, exec, s[6:7]
	v_and_b32_e32 v41, 0xffff0000, v47
	v_trunc_f32_e32 v41, v41
	s_mov_b32 s6, 0x2f800000
	v_mul_f32_e64 v42, |v41|, s6
	v_floor_f32_e32 v42, v42
	s_mov_b32 s6, 0xcf800000
	v_fma_f32 v44, v42, s6, |v41|
	v_cvt_u32_f32_e32 v44, v44
	v_cvt_u32_f32_e32 v42, v42
	v_ashrrev_i32_e32 v41, 31, v41
	v_xor_b32_e32 v44, v44, v41
	v_xor_b32_e32 v42, v42, v41
	v_sub_co_u32_e32 v44, vcc, v44, v41
	v_subb_co_u32_e32 v45, vcc, v42, v41, vcc
	v_cmp_lt_i64_e32 vcc, -1, v[44:45]
	v_mov_b32_e32 v41, 0
	s_and_saveexec_b64 s[6:7], vcc
	s_cbranch_execz .LBB48_195
; %bb.184:
	v_cmp_lt_i64_e32 vcc, 0, v[44:45]
	v_mov_b32_e32 v41, 1.0
	s_and_saveexec_b64 s[14:15], vcc
	s_cbranch_execz .LBB48_194
; %bb.185:
	v_cmp_ne_u64_e32 vcc, 1, v[44:45]
	s_and_saveexec_b64 s[20:21], vcc
	s_xor_b64 s[20:21], exec, s[20:21]
	s_cbranch_execz .LBB48_191
; %bb.186:
	s_mov_b64 s[22:23], 0x81
	v_cmp_gt_u64_e32 vcc, s[22:23], v[44:45]
	v_mov_b32_e32 v41, 0x7fc00000
	s_and_saveexec_b64 s[22:23], vcc
	s_cbranch_execz .LBB48_190
; %bb.187:
	s_mov_b64 s[26:27], 1
	s_mov_b64 s[24:25], 0
	v_mov_b32_e32 v42, 1.0
	v_mov_b32_e32 v41, v43
.LBB48_188:                             ; =>This Inner Loop Header: Depth=1
	s_flbit_i32_b32 s28, s27
	s_min_u32 s30, s28, 32
	s_lshl_b64 s[28:29], s[26:27], s30
	s_min_u32 s28, s28, 1
	s_or_b32 s28, s29, s28
	v_cvt_f32_u32_e32 v46, s28
	s_sub_i32 s30, 32, s30
	s_add_u32 s26, s26, 1
	s_addc_u32 s27, s27, 0
	v_ldexp_f32 v46, v46, s30
	v_cmp_eq_u64_e32 vcc, s[26:27], v[44:45]
	v_mul_f32_e32 v46, v42, v46
	s_or_b64 s[24:25], vcc, s[24:25]
	v_mov_b32_e32 v42, v41
	v_fma_f32 v41, v43, v41, -v46
	s_andn2_b64 exec, exec, s[24:25]
	s_cbranch_execnz .LBB48_188
; %bb.189:
	s_or_b64 exec, exec, s[24:25]
.LBB48_190:
	s_or_b64 exec, exec, s[22:23]
                                        ; implicit-def: $vgpr43
.LBB48_191:
	s_andn2_saveexec_b64 s[20:21], s[20:21]
; %bb.192:
	v_mov_b32_e32 v41, v43
; %bb.193:
	s_or_b64 exec, exec, s[20:21]
.LBB48_194:
	s_or_b64 exec, exec, s[14:15]
.LBB48_195:
	s_or_b64 exec, exec, s[6:7]
	s_waitcnt vmcnt(1)
	v_lshlrev_b32_e32 v42, 16, v30
	v_trunc_f32_e32 v42, v42
	s_mov_b32 s6, 0x2f800000
	v_mul_f32_e64 v43, |v42|, s6
	v_floor_f32_e32 v43, v43
	s_mov_b32 s6, 0xcf800000
	v_cvt_u32_f32_e32 v44, v43
	v_fma_f32 v43, v43, s6, |v42|
	v_cvt_u32_f32_e32 v43, v43
	v_ashrrev_i32_e32 v42, 31, v42
	v_xor_b32_e32 v45, v44, v42
	v_xor_b32_e32 v43, v43, v42
	v_sub_co_u32_e32 v44, vcc, v43, v42
	v_subb_co_u32_e32 v45, vcc, v45, v42, vcc
	v_cmp_lt_i64_e32 vcc, -1, v[44:45]
	v_mov_b32_e32 v42, 0
	s_and_saveexec_b64 s[6:7], vcc
	s_cbranch_execz .LBB48_207
; %bb.196:
	v_cmp_lt_i64_e32 vcc, 0, v[44:45]
	v_mov_b32_e32 v42, 1.0
	s_and_saveexec_b64 s[14:15], vcc
	s_cbranch_execz .LBB48_206
; %bb.197:
	v_cmp_ne_u64_e32 vcc, 1, v[44:45]
                                        ; implicit-def: $vgpr42
	s_and_saveexec_b64 s[20:21], vcc
	s_xor_b64 s[20:21], exec, s[20:21]
	s_cbranch_execz .LBB48_203
; %bb.198:
	s_mov_b64 s[22:23], 0x81
	v_cmp_gt_u64_e32 vcc, s[22:23], v[44:45]
	v_mov_b32_e32 v42, 0x7fc00000
	s_and_saveexec_b64 s[22:23], vcc
	s_cbranch_execz .LBB48_202
; %bb.199:
	s_mov_b64 s[26:27], 1
	s_mov_b64 s[24:25], 0
	v_mov_b32_e32 v43, 1.0
	v_mov_b32_e32 v42, v34
.LBB48_200:                             ; =>This Inner Loop Header: Depth=1
	s_flbit_i32_b32 s28, s27
	s_min_u32 s30, s28, 32
	s_lshl_b64 s[28:29], s[26:27], s30
	s_min_u32 s28, s28, 1
	s_or_b32 s28, s29, s28
	v_cvt_f32_u32_e32 v46, s28
	s_sub_i32 s30, 32, s30
	s_add_u32 s26, s26, 1
	s_addc_u32 s27, s27, 0
	v_ldexp_f32 v46, v46, s30
	v_cmp_eq_u64_e32 vcc, s[26:27], v[44:45]
	v_mul_f32_e32 v46, v43, v46
	s_or_b64 s[24:25], vcc, s[24:25]
	v_mov_b32_e32 v43, v42
	v_fma_f32 v42, v34, v42, -v46
	s_andn2_b64 exec, exec, s[24:25]
	s_cbranch_execnz .LBB48_200
; %bb.201:
	s_or_b64 exec, exec, s[24:25]
.LBB48_202:
	s_or_b64 exec, exec, s[22:23]
.LBB48_203:
	s_andn2_saveexec_b64 s[20:21], s[20:21]
; %bb.204:
	v_mov_b32_e32 v42, v34
; %bb.205:
	s_or_b64 exec, exec, s[20:21]
.LBB48_206:
	s_or_b64 exec, exec, s[14:15]
.LBB48_207:
	s_or_b64 exec, exec, s[6:7]
	v_and_b32_e32 v30, 0xffff0000, v30
	v_trunc_f32_e32 v30, v30
	s_mov_b32 s6, 0x2f800000
	v_mul_f32_e64 v34, |v30|, s6
	v_floor_f32_e32 v34, v34
	s_mov_b32 s6, 0xcf800000
	v_fma_f32 v43, v34, s6, |v30|
	v_cvt_u32_f32_e32 v43, v43
	v_cvt_u32_f32_e32 v34, v34
	v_ashrrev_i32_e32 v30, 31, v30
	v_xor_b32_e32 v43, v43, v30
	v_xor_b32_e32 v34, v34, v30
	v_sub_co_u32_e32 v44, vcc, v43, v30
	v_subb_co_u32_e32 v45, vcc, v34, v30, vcc
	v_cmp_lt_i64_e32 vcc, -1, v[44:45]
	v_mov_b32_e32 v43, 0
	s_and_saveexec_b64 s[6:7], vcc
	s_cbranch_execz .LBB48_219
; %bb.208:
	v_cmp_lt_i64_e32 vcc, 0, v[44:45]
	v_mov_b32_e32 v43, 1.0
	s_and_saveexec_b64 s[14:15], vcc
	s_cbranch_execz .LBB48_218
; %bb.209:
	v_cmp_ne_u64_e32 vcc, 1, v[44:45]
	s_and_saveexec_b64 s[20:21], vcc
	s_xor_b64 s[20:21], exec, s[20:21]
	s_cbranch_execz .LBB48_215
; %bb.210:
	s_mov_b64 s[22:23], 0x81
	v_cmp_gt_u64_e32 vcc, s[22:23], v[44:45]
	v_mov_b32_e32 v43, 0x7fc00000
	s_and_saveexec_b64 s[22:23], vcc
	s_cbranch_execz .LBB48_214
; %bb.211:
	s_mov_b64 s[26:27], 1
	s_mov_b64 s[24:25], 0
	v_mov_b32_e32 v30, 1.0
	v_mov_b32_e32 v43, v35
.LBB48_212:                             ; =>This Inner Loop Header: Depth=1
	s_flbit_i32_b32 s28, s27
	s_min_u32 s30, s28, 32
	s_lshl_b64 s[28:29], s[26:27], s30
	s_min_u32 s28, s28, 1
	s_or_b32 s28, s29, s28
	v_mov_b32_e32 v34, v43
	v_cvt_f32_u32_e32 v43, s28
	s_sub_i32 s30, 32, s30
	s_add_u32 s26, s26, 1
	s_addc_u32 s27, s27, 0
	v_ldexp_f32 v43, v43, s30
	v_cmp_eq_u64_e32 vcc, s[26:27], v[44:45]
	v_mul_f32_e32 v43, v30, v43
	s_or_b64 s[24:25], vcc, s[24:25]
	v_mov_b32_e32 v30, v34
	v_fma_f32 v43, v35, v34, -v43
	s_andn2_b64 exec, exec, s[24:25]
	s_cbranch_execnz .LBB48_212
; %bb.213:
	s_or_b64 exec, exec, s[24:25]
.LBB48_214:
	s_or_b64 exec, exec, s[22:23]
.LBB48_215:
	s_andn2_saveexec_b64 s[20:21], s[20:21]
; %bb.216:
	v_mov_b32_e32 v43, v35
; %bb.217:
	s_or_b64 exec, exec, s[20:21]
.LBB48_218:
	s_or_b64 exec, exec, s[14:15]
.LBB48_219:
	s_or_b64 exec, exec, s[6:7]
	v_lshlrev_b32_e32 v30, 16, v31
	v_trunc_f32_e32 v30, v30
	s_mov_b32 s6, 0x2f800000
	v_mul_f32_e64 v34, |v30|, s6
	v_floor_f32_e32 v34, v34
	s_mov_b32 s6, 0xcf800000
	v_cvt_u32_f32_e32 v35, v34
	v_fma_f32 v34, v34, s6, |v30|
	v_cvt_u32_f32_e32 v34, v34
	v_ashrrev_i32_e32 v30, 31, v30
	v_xor_b32_e32 v35, v35, v30
	v_mov_b32_e32 v44, 0
	v_xor_b32_e32 v34, v34, v30
	v_sub_co_u32_e32 v34, vcc, v34, v30
	v_subb_co_u32_e32 v35, vcc, v35, v30, vcc
	v_cmp_lt_i64_e32 vcc, -1, v[34:35]
	s_and_saveexec_b64 s[6:7], vcc
	s_cbranch_execz .LBB48_231
; %bb.220:
	v_cmp_lt_i64_e32 vcc, 0, v[34:35]
	v_mov_b32_e32 v44, 1.0
	s_and_saveexec_b64 s[14:15], vcc
	s_cbranch_execz .LBB48_230
; %bb.221:
	v_cmp_ne_u64_e32 vcc, 1, v[34:35]
	s_and_saveexec_b64 s[20:21], vcc
	s_xor_b64 s[20:21], exec, s[20:21]
	s_cbranch_execz .LBB48_227
; %bb.222:
	s_mov_b64 s[22:23], 0x81
	v_cmp_gt_u64_e32 vcc, s[22:23], v[34:35]
	v_mov_b32_e32 v44, 0x7fc00000
	s_and_saveexec_b64 s[22:23], vcc
	s_cbranch_execz .LBB48_226
; %bb.223:
	s_mov_b64 s[26:27], 1
	s_mov_b64 s[24:25], 0
	v_mov_b32_e32 v30, 1.0
	v_mov_b32_e32 v44, v36
.LBB48_224:                             ; =>This Inner Loop Header: Depth=1
	s_flbit_i32_b32 s28, s27
	s_min_u32 s30, s28, 32
	s_lshl_b64 s[28:29], s[26:27], s30
	s_min_u32 s28, s28, 1
	s_or_b32 s28, s29, s28
	v_cvt_f32_u32_e32 v45, s28
	s_sub_i32 s30, 32, s30
	s_add_u32 s26, s26, 1
	s_addc_u32 s27, s27, 0
	v_ldexp_f32 v45, v45, s30
	v_cmp_eq_u64_e32 vcc, s[26:27], v[34:35]
	v_mul_f32_e32 v45, v30, v45
	s_or_b64 s[24:25], vcc, s[24:25]
	v_mov_b32_e32 v30, v44
	v_fma_f32 v44, v36, v44, -v45
	s_andn2_b64 exec, exec, s[24:25]
	s_cbranch_execnz .LBB48_224
; %bb.225:
	s_or_b64 exec, exec, s[24:25]
.LBB48_226:
	s_or_b64 exec, exec, s[22:23]
.LBB48_227:
	s_andn2_saveexec_b64 s[20:21], s[20:21]
; %bb.228:
	v_mov_b32_e32 v44, v36
; %bb.229:
	s_or_b64 exec, exec, s[20:21]
.LBB48_230:
	s_or_b64 exec, exec, s[14:15]
.LBB48_231:
	s_or_b64 exec, exec, s[6:7]
	v_and_b32_e32 v30, 0xffff0000, v31
	v_trunc_f32_e32 v30, v30
	s_mov_b32 s6, 0x2f800000
	v_mul_f32_e64 v31, |v30|, s6
	v_floor_f32_e32 v31, v31
	s_mov_b32 s6, 0xcf800000
	v_fma_f32 v34, v31, s6, |v30|
	v_cvt_u32_f32_e32 v34, v34
	v_cvt_u32_f32_e32 v31, v31
	v_ashrrev_i32_e32 v35, 31, v30
	v_mov_b32_e32 v45, 0
	v_xor_b32_e32 v30, v34, v35
	v_xor_b32_e32 v31, v31, v35
	v_sub_co_u32_e32 v30, vcc, v30, v35
	v_subb_co_u32_e32 v31, vcc, v31, v35, vcc
	v_cmp_lt_i64_e32 vcc, -1, v[30:31]
	s_and_saveexec_b64 s[6:7], vcc
	s_cbranch_execz .LBB48_243
; %bb.232:
	v_cmp_lt_i64_e32 vcc, 0, v[30:31]
	v_mov_b32_e32 v45, 1.0
	s_and_saveexec_b64 s[14:15], vcc
	s_cbranch_execz .LBB48_242
; %bb.233:
	v_cmp_ne_u64_e32 vcc, 1, v[30:31]
	s_and_saveexec_b64 s[20:21], vcc
	s_xor_b64 s[20:21], exec, s[20:21]
	s_cbranch_execz .LBB48_239
; %bb.234:
	s_mov_b64 s[22:23], 0x81
	v_cmp_gt_u64_e32 vcc, s[22:23], v[30:31]
	v_mov_b32_e32 v45, 0x7fc00000
	s_and_saveexec_b64 s[22:23], vcc
	s_cbranch_execz .LBB48_238
; %bb.235:
	s_mov_b64 s[26:27], 1
	s_mov_b64 s[24:25], 0
	v_mov_b32_e32 v34, 1.0
	v_mov_b32_e32 v45, v37
.LBB48_236:                             ; =>This Inner Loop Header: Depth=1
	s_flbit_i32_b32 s28, s27
	s_min_u32 s30, s28, 32
	s_lshl_b64 s[28:29], s[26:27], s30
	s_min_u32 s28, s28, 1
	s_or_b32 s28, s29, s28
	v_cvt_f32_u32_e32 v36, s28
	s_sub_i32 s30, 32, s30
	s_add_u32 s26, s26, 1
	s_addc_u32 s27, s27, 0
	v_ldexp_f32 v36, v36, s30
	v_mov_b32_e32 v35, v45
	v_cmp_eq_u64_e32 vcc, s[26:27], v[30:31]
	v_mul_f32_e32 v36, v34, v36
	s_or_b64 s[24:25], vcc, s[24:25]
	v_mov_b32_e32 v34, v45
	v_fma_f32 v45, v37, v35, -v36
	s_andn2_b64 exec, exec, s[24:25]
	s_cbranch_execnz .LBB48_236
; %bb.237:
	s_or_b64 exec, exec, s[24:25]
.LBB48_238:
	s_or_b64 exec, exec, s[22:23]
                                        ; implicit-def: $vgpr37
.LBB48_239:
	s_andn2_saveexec_b64 s[20:21], s[20:21]
; %bb.240:
	v_mov_b32_e32 v45, v37
; %bb.241:
	s_or_b64 exec, exec, s[20:21]
.LBB48_242:
	s_or_b64 exec, exec, s[14:15]
.LBB48_243:
	s_or_b64 exec, exec, s[6:7]
	v_lshlrev_b32_e32 v30, 16, v32
	v_trunc_f32_e32 v30, v30
	s_mov_b32 s6, 0x2f800000
	v_mul_f32_e64 v31, |v30|, s6
	v_floor_f32_e32 v31, v31
	s_mov_b32 s6, 0xcf800000
	v_cvt_u32_f32_e32 v34, v31
	v_fma_f32 v31, v31, s6, |v30|
	v_cvt_u32_f32_e32 v31, v31
	v_ashrrev_i32_e32 v30, 31, v30
	v_xor_b32_e32 v35, v34, v30
	v_xor_b32_e32 v31, v31, v30
	v_sub_co_u32_e32 v34, vcc, v31, v30
	v_subb_co_u32_e32 v35, vcc, v35, v30, vcc
	v_cmp_lt_i64_e32 vcc, -1, v[34:35]
	v_mov_b32_e32 v30, 0
	s_and_saveexec_b64 s[6:7], vcc
	s_cbranch_execz .LBB48_255
; %bb.244:
	v_cmp_lt_i64_e32 vcc, 0, v[34:35]
	v_mov_b32_e32 v30, 1.0
	s_and_saveexec_b64 s[14:15], vcc
	s_cbranch_execz .LBB48_254
; %bb.245:
	v_cmp_ne_u64_e32 vcc, 1, v[34:35]
                                        ; implicit-def: $vgpr30
	s_and_saveexec_b64 s[20:21], vcc
	s_xor_b64 s[20:21], exec, s[20:21]
	s_cbranch_execz .LBB48_251
; %bb.246:
	s_mov_b64 s[22:23], 0x81
	v_cmp_gt_u64_e32 vcc, s[22:23], v[34:35]
	v_mov_b32_e32 v30, 0x7fc00000
	s_and_saveexec_b64 s[22:23], vcc
	s_cbranch_execz .LBB48_250
; %bb.247:
	s_mov_b64 s[26:27], 1
	s_mov_b64 s[24:25], 0
	v_mov_b32_e32 v31, 1.0
	v_mov_b32_e32 v30, v22
.LBB48_248:                             ; =>This Inner Loop Header: Depth=1
	s_flbit_i32_b32 s28, s27
	s_min_u32 s30, s28, 32
	s_lshl_b64 s[28:29], s[26:27], s30
	s_min_u32 s28, s28, 1
	s_or_b32 s28, s29, s28
	v_cvt_f32_u32_e32 v36, s28
	s_sub_i32 s30, 32, s30
	s_add_u32 s26, s26, 1
	s_addc_u32 s27, s27, 0
	v_ldexp_f32 v36, v36, s30
	v_cmp_eq_u64_e32 vcc, s[26:27], v[34:35]
	v_mul_f32_e32 v36, v31, v36
	s_or_b64 s[24:25], vcc, s[24:25]
	v_mov_b32_e32 v31, v30
	v_fma_f32 v30, v22, v30, -v36
	s_andn2_b64 exec, exec, s[24:25]
	s_cbranch_execnz .LBB48_248
; %bb.249:
	s_or_b64 exec, exec, s[24:25]
.LBB48_250:
	s_or_b64 exec, exec, s[22:23]
.LBB48_251:
	s_andn2_saveexec_b64 s[20:21], s[20:21]
; %bb.252:
	v_mov_b32_e32 v30, v22
; %bb.253:
	s_or_b64 exec, exec, s[20:21]
.LBB48_254:
	s_or_b64 exec, exec, s[14:15]
.LBB48_255:
	s_or_b64 exec, exec, s[6:7]
	v_and_b32_e32 v22, 0xffff0000, v32
	v_trunc_f32_e32 v22, v22
	s_mov_b32 s6, 0x2f800000
	v_mul_f32_e64 v31, |v22|, s6
	v_floor_f32_e32 v31, v31
	s_mov_b32 s6, 0xcf800000
	v_fma_f32 v32, v31, s6, |v22|
	v_cvt_u32_f32_e32 v32, v32
	v_cvt_u32_f32_e32 v31, v31
	v_ashrrev_i32_e32 v22, 31, v22
	v_xor_b32_e32 v32, v32, v22
	v_xor_b32_e32 v31, v31, v22
	v_sub_co_u32_e32 v34, vcc, v32, v22
	v_subb_co_u32_e32 v35, vcc, v31, v22, vcc
	v_cmp_lt_i64_e32 vcc, -1, v[34:35]
	v_mov_b32_e32 v31, 0
	s_and_saveexec_b64 s[6:7], vcc
	s_cbranch_execz .LBB48_267
; %bb.256:
	v_cmp_lt_i64_e32 vcc, 0, v[34:35]
	v_mov_b32_e32 v31, 1.0
	s_and_saveexec_b64 s[14:15], vcc
	s_cbranch_execz .LBB48_266
; %bb.257:
	v_cmp_ne_u64_e32 vcc, 1, v[34:35]
	s_and_saveexec_b64 s[20:21], vcc
	s_xor_b64 s[20:21], exec, s[20:21]
	s_cbranch_execz .LBB48_263
; %bb.258:
	s_mov_b64 s[22:23], 0x81
	v_cmp_gt_u64_e32 vcc, s[22:23], v[34:35]
	v_mov_b32_e32 v31, 0x7fc00000
	s_and_saveexec_b64 s[22:23], vcc
	s_cbranch_execz .LBB48_262
; %bb.259:
	s_mov_b64 s[26:27], 1
	s_mov_b64 s[24:25], 0
	v_mov_b32_e32 v22, 1.0
	v_mov_b32_e32 v31, v23
.LBB48_260:                             ; =>This Inner Loop Header: Depth=1
	s_flbit_i32_b32 s28, s27
	s_min_u32 s30, s28, 32
	s_lshl_b64 s[28:29], s[26:27], s30
	s_min_u32 s28, s28, 1
	s_or_b32 s28, s29, s28
	v_cvt_f32_u32_e32 v32, s28
	s_sub_i32 s30, 32, s30
	s_add_u32 s26, s26, 1
	s_addc_u32 s27, s27, 0
	v_ldexp_f32 v32, v32, s30
	v_cmp_eq_u64_e32 vcc, s[26:27], v[34:35]
	v_mul_f32_e32 v32, v22, v32
	s_or_b64 s[24:25], vcc, s[24:25]
	v_mov_b32_e32 v22, v31
	v_fma_f32 v31, v23, v31, -v32
	s_andn2_b64 exec, exec, s[24:25]
	s_cbranch_execnz .LBB48_260
; %bb.261:
	s_or_b64 exec, exec, s[24:25]
.LBB48_262:
	s_or_b64 exec, exec, s[22:23]
.LBB48_263:
	s_andn2_saveexec_b64 s[20:21], s[20:21]
; %bb.264:
	v_mov_b32_e32 v31, v23
; %bb.265:
	s_or_b64 exec, exec, s[20:21]
.LBB48_266:
	s_or_b64 exec, exec, s[14:15]
.LBB48_267:
	s_or_b64 exec, exec, s[6:7]
	v_lshlrev_b32_e32 v22, 16, v33
	v_trunc_f32_e32 v22, v22
	s_mov_b32 s6, 0x2f800000
	v_mul_f32_e64 v23, |v22|, s6
	v_floor_f32_e32 v23, v23
	s_mov_b32 s6, 0xcf800000
	v_cvt_u32_f32_e32 v32, v23
	v_fma_f32 v23, v23, s6, |v22|
	v_cvt_u32_f32_e32 v23, v23
	v_ashrrev_i32_e32 v34, 31, v22
	v_xor_b32_e32 v32, v32, v34
	v_xor_b32_e32 v22, v23, v34
	v_sub_co_u32_e32 v22, vcc, v22, v34
	v_subb_co_u32_e32 v23, vcc, v32, v34, vcc
	v_cmp_lt_i64_e32 vcc, -1, v[22:23]
	v_mov_b32_e32 v32, 0
	s_and_saveexec_b64 s[6:7], vcc
	s_cbranch_execz .LBB48_279
; %bb.268:
	v_cmp_lt_i64_e32 vcc, 0, v[22:23]
	v_mov_b32_e32 v32, 1.0
	s_and_saveexec_b64 s[14:15], vcc
	s_cbranch_execz .LBB48_278
; %bb.269:
	v_cmp_ne_u64_e32 vcc, 1, v[22:23]
	s_and_saveexec_b64 s[20:21], vcc
	s_xor_b64 s[20:21], exec, s[20:21]
	s_cbranch_execz .LBB48_275
; %bb.270:
	s_mov_b64 s[22:23], 0x81
	v_cmp_gt_u64_e32 vcc, s[22:23], v[22:23]
	v_mov_b32_e32 v32, 0x7fc00000
	s_and_saveexec_b64 s[22:23], vcc
	s_cbranch_execz .LBB48_274
; %bb.271:
	s_mov_b64 s[26:27], 1
	s_mov_b64 s[24:25], 0
	v_mov_b32_e32 v34, 1.0
	v_mov_b32_e32 v32, v24
.LBB48_272:                             ; =>This Inner Loop Header: Depth=1
	s_flbit_i32_b32 s28, s27
	s_min_u32 s30, s28, 32
	s_lshl_b64 s[28:29], s[26:27], s30
	s_min_u32 s28, s28, 1
	s_or_b32 s28, s29, s28
	v_cvt_f32_u32_e32 v35, s28
	s_sub_i32 s30, 32, s30
	s_add_u32 s26, s26, 1
	s_addc_u32 s27, s27, 0
	v_ldexp_f32 v35, v35, s30
	v_cmp_eq_u64_e32 vcc, s[26:27], v[22:23]
	v_mul_f32_e32 v35, v34, v35
	s_or_b64 s[24:25], vcc, s[24:25]
	v_mov_b32_e32 v34, v32
	v_fma_f32 v32, v24, v32, -v35
	s_andn2_b64 exec, exec, s[24:25]
	s_cbranch_execnz .LBB48_272
; %bb.273:
	s_or_b64 exec, exec, s[24:25]
.LBB48_274:
	s_or_b64 exec, exec, s[22:23]
.LBB48_275:
	s_andn2_saveexec_b64 s[20:21], s[20:21]
; %bb.276:
	v_mov_b32_e32 v32, v24
; %bb.277:
	s_or_b64 exec, exec, s[20:21]
.LBB48_278:
	s_or_b64 exec, exec, s[14:15]
.LBB48_279:
	s_or_b64 exec, exec, s[6:7]
	v_and_b32_e32 v22, 0xffff0000, v33
	v_trunc_f32_e32 v22, v22
	s_mov_b32 s6, 0x2f800000
	v_mul_f32_e64 v23, |v22|, s6
	v_floor_f32_e32 v23, v23
	s_mov_b32 s6, 0xcf800000
	v_fma_f32 v24, v23, s6, |v22|
	v_cvt_u32_f32_e32 v24, v24
	v_cvt_u32_f32_e32 v23, v23
	v_ashrrev_i32_e32 v33, 31, v22
	v_xor_b32_e32 v22, v24, v33
	v_xor_b32_e32 v23, v23, v33
	v_sub_co_u32_e32 v22, vcc, v22, v33
	v_subb_co_u32_e32 v23, vcc, v23, v33, vcc
	v_cmp_lt_i64_e32 vcc, -1, v[22:23]
	v_mov_b32_e32 v33, 0
	s_and_saveexec_b64 s[6:7], vcc
	s_cbranch_execz .LBB48_291
; %bb.280:
	v_cmp_lt_i64_e32 vcc, 0, v[22:23]
	v_mov_b32_e32 v33, 1.0
	s_and_saveexec_b64 s[14:15], vcc
	s_cbranch_execz .LBB48_290
; %bb.281:
	v_cmp_ne_u64_e32 vcc, 1, v[22:23]
	s_and_saveexec_b64 s[20:21], vcc
	s_xor_b64 s[20:21], exec, s[20:21]
	s_cbranch_execz .LBB48_287
; %bb.282:
	s_mov_b64 s[22:23], 0x81
	v_cmp_gt_u64_e32 vcc, s[22:23], v[22:23]
	v_mov_b32_e32 v33, 0x7fc00000
	s_and_saveexec_b64 s[22:23], vcc
	s_cbranch_execz .LBB48_286
; %bb.283:
	s_mov_b64 s[26:27], 1
	s_mov_b64 s[24:25], 0
	v_mov_b32_e32 v24, 1.0
	v_mov_b32_e32 v33, v25
.LBB48_284:                             ; =>This Inner Loop Header: Depth=1
	s_flbit_i32_b32 s28, s27
	s_min_u32 s30, s28, 32
	s_lshl_b64 s[28:29], s[26:27], s30
	s_min_u32 s28, s28, 1
	s_or_b32 s28, s29, s28
	v_cvt_f32_u32_e32 v34, s28
	s_sub_i32 s30, 32, s30
	s_add_u32 s26, s26, 1
	s_addc_u32 s27, s27, 0
	v_ldexp_f32 v34, v34, s30
	v_cmp_eq_u64_e32 vcc, s[26:27], v[22:23]
	v_mul_f32_e32 v34, v24, v34
	s_or_b64 s[24:25], vcc, s[24:25]
	v_mov_b32_e32 v24, v33
	v_fma_f32 v33, v25, v33, -v34
	s_andn2_b64 exec, exec, s[24:25]
	s_cbranch_execnz .LBB48_284
; %bb.285:
	s_or_b64 exec, exec, s[24:25]
.LBB48_286:
	s_or_b64 exec, exec, s[22:23]
                                        ; implicit-def: $vgpr25
.LBB48_287:
	s_andn2_saveexec_b64 s[20:21], s[20:21]
; %bb.288:
	v_mov_b32_e32 v33, v25
; %bb.289:
	s_or_b64 exec, exec, s[20:21]
.LBB48_290:
	s_or_b64 exec, exec, s[14:15]
.LBB48_291:
	s_or_b64 exec, exec, s[6:7]
	s_waitcnt vmcnt(0)
	v_lshlrev_b32_e32 v22, 16, v10
	v_trunc_f32_e32 v22, v22
	s_mov_b32 s6, 0x2f800000
	v_mul_f32_e64 v23, |v22|, s6
	v_floor_f32_e32 v23, v23
	s_mov_b32 s6, 0xcf800000
	v_cvt_u32_f32_e32 v24, v23
	v_fma_f32 v23, v23, s6, |v22|
	v_cvt_u32_f32_e32 v23, v23
	v_ashrrev_i32_e32 v22, 31, v22
	v_xor_b32_e32 v25, v24, v22
	v_xor_b32_e32 v23, v23, v22
	v_sub_co_u32_e32 v24, vcc, v23, v22
	v_subb_co_u32_e32 v25, vcc, v25, v22, vcc
	v_cmp_lt_i64_e32 vcc, -1, v[24:25]
	v_mov_b32_e32 v22, 0
	s_and_saveexec_b64 s[6:7], vcc
	s_cbranch_execz .LBB48_303
; %bb.292:
	v_cmp_lt_i64_e32 vcc, 0, v[24:25]
	v_mov_b32_e32 v22, 1.0
	s_and_saveexec_b64 s[14:15], vcc
	s_cbranch_execz .LBB48_302
; %bb.293:
	v_cmp_ne_u64_e32 vcc, 1, v[24:25]
                                        ; implicit-def: $vgpr22
	s_and_saveexec_b64 s[20:21], vcc
	s_xor_b64 s[20:21], exec, s[20:21]
	s_cbranch_execz .LBB48_299
; %bb.294:
	s_mov_b64 s[22:23], 0x81
	v_cmp_gt_u64_e32 vcc, s[22:23], v[24:25]
	v_mov_b32_e32 v22, 0x7fc00000
	s_and_saveexec_b64 s[22:23], vcc
	s_cbranch_execz .LBB48_298
; %bb.295:
	s_mov_b64 s[26:27], 1
	s_mov_b64 s[24:25], 0
	v_mov_b32_e32 v23, 1.0
	v_mov_b32_e32 v22, v14
.LBB48_296:                             ; =>This Inner Loop Header: Depth=1
	s_flbit_i32_b32 s28, s27
	s_min_u32 s30, s28, 32
	s_lshl_b64 s[28:29], s[26:27], s30
	s_min_u32 s28, s28, 1
	s_or_b32 s28, s29, s28
	v_cvt_f32_u32_e32 v34, s28
	s_sub_i32 s30, 32, s30
	s_add_u32 s26, s26, 1
	s_addc_u32 s27, s27, 0
	v_ldexp_f32 v34, v34, s30
	v_cmp_eq_u64_e32 vcc, s[26:27], v[24:25]
	v_mul_f32_e32 v34, v23, v34
	s_or_b64 s[24:25], vcc, s[24:25]
	v_mov_b32_e32 v23, v22
	v_fma_f32 v22, v14, v22, -v34
	s_andn2_b64 exec, exec, s[24:25]
	s_cbranch_execnz .LBB48_296
; %bb.297:
	s_or_b64 exec, exec, s[24:25]
.LBB48_298:
	s_or_b64 exec, exec, s[22:23]
.LBB48_299:
	s_andn2_saveexec_b64 s[20:21], s[20:21]
; %bb.300:
	v_mov_b32_e32 v22, v14
; %bb.301:
	s_or_b64 exec, exec, s[20:21]
.LBB48_302:
	s_or_b64 exec, exec, s[14:15]
.LBB48_303:
	s_or_b64 exec, exec, s[6:7]
	v_and_b32_e32 v10, 0xffff0000, v10
	v_trunc_f32_e32 v10, v10
	s_mov_b32 s6, 0x2f800000
	v_mul_f32_e64 v14, |v10|, s6
	v_floor_f32_e32 v14, v14
	s_mov_b32 s6, 0xcf800000
	v_fma_f32 v23, v14, s6, |v10|
	v_cvt_u32_f32_e32 v23, v23
	v_cvt_u32_f32_e32 v14, v14
	v_ashrrev_i32_e32 v10, 31, v10
	v_xor_b32_e32 v23, v23, v10
	v_xor_b32_e32 v14, v14, v10
	v_sub_co_u32_e32 v24, vcc, v23, v10
	v_subb_co_u32_e32 v25, vcc, v14, v10, vcc
	v_cmp_lt_i64_e32 vcc, -1, v[24:25]
	v_mov_b32_e32 v23, 0
	s_and_saveexec_b64 s[6:7], vcc
	s_cbranch_execz .LBB48_315
; %bb.304:
	v_cmp_lt_i64_e32 vcc, 0, v[24:25]
	v_mov_b32_e32 v23, 1.0
	s_and_saveexec_b64 s[14:15], vcc
	s_cbranch_execz .LBB48_314
; %bb.305:
	v_cmp_ne_u64_e32 vcc, 1, v[24:25]
	s_and_saveexec_b64 s[20:21], vcc
	s_xor_b64 s[20:21], exec, s[20:21]
	s_cbranch_execz .LBB48_311
; %bb.306:
	s_mov_b64 s[22:23], 0x81
	v_cmp_gt_u64_e32 vcc, s[22:23], v[24:25]
	v_mov_b32_e32 v23, 0x7fc00000
	s_and_saveexec_b64 s[22:23], vcc
	s_cbranch_execz .LBB48_310
; %bb.307:
	s_mov_b64 s[26:27], 1
	s_mov_b64 s[24:25], 0
	v_mov_b32_e32 v10, 1.0
	v_mov_b32_e32 v23, v15
.LBB48_308:                             ; =>This Inner Loop Header: Depth=1
	s_flbit_i32_b32 s28, s27
	s_min_u32 s30, s28, 32
	s_lshl_b64 s[28:29], s[26:27], s30
	s_min_u32 s28, s28, 1
	s_or_b32 s28, s29, s28
	v_mov_b32_e32 v14, v23
	v_cvt_f32_u32_e32 v23, s28
	s_sub_i32 s30, 32, s30
	s_add_u32 s26, s26, 1
	s_addc_u32 s27, s27, 0
	v_ldexp_f32 v23, v23, s30
	v_cmp_eq_u64_e32 vcc, s[26:27], v[24:25]
	v_mul_f32_e32 v23, v10, v23
	s_or_b64 s[24:25], vcc, s[24:25]
	v_mov_b32_e32 v10, v14
	v_fma_f32 v23, v15, v14, -v23
	s_andn2_b64 exec, exec, s[24:25]
	s_cbranch_execnz .LBB48_308
; %bb.309:
	s_or_b64 exec, exec, s[24:25]
.LBB48_310:
	s_or_b64 exec, exec, s[22:23]
.LBB48_311:
	s_andn2_saveexec_b64 s[20:21], s[20:21]
; %bb.312:
	v_mov_b32_e32 v23, v15
; %bb.313:
	s_or_b64 exec, exec, s[20:21]
.LBB48_314:
	s_or_b64 exec, exec, s[14:15]
.LBB48_315:
	s_or_b64 exec, exec, s[6:7]
	v_lshlrev_b32_e32 v10, 16, v11
	v_trunc_f32_e32 v10, v10
	s_mov_b32 s6, 0x2f800000
	v_mul_f32_e64 v14, |v10|, s6
	v_floor_f32_e32 v14, v14
	s_mov_b32 s6, 0xcf800000
	v_cvt_u32_f32_e32 v15, v14
	v_fma_f32 v14, v14, s6, |v10|
	v_cvt_u32_f32_e32 v14, v14
	v_ashrrev_i32_e32 v10, 31, v10
	v_xor_b32_e32 v15, v15, v10
	v_mov_b32_e32 v24, 0
	v_xor_b32_e32 v14, v14, v10
	v_sub_co_u32_e32 v14, vcc, v14, v10
	v_subb_co_u32_e32 v15, vcc, v15, v10, vcc
	v_cmp_lt_i64_e32 vcc, -1, v[14:15]
	s_and_saveexec_b64 s[6:7], vcc
	s_cbranch_execz .LBB48_327
; %bb.316:
	v_cmp_lt_i64_e32 vcc, 0, v[14:15]
	v_mov_b32_e32 v24, 1.0
	s_and_saveexec_b64 s[14:15], vcc
	s_cbranch_execz .LBB48_326
; %bb.317:
	v_cmp_ne_u64_e32 vcc, 1, v[14:15]
	s_and_saveexec_b64 s[20:21], vcc
	s_xor_b64 s[20:21], exec, s[20:21]
	s_cbranch_execz .LBB48_323
; %bb.318:
	s_mov_b64 s[22:23], 0x81
	v_cmp_gt_u64_e32 vcc, s[22:23], v[14:15]
	v_mov_b32_e32 v24, 0x7fc00000
	s_and_saveexec_b64 s[22:23], vcc
	s_cbranch_execz .LBB48_322
; %bb.319:
	s_mov_b64 s[26:27], 1
	s_mov_b64 s[24:25], 0
	v_mov_b32_e32 v10, 1.0
	v_mov_b32_e32 v24, v16
.LBB48_320:                             ; =>This Inner Loop Header: Depth=1
	s_flbit_i32_b32 s28, s27
	s_min_u32 s30, s28, 32
	s_lshl_b64 s[28:29], s[26:27], s30
	s_min_u32 s28, s28, 1
	s_or_b32 s28, s29, s28
	v_cvt_f32_u32_e32 v25, s28
	s_sub_i32 s30, 32, s30
	s_add_u32 s26, s26, 1
	s_addc_u32 s27, s27, 0
	v_ldexp_f32 v25, v25, s30
	v_cmp_eq_u64_e32 vcc, s[26:27], v[14:15]
	v_mul_f32_e32 v25, v10, v25
	s_or_b64 s[24:25], vcc, s[24:25]
	v_mov_b32_e32 v10, v24
	v_fma_f32 v24, v16, v24, -v25
	s_andn2_b64 exec, exec, s[24:25]
	s_cbranch_execnz .LBB48_320
; %bb.321:
	s_or_b64 exec, exec, s[24:25]
.LBB48_322:
	s_or_b64 exec, exec, s[22:23]
.LBB48_323:
	s_andn2_saveexec_b64 s[20:21], s[20:21]
; %bb.324:
	v_mov_b32_e32 v24, v16
; %bb.325:
	s_or_b64 exec, exec, s[20:21]
.LBB48_326:
	s_or_b64 exec, exec, s[14:15]
.LBB48_327:
	s_or_b64 exec, exec, s[6:7]
	v_and_b32_e32 v10, 0xffff0000, v11
	v_trunc_f32_e32 v10, v10
	s_mov_b32 s6, 0x2f800000
	v_mul_f32_e64 v11, |v10|, s6
	v_floor_f32_e32 v11, v11
	s_mov_b32 s6, 0xcf800000
	v_fma_f32 v14, v11, s6, |v10|
	v_cvt_u32_f32_e32 v14, v14
	v_cvt_u32_f32_e32 v11, v11
	v_ashrrev_i32_e32 v15, 31, v10
	v_mov_b32_e32 v25, 0
	v_xor_b32_e32 v10, v14, v15
	v_xor_b32_e32 v11, v11, v15
	v_sub_co_u32_e32 v10, vcc, v10, v15
	v_subb_co_u32_e32 v11, vcc, v11, v15, vcc
	v_cmp_lt_i64_e32 vcc, -1, v[10:11]
	s_and_saveexec_b64 s[6:7], vcc
	s_cbranch_execz .LBB48_339
; %bb.328:
	v_cmp_lt_i64_e32 vcc, 0, v[10:11]
	v_mov_b32_e32 v25, 1.0
	s_and_saveexec_b64 s[14:15], vcc
	s_cbranch_execz .LBB48_338
; %bb.329:
	v_cmp_ne_u64_e32 vcc, 1, v[10:11]
	s_and_saveexec_b64 s[20:21], vcc
	s_xor_b64 s[20:21], exec, s[20:21]
	s_cbranch_execz .LBB48_335
; %bb.330:
	s_mov_b64 s[22:23], 0x81
	v_cmp_gt_u64_e32 vcc, s[22:23], v[10:11]
	v_mov_b32_e32 v25, 0x7fc00000
	s_and_saveexec_b64 s[22:23], vcc
	s_cbranch_execz .LBB48_334
; %bb.331:
	s_mov_b64 s[26:27], 1
	s_mov_b64 s[24:25], 0
	v_mov_b32_e32 v14, 1.0
	v_mov_b32_e32 v25, v17
.LBB48_332:                             ; =>This Inner Loop Header: Depth=1
	s_flbit_i32_b32 s28, s27
	s_min_u32 s30, s28, 32
	s_lshl_b64 s[28:29], s[26:27], s30
	s_min_u32 s28, s28, 1
	s_or_b32 s28, s29, s28
	v_cvt_f32_u32_e32 v16, s28
	s_sub_i32 s30, 32, s30
	s_add_u32 s26, s26, 1
	s_addc_u32 s27, s27, 0
	v_ldexp_f32 v16, v16, s30
	v_mov_b32_e32 v15, v25
	v_cmp_eq_u64_e32 vcc, s[26:27], v[10:11]
	v_mul_f32_e32 v16, v14, v16
	s_or_b64 s[24:25], vcc, s[24:25]
	v_mov_b32_e32 v14, v25
	v_fma_f32 v25, v17, v15, -v16
	s_andn2_b64 exec, exec, s[24:25]
	s_cbranch_execnz .LBB48_332
; %bb.333:
	s_or_b64 exec, exec, s[24:25]
.LBB48_334:
	s_or_b64 exec, exec, s[22:23]
                                        ; implicit-def: $vgpr17
.LBB48_335:
	s_andn2_saveexec_b64 s[20:21], s[20:21]
; %bb.336:
	v_mov_b32_e32 v25, v17
; %bb.337:
	s_or_b64 exec, exec, s[20:21]
.LBB48_338:
	s_or_b64 exec, exec, s[14:15]
.LBB48_339:
	s_or_b64 exec, exec, s[6:7]
	v_lshlrev_b32_e32 v10, 16, v12
	v_trunc_f32_e32 v10, v10
	s_mov_b32 s6, 0x2f800000
	v_mul_f32_e64 v11, |v10|, s6
	v_floor_f32_e32 v11, v11
	s_mov_b32 s6, 0xcf800000
	v_cvt_u32_f32_e32 v14, v11
	v_fma_f32 v11, v11, s6, |v10|
	v_cvt_u32_f32_e32 v11, v11
	v_ashrrev_i32_e32 v10, 31, v10
	v_xor_b32_e32 v15, v14, v10
	v_xor_b32_e32 v11, v11, v10
	v_sub_co_u32_e32 v14, vcc, v11, v10
	v_subb_co_u32_e32 v15, vcc, v15, v10, vcc
	v_cmp_lt_i64_e32 vcc, -1, v[14:15]
	v_mov_b32_e32 v10, 0
	s_and_saveexec_b64 s[6:7], vcc
	s_cbranch_execz .LBB48_351
; %bb.340:
	v_cmp_lt_i64_e32 vcc, 0, v[14:15]
	v_mov_b32_e32 v10, 1.0
	s_and_saveexec_b64 s[14:15], vcc
	s_cbranch_execz .LBB48_350
; %bb.341:
	v_cmp_ne_u64_e32 vcc, 1, v[14:15]
                                        ; implicit-def: $vgpr10
	s_and_saveexec_b64 s[20:21], vcc
	s_xor_b64 s[20:21], exec, s[20:21]
	s_cbranch_execz .LBB48_347
; %bb.342:
	s_mov_b64 s[22:23], 0x81
	v_cmp_gt_u64_e32 vcc, s[22:23], v[14:15]
	v_mov_b32_e32 v10, 0x7fc00000
	s_and_saveexec_b64 s[22:23], vcc
	s_cbranch_execz .LBB48_346
; %bb.343:
	s_mov_b64 s[26:27], 1
	s_mov_b64 s[24:25], 0
	v_mov_b32_e32 v11, 1.0
	v_mov_b32_e32 v10, v2
.LBB48_344:                             ; =>This Inner Loop Header: Depth=1
	s_flbit_i32_b32 s28, s27
	s_min_u32 s30, s28, 32
	s_lshl_b64 s[28:29], s[26:27], s30
	s_min_u32 s28, s28, 1
	s_or_b32 s28, s29, s28
	v_cvt_f32_u32_e32 v16, s28
	s_sub_i32 s30, 32, s30
	s_add_u32 s26, s26, 1
	s_addc_u32 s27, s27, 0
	v_ldexp_f32 v16, v16, s30
	v_cmp_eq_u64_e32 vcc, s[26:27], v[14:15]
	v_mul_f32_e32 v16, v11, v16
	s_or_b64 s[24:25], vcc, s[24:25]
	v_mov_b32_e32 v11, v10
	v_fma_f32 v10, v2, v10, -v16
	s_andn2_b64 exec, exec, s[24:25]
	s_cbranch_execnz .LBB48_344
; %bb.345:
	s_or_b64 exec, exec, s[24:25]
.LBB48_346:
	s_or_b64 exec, exec, s[22:23]
.LBB48_347:
	s_andn2_saveexec_b64 s[20:21], s[20:21]
; %bb.348:
	v_mov_b32_e32 v10, v2
; %bb.349:
	s_or_b64 exec, exec, s[20:21]
.LBB48_350:
	s_or_b64 exec, exec, s[14:15]
.LBB48_351:
	s_or_b64 exec, exec, s[6:7]
	v_and_b32_e32 v2, 0xffff0000, v12
	v_trunc_f32_e32 v2, v2
	s_mov_b32 s6, 0x2f800000
	v_mul_f32_e64 v11, |v2|, s6
	v_floor_f32_e32 v11, v11
	s_mov_b32 s6, 0xcf800000
	v_fma_f32 v12, v11, s6, |v2|
	v_cvt_u32_f32_e32 v12, v12
	v_cvt_u32_f32_e32 v11, v11
	v_ashrrev_i32_e32 v2, 31, v2
	v_xor_b32_e32 v12, v12, v2
	v_xor_b32_e32 v11, v11, v2
	v_sub_co_u32_e32 v14, vcc, v12, v2
	v_subb_co_u32_e32 v15, vcc, v11, v2, vcc
	v_cmp_lt_i64_e32 vcc, -1, v[14:15]
	v_mov_b32_e32 v11, 0
	s_and_saveexec_b64 s[6:7], vcc
	s_cbranch_execz .LBB48_363
; %bb.352:
	v_cmp_lt_i64_e32 vcc, 0, v[14:15]
	v_mov_b32_e32 v11, 1.0
	s_and_saveexec_b64 s[14:15], vcc
	s_cbranch_execz .LBB48_362
; %bb.353:
	v_cmp_ne_u64_e32 vcc, 1, v[14:15]
	s_and_saveexec_b64 s[20:21], vcc
	s_xor_b64 s[20:21], exec, s[20:21]
	s_cbranch_execz .LBB48_359
; %bb.354:
	s_mov_b64 s[22:23], 0x81
	v_cmp_gt_u64_e32 vcc, s[22:23], v[14:15]
	v_mov_b32_e32 v11, 0x7fc00000
	s_and_saveexec_b64 s[22:23], vcc
	s_cbranch_execz .LBB48_358
; %bb.355:
	s_mov_b64 s[26:27], 1
	s_mov_b64 s[24:25], 0
	v_mov_b32_e32 v2, 1.0
	v_mov_b32_e32 v11, v3
.LBB48_356:                             ; =>This Inner Loop Header: Depth=1
	s_flbit_i32_b32 s28, s27
	s_min_u32 s30, s28, 32
	s_lshl_b64 s[28:29], s[26:27], s30
	s_min_u32 s28, s28, 1
	s_or_b32 s28, s29, s28
	v_cvt_f32_u32_e32 v12, s28
	s_sub_i32 s30, 32, s30
	s_add_u32 s26, s26, 1
	s_addc_u32 s27, s27, 0
	v_ldexp_f32 v12, v12, s30
	v_cmp_eq_u64_e32 vcc, s[26:27], v[14:15]
	v_mul_f32_e32 v12, v2, v12
	s_or_b64 s[24:25], vcc, s[24:25]
	v_mov_b32_e32 v2, v11
	v_fma_f32 v11, v3, v11, -v12
	s_andn2_b64 exec, exec, s[24:25]
	s_cbranch_execnz .LBB48_356
; %bb.357:
	s_or_b64 exec, exec, s[24:25]
.LBB48_358:
	s_or_b64 exec, exec, s[22:23]
.LBB48_359:
	s_andn2_saveexec_b64 s[20:21], s[20:21]
; %bb.360:
	v_mov_b32_e32 v11, v3
; %bb.361:
	s_or_b64 exec, exec, s[20:21]
.LBB48_362:
	s_or_b64 exec, exec, s[14:15]
.LBB48_363:
	s_or_b64 exec, exec, s[6:7]
	v_lshlrev_b32_e32 v2, 16, v13
	v_trunc_f32_e32 v2, v2
	s_mov_b32 s6, 0x2f800000
	v_mul_f32_e64 v3, |v2|, s6
	v_floor_f32_e32 v3, v3
	s_mov_b32 s6, 0xcf800000
	v_cvt_u32_f32_e32 v12, v3
	v_fma_f32 v3, v3, s6, |v2|
	v_cvt_u32_f32_e32 v3, v3
	v_ashrrev_i32_e32 v14, 31, v2
	v_xor_b32_e32 v12, v12, v14
	v_xor_b32_e32 v2, v3, v14
	v_sub_co_u32_e32 v2, vcc, v2, v14
	v_subb_co_u32_e32 v3, vcc, v12, v14, vcc
	v_cmp_lt_i64_e32 vcc, -1, v[2:3]
	v_mov_b32_e32 v12, 0
	s_and_saveexec_b64 s[6:7], vcc
	s_cbranch_execz .LBB48_375
; %bb.364:
	v_cmp_lt_i64_e32 vcc, 0, v[2:3]
	v_mov_b32_e32 v12, 1.0
	s_and_saveexec_b64 s[14:15], vcc
	s_cbranch_execz .LBB48_374
; %bb.365:
	v_cmp_ne_u64_e32 vcc, 1, v[2:3]
	s_and_saveexec_b64 s[20:21], vcc
	s_xor_b64 s[20:21], exec, s[20:21]
	s_cbranch_execz .LBB48_371
; %bb.366:
	s_mov_b64 s[22:23], 0x81
	v_cmp_gt_u64_e32 vcc, s[22:23], v[2:3]
	v_mov_b32_e32 v12, 0x7fc00000
	s_and_saveexec_b64 s[22:23], vcc
	s_cbranch_execz .LBB48_370
; %bb.367:
	s_mov_b64 s[26:27], 1
	s_mov_b64 s[24:25], 0
	v_mov_b32_e32 v14, 1.0
	v_mov_b32_e32 v12, v4
.LBB48_368:                             ; =>This Inner Loop Header: Depth=1
	s_flbit_i32_b32 s28, s27
	s_min_u32 s30, s28, 32
	s_lshl_b64 s[28:29], s[26:27], s30
	s_min_u32 s28, s28, 1
	s_or_b32 s28, s29, s28
	v_cvt_f32_u32_e32 v15, s28
	s_sub_i32 s30, 32, s30
	s_add_u32 s26, s26, 1
	s_addc_u32 s27, s27, 0
	v_ldexp_f32 v15, v15, s30
	v_cmp_eq_u64_e32 vcc, s[26:27], v[2:3]
	v_mul_f32_e32 v15, v14, v15
	s_or_b64 s[24:25], vcc, s[24:25]
	v_mov_b32_e32 v14, v12
	v_fma_f32 v12, v4, v12, -v15
	s_andn2_b64 exec, exec, s[24:25]
	s_cbranch_execnz .LBB48_368
; %bb.369:
	s_or_b64 exec, exec, s[24:25]
.LBB48_370:
	s_or_b64 exec, exec, s[22:23]
.LBB48_371:
	s_andn2_saveexec_b64 s[20:21], s[20:21]
; %bb.372:
	v_mov_b32_e32 v12, v4
; %bb.373:
	s_or_b64 exec, exec, s[20:21]
.LBB48_374:
	s_or_b64 exec, exec, s[14:15]
.LBB48_375:
	s_or_b64 exec, exec, s[6:7]
	v_and_b32_e32 v2, 0xffff0000, v13
	v_trunc_f32_e32 v2, v2
	s_mov_b32 s6, 0x2f800000
	v_mul_f32_e64 v3, |v2|, s6
	v_floor_f32_e32 v3, v3
	s_mov_b32 s6, 0xcf800000
	v_fma_f32 v4, v3, s6, |v2|
	v_cvt_u32_f32_e32 v4, v4
	v_cvt_u32_f32_e32 v3, v3
	v_ashrrev_i32_e32 v13, 31, v2
	v_xor_b32_e32 v2, v4, v13
	v_xor_b32_e32 v3, v3, v13
	v_sub_co_u32_e32 v2, vcc, v2, v13
	v_subb_co_u32_e32 v3, vcc, v3, v13, vcc
	v_cmp_lt_i64_e32 vcc, -1, v[2:3]
	v_mov_b32_e32 v13, 0
	s_and_saveexec_b64 s[6:7], vcc
	s_cbranch_execz .LBB48_387
; %bb.376:
	v_cmp_lt_i64_e32 vcc, 0, v[2:3]
	v_mov_b32_e32 v13, 1.0
	s_and_saveexec_b64 s[14:15], vcc
	s_cbranch_execz .LBB48_386
; %bb.377:
	v_cmp_ne_u64_e32 vcc, 1, v[2:3]
	s_and_saveexec_b64 s[20:21], vcc
	s_xor_b64 s[20:21], exec, s[20:21]
	s_cbranch_execz .LBB48_383
; %bb.378:
	s_mov_b64 s[22:23], 0x81
	v_cmp_gt_u64_e32 vcc, s[22:23], v[2:3]
	v_mov_b32_e32 v13, 0x7fc00000
	s_and_saveexec_b64 s[22:23], vcc
	s_cbranch_execz .LBB48_382
; %bb.379:
	s_mov_b64 s[26:27], 1
	s_mov_b64 s[24:25], 0
	v_mov_b32_e32 v4, 1.0
	v_mov_b32_e32 v13, v5
.LBB48_380:                             ; =>This Inner Loop Header: Depth=1
	s_flbit_i32_b32 s28, s27
	s_min_u32 s30, s28, 32
	s_lshl_b64 s[28:29], s[26:27], s30
	s_min_u32 s28, s28, 1
	s_or_b32 s28, s29, s28
	v_cvt_f32_u32_e32 v14, s28
	s_sub_i32 s30, 32, s30
	s_add_u32 s26, s26, 1
	s_addc_u32 s27, s27, 0
	v_ldexp_f32 v14, v14, s30
	v_cmp_eq_u64_e32 vcc, s[26:27], v[2:3]
	v_mul_f32_e32 v14, v4, v14
	s_or_b64 s[24:25], vcc, s[24:25]
	v_mov_b32_e32 v4, v13
	v_fma_f32 v13, v5, v13, -v14
	s_andn2_b64 exec, exec, s[24:25]
	s_cbranch_execnz .LBB48_380
; %bb.381:
	s_or_b64 exec, exec, s[24:25]
.LBB48_382:
	s_or_b64 exec, exec, s[22:23]
                                        ; implicit-def: $vgpr5
.LBB48_383:
	s_andn2_saveexec_b64 s[20:21], s[20:21]
; %bb.384:
	v_mov_b32_e32 v13, v5
; %bb.385:
	s_or_b64 exec, exec, s[20:21]
.LBB48_386:
	s_or_b64 exec, exec, s[14:15]
.LBB48_387:
	s_or_b64 exec, exec, s[6:7]
	s_add_u32 s6, s16, s8
	s_addc_u32 s7, s17, s9
	v_mov_b32_e32 v2, s7
	v_add_co_u32_e32 v4, vcc, s6, v56
	v_addc_co_u32_e32 v5, vcc, 0, v2, vcc
	v_add_co_u32_e32 v2, vcc, 0x4000, v4
	v_addc_co_u32_e32 v3, vcc, 0, v5, vcc
	global_store_dwordx4 v56, v[6:9], s[6:7]
	global_store_dwordx4 v56, v[18:21], s[6:7] offset:16
	global_store_dwordx4 v[2:3], v[26:29], off
	global_store_dwordx4 v[2:3], v[38:41], off offset:16
	global_store_dwordx4 v1, v[42:45], s[6:7]
	global_store_dwordx4 v1, v[30:33], s[6:7] offset:16
	v_add_co_u32_e32 v2, vcc, 0xc000, v4
	v_addc_co_u32_e32 v3, vcc, 0, v5, vcc
	global_store_dwordx4 v[2:3], v[22:25], off
	global_store_dwordx4 v[2:3], v[10:13], off offset:16
	s_branch .LBB48_2
.LBB48_388:
	s_load_dword s6, s[4:5], 0x24
	s_load_dwordx4 s[20:23], s[4:5], 0x28
	s_add_u32 s8, s4, 56
	s_addc_u32 s9, s5, 0
	v_mov_b32_e32 v31, v0
	s_waitcnt lgkmcnt(0)
	v_lshrrev_b16_e64 v8, 8, s6
	v_mov_b32_e32 v0, s16
	v_mov_b32_e32 v1, s17
	;; [unrolled: 1-line block ×12, first 2 shown]
	s_getpc_b64 s[4:5]
	s_add_u32 s4, s4, _ZN2at6native25elementwise_kernel_helperILb1ENS0_13BinaryFunctorIfffZZZNS0_12_GLOBAL__N_133hermite_polynomial_he_kernel_cudaERNS_18TensorIteratorBaseEENKUlvE_clEvENKUlvE0_clEvEUlffE_EENS0_6memory8policies11unroll_baseILi512ESt5arrayIPcLm3EE23TrivialOffsetCalculatorILi2EjESG_ILi1EjENSA_12LoadWithCastILi2EEENSA_13StoreWithCastILi1EEELi32ELi1EEEEEvT0_T1_@rel32@lo+4
	s_addc_u32 s5, s5, _ZN2at6native25elementwise_kernel_helperILb1ENS0_13BinaryFunctorIfffZZZNS0_12_GLOBAL__N_133hermite_polynomial_he_kernel_cudaERNS_18TensorIteratorBaseEENKUlvE_clEvENKUlvE0_clEvEUlffE_EENS0_6memory8policies11unroll_baseILi512ESt5arrayIPcLm3EE23TrivialOffsetCalculatorILi2EjESG_ILi1EjENSA_12LoadWithCastILi2EEENSA_13StoreWithCastILi1EEELi32ELi1EEEEEvT0_T1_@rel32@hi+12
	s_swappc_b64 s[30:31], s[4:5]
	s_endpgm
	.section	.rodata,"a",@progbits
	.p2align	6, 0x0
	.amdhsa_kernel _ZN2at6native39vectorized_templated_elementwise_kernelILi8ENS0_13BinaryFunctorIfffZZZNS0_12_GLOBAL__N_133hermite_polynomial_he_kernel_cudaERNS_18TensorIteratorBaseEENKUlvE_clEvENKUlvE0_clEvEUlffE_EESt5arrayIPcLm3EE23TrivialOffsetCalculatorILi2EjESD_ILi1EjENS0_6memory12LoadWithCastILi2EEENSG_13StoreWithCastILi1EEEfJfN3c108BFloat16EEEEviT0_T1_T2_T3_T4_T5_
		.amdhsa_group_segment_fixed_size 0
		.amdhsa_private_segment_fixed_size 288
		.amdhsa_kernarg_size 312
		.amdhsa_user_sgpr_count 8
		.amdhsa_user_sgpr_private_segment_buffer 1
		.amdhsa_user_sgpr_dispatch_ptr 0
		.amdhsa_user_sgpr_queue_ptr 0
		.amdhsa_user_sgpr_kernarg_segment_ptr 1
		.amdhsa_user_sgpr_dispatch_id 0
		.amdhsa_user_sgpr_flat_scratch_init 1
		.amdhsa_user_sgpr_kernarg_preload_length 0
		.amdhsa_user_sgpr_kernarg_preload_offset 0
		.amdhsa_user_sgpr_private_segment_size 0
		.amdhsa_uses_dynamic_stack 0
		.amdhsa_system_sgpr_private_segment_wavefront_offset 1
		.amdhsa_system_sgpr_workgroup_id_x 1
		.amdhsa_system_sgpr_workgroup_id_y 0
		.amdhsa_system_sgpr_workgroup_id_z 0
		.amdhsa_system_sgpr_workgroup_info 0
		.amdhsa_system_vgpr_workitem_id 0
		.amdhsa_next_free_vgpr 120
		.amdhsa_next_free_sgpr 98
		.amdhsa_accum_offset 120
		.amdhsa_reserve_vcc 1
		.amdhsa_reserve_flat_scratch 1
		.amdhsa_float_round_mode_32 0
		.amdhsa_float_round_mode_16_64 0
		.amdhsa_float_denorm_mode_32 3
		.amdhsa_float_denorm_mode_16_64 3
		.amdhsa_dx10_clamp 1
		.amdhsa_ieee_mode 1
		.amdhsa_fp16_overflow 0
		.amdhsa_tg_split 0
		.amdhsa_exception_fp_ieee_invalid_op 0
		.amdhsa_exception_fp_denorm_src 0
		.amdhsa_exception_fp_ieee_div_zero 0
		.amdhsa_exception_fp_ieee_overflow 0
		.amdhsa_exception_fp_ieee_underflow 0
		.amdhsa_exception_fp_ieee_inexact 0
		.amdhsa_exception_int_div_zero 0
	.end_amdhsa_kernel
	.section	.text._ZN2at6native39vectorized_templated_elementwise_kernelILi8ENS0_13BinaryFunctorIfffZZZNS0_12_GLOBAL__N_133hermite_polynomial_he_kernel_cudaERNS_18TensorIteratorBaseEENKUlvE_clEvENKUlvE0_clEvEUlffE_EESt5arrayIPcLm3EE23TrivialOffsetCalculatorILi2EjESD_ILi1EjENS0_6memory12LoadWithCastILi2EEENSG_13StoreWithCastILi1EEEfJfN3c108BFloat16EEEEviT0_T1_T2_T3_T4_T5_,"axG",@progbits,_ZN2at6native39vectorized_templated_elementwise_kernelILi8ENS0_13BinaryFunctorIfffZZZNS0_12_GLOBAL__N_133hermite_polynomial_he_kernel_cudaERNS_18TensorIteratorBaseEENKUlvE_clEvENKUlvE0_clEvEUlffE_EESt5arrayIPcLm3EE23TrivialOffsetCalculatorILi2EjESD_ILi1EjENS0_6memory12LoadWithCastILi2EEENSG_13StoreWithCastILi1EEEfJfN3c108BFloat16EEEEviT0_T1_T2_T3_T4_T5_,comdat
.Lfunc_end48:
	.size	_ZN2at6native39vectorized_templated_elementwise_kernelILi8ENS0_13BinaryFunctorIfffZZZNS0_12_GLOBAL__N_133hermite_polynomial_he_kernel_cudaERNS_18TensorIteratorBaseEENKUlvE_clEvENKUlvE0_clEvEUlffE_EESt5arrayIPcLm3EE23TrivialOffsetCalculatorILi2EjESD_ILi1EjENS0_6memory12LoadWithCastILi2EEENSG_13StoreWithCastILi1EEEfJfN3c108BFloat16EEEEviT0_T1_T2_T3_T4_T5_, .Lfunc_end48-_ZN2at6native39vectorized_templated_elementwise_kernelILi8ENS0_13BinaryFunctorIfffZZZNS0_12_GLOBAL__N_133hermite_polynomial_he_kernel_cudaERNS_18TensorIteratorBaseEENKUlvE_clEvENKUlvE0_clEvEUlffE_EESt5arrayIPcLm3EE23TrivialOffsetCalculatorILi2EjESD_ILi1EjENS0_6memory12LoadWithCastILi2EEENSG_13StoreWithCastILi1EEEfJfN3c108BFloat16EEEEviT0_T1_T2_T3_T4_T5_
                                        ; -- End function
	.section	.AMDGPU.csdata,"",@progbits
; Kernel info:
; codeLenInByte = 9248
; NumSgprs: 104
; NumVgprs: 120
; NumAgprs: 0
; TotalNumVgprs: 120
; ScratchSize: 288
; MemoryBound: 0
; FloatMode: 240
; IeeeMode: 1
; LDSByteSize: 0 bytes/workgroup (compile time only)
; SGPRBlocks: 12
; VGPRBlocks: 14
; NumSGPRsForWavesPerEU: 104
; NumVGPRsForWavesPerEU: 120
; AccumOffset: 120
; Occupancy: 4
; WaveLimiterHint : 0
; COMPUTE_PGM_RSRC2:SCRATCH_EN: 1
; COMPUTE_PGM_RSRC2:USER_SGPR: 8
; COMPUTE_PGM_RSRC2:TRAP_HANDLER: 0
; COMPUTE_PGM_RSRC2:TGID_X_EN: 1
; COMPUTE_PGM_RSRC2:TGID_Y_EN: 0
; COMPUTE_PGM_RSRC2:TGID_Z_EN: 0
; COMPUTE_PGM_RSRC2:TIDIG_COMP_CNT: 0
; COMPUTE_PGM_RSRC3_GFX90A:ACCUM_OFFSET: 29
; COMPUTE_PGM_RSRC3_GFX90A:TG_SPLIT: 0
	.section	.text._ZN2at6native39vectorized_templated_elementwise_kernelILi4ENS0_13BinaryFunctorIfffZZZNS0_12_GLOBAL__N_133hermite_polynomial_he_kernel_cudaERNS_18TensorIteratorBaseEENKUlvE_clEvENKUlvE0_clEvEUlffE_EESt5arrayIPcLm3EE23TrivialOffsetCalculatorILi2EjESD_ILi1EjENS0_6memory12LoadWithCastILi2EEENSG_13StoreWithCastILi1EEEfJfN3c108BFloat16EEEEviT0_T1_T2_T3_T4_T5_,"axG",@progbits,_ZN2at6native39vectorized_templated_elementwise_kernelILi4ENS0_13BinaryFunctorIfffZZZNS0_12_GLOBAL__N_133hermite_polynomial_he_kernel_cudaERNS_18TensorIteratorBaseEENKUlvE_clEvENKUlvE0_clEvEUlffE_EESt5arrayIPcLm3EE23TrivialOffsetCalculatorILi2EjESD_ILi1EjENS0_6memory12LoadWithCastILi2EEENSG_13StoreWithCastILi1EEEfJfN3c108BFloat16EEEEviT0_T1_T2_T3_T4_T5_,comdat
	.globl	_ZN2at6native39vectorized_templated_elementwise_kernelILi4ENS0_13BinaryFunctorIfffZZZNS0_12_GLOBAL__N_133hermite_polynomial_he_kernel_cudaERNS_18TensorIteratorBaseEENKUlvE_clEvENKUlvE0_clEvEUlffE_EESt5arrayIPcLm3EE23TrivialOffsetCalculatorILi2EjESD_ILi1EjENS0_6memory12LoadWithCastILi2EEENSG_13StoreWithCastILi1EEEfJfN3c108BFloat16EEEEviT0_T1_T2_T3_T4_T5_ ; -- Begin function _ZN2at6native39vectorized_templated_elementwise_kernelILi4ENS0_13BinaryFunctorIfffZZZNS0_12_GLOBAL__N_133hermite_polynomial_he_kernel_cudaERNS_18TensorIteratorBaseEENKUlvE_clEvENKUlvE0_clEvEUlffE_EESt5arrayIPcLm3EE23TrivialOffsetCalculatorILi2EjESD_ILi1EjENS0_6memory12LoadWithCastILi2EEENSG_13StoreWithCastILi1EEEfJfN3c108BFloat16EEEEviT0_T1_T2_T3_T4_T5_
	.p2align	8
	.type	_ZN2at6native39vectorized_templated_elementwise_kernelILi4ENS0_13BinaryFunctorIfffZZZNS0_12_GLOBAL__N_133hermite_polynomial_he_kernel_cudaERNS_18TensorIteratorBaseEENKUlvE_clEvENKUlvE0_clEvEUlffE_EESt5arrayIPcLm3EE23TrivialOffsetCalculatorILi2EjESD_ILi1EjENS0_6memory12LoadWithCastILi2EEENSG_13StoreWithCastILi1EEEfJfN3c108BFloat16EEEEviT0_T1_T2_T3_T4_T5_,@function
_ZN2at6native39vectorized_templated_elementwise_kernelILi4ENS0_13BinaryFunctorIfffZZZNS0_12_GLOBAL__N_133hermite_polynomial_he_kernel_cudaERNS_18TensorIteratorBaseEENKUlvE_clEvENKUlvE0_clEvEUlffE_EESt5arrayIPcLm3EE23TrivialOffsetCalculatorILi2EjESD_ILi1EjENS0_6memory12LoadWithCastILi2EEENSG_13StoreWithCastILi1EEEfJfN3c108BFloat16EEEEviT0_T1_T2_T3_T4_T5_: ; @_ZN2at6native39vectorized_templated_elementwise_kernelILi4ENS0_13BinaryFunctorIfffZZZNS0_12_GLOBAL__N_133hermite_polynomial_he_kernel_cudaERNS_18TensorIteratorBaseEENKUlvE_clEvENKUlvE0_clEvEUlffE_EESt5arrayIPcLm3EE23TrivialOffsetCalculatorILi2EjESD_ILi1EjENS0_6memory12LoadWithCastILi2EEENSG_13StoreWithCastILi1EEEfJfN3c108BFloat16EEEEviT0_T1_T2_T3_T4_T5_
; %bb.0:
	s_add_u32 flat_scratch_lo, s6, s9
	s_addc_u32 flat_scratch_hi, s7, 0
	s_add_u32 s0, s0, s9
	s_mov_b32 s12, s8
	s_load_dword s8, s[4:5], 0x38
	s_load_dwordx2 s[6:7], s[4:5], 0x18
	s_load_dword s9, s[4:5], 0x0
	s_load_dwordx4 s[16:19], s[4:5], 0x8
	s_addc_u32 s1, s1, 0
	s_not_b32 s10, s12
	s_waitcnt lgkmcnt(0)
	s_add_i32 s8, s8, s10
	s_lshl_b32 s10, s8, 14
	s_sub_i32 s13, s9, s10
	s_cmpk_gt_i32 s13, 0x3fff
	s_mov_b64 s[8:9], -1
	s_mov_b32 s32, 0
	s_cbranch_scc1 .LBB49_3
; %bb.1:
	s_and_b64 vcc, exec, s[8:9]
	s_cbranch_vccnz .LBB49_388
.LBB49_2:
	s_endpgm
.LBB49_3:
	s_ashr_i32 s11, s10, 31
	s_lshl_b64 s[8:9], s[10:11], 2
	s_add_u32 s14, s18, s8
	s_addc_u32 s15, s19, s9
	v_lshlrev_b32_e32 v55, 4, v0
	v_mov_b32_e32 v1, s15
	v_add_co_u32_e32 v4, vcc, s14, v55
	v_addc_co_u32_e32 v5, vcc, 0, v1, vcc
	v_add_co_u32_e32 v2, vcc, 0x2000, v4
	v_addc_co_u32_e32 v3, vcc, 0, v5, vcc
	global_load_dwordx4 v[14:17], v55, s[14:15]
	global_load_dwordx4 v[22:25], v[2:3], off
	v_or_b32_e32 v8, 0x400, v0
	v_add_co_u32_e32 v2, vcc, 0x6000, v4
	v_lshlrev_b32_e32 v56, 4, v8
	v_addc_co_u32_e32 v3, vcc, 0, v5, vcc
	global_load_dwordx4 v[36:39], v56, s[14:15]
	global_load_dwordx4 v[32:35], v[2:3], off
	v_add_co_u32_e32 v2, vcc, 0xa000, v4
	v_addc_co_u32_e32 v3, vcc, 0, v5, vcc
	s_lshl_b64 s[10:11], s[10:11], 1
	v_or_b32_e32 v42, 0x800, v0
	v_or_b32_e32 v43, 0xc00, v0
	v_add_co_u32_e32 v6, vcc, 0xe000, v4
	s_add_u32 s10, s6, s10
	v_lshlrev_b32_e32 v54, 4, v42
	v_lshlrev_b32_e32 v1, 4, v43
	v_addc_co_u32_e32 v7, vcc, 0, v5, vcc
	s_addc_u32 s11, s7, s11
	v_lshlrev_b32_e32 v44, 3, v0
	global_load_dwordx4 v[26:29], v54, s[14:15]
	global_load_dwordx4 v[18:21], v[2:3], off
	global_load_dwordx4 v[10:13], v1, s[14:15]
	s_nop 0
	global_load_dwordx4 v[2:5], v[6:7], off
	v_mov_b32_e32 v6, s11
	v_add_co_u32_e32 v45, vcc, s10, v44
	v_addc_co_u32_e32 v46, vcc, 0, v6, vcc
	v_add_co_u32_e32 v6, vcc, 0x1000, v45
	v_addc_co_u32_e32 v7, vcc, 0, v46, vcc
	v_add_co_u32_e32 v40, vcc, 0x3000, v45
	v_lshlrev_b32_e32 v47, 3, v8
	v_addc_co_u32_e32 v41, vcc, 0, v46, vcc
	global_load_dwordx2 v[8:9], v44, s[10:11]
	global_load_dwordx2 v[50:51], v[6:7], off
	global_load_dwordx2 v[30:31], v47, s[10:11]
	global_load_dwordx2 v[48:49], v[40:41], off
	v_add_co_u32_e32 v6, vcc, 0x5000, v45
	v_addc_co_u32_e32 v7, vcc, 0, v46, vcc
	v_lshlrev_b32_e32 v57, 3, v42
	v_add_co_u32_e32 v52, vcc, 0x7000, v45
	v_lshlrev_b32_e32 v58, 3, v43
	v_addc_co_u32_e32 v53, vcc, 0, v46, vcc
	global_load_dwordx2 v[46:47], v57, s[10:11]
	global_load_dwordx2 v[44:45], v[6:7], off
	global_load_dwordx2 v[42:43], v58, s[10:11]
	global_load_dwordx2 v[40:41], v[52:53], off
	s_mov_b32 s10, 0x2f800000
	s_mov_b32 s11, 0xcf800000
	s_waitcnt vmcnt(7)
	v_lshlrev_b32_e32 v6, 16, v8
	v_trunc_f32_e32 v6, v6
	v_mul_f32_e64 v7, |v6|, s10
	v_floor_f32_e32 v7, v7
	v_fma_f32 v52, v7, s11, |v6|
	v_cvt_u32_f32_e32 v52, v52
	v_cvt_u32_f32_e32 v7, v7
	v_ashrrev_i32_e32 v6, 31, v6
	v_xor_b32_e32 v52, v52, v6
	v_xor_b32_e32 v7, v7, v6
	v_sub_co_u32_e32 v52, vcc, v52, v6
	v_subb_co_u32_e32 v53, vcc, v7, v6, vcc
	v_cmp_lt_i64_e32 vcc, -1, v[52:53]
	v_mov_b32_e32 v6, 0
	s_and_saveexec_b64 s[10:11], vcc
	s_cbranch_execz .LBB49_15
; %bb.4:
	v_cmp_lt_i64_e32 vcc, 0, v[52:53]
	v_mov_b32_e32 v6, 1.0
	s_and_saveexec_b64 s[14:15], vcc
	s_cbranch_execz .LBB49_14
; %bb.5:
	v_cmp_ne_u64_e32 vcc, 1, v[52:53]
                                        ; implicit-def: $vgpr6
	s_and_saveexec_b64 s[20:21], vcc
	s_xor_b64 s[20:21], exec, s[20:21]
	s_cbranch_execz .LBB49_11
; %bb.6:
	s_mov_b64 s[22:23], 0x81
	v_cmp_gt_u64_e32 vcc, s[22:23], v[52:53]
	v_mov_b32_e32 v6, 0x7fc00000
	s_and_saveexec_b64 s[22:23], vcc
	s_cbranch_execz .LBB49_10
; %bb.7:
	s_mov_b64 s[26:27], 1
	s_mov_b64 s[24:25], 0
	v_mov_b32_e32 v7, 1.0
	v_mov_b32_e32 v6, v14
.LBB49_8:                               ; =>This Inner Loop Header: Depth=1
	s_flbit_i32_b32 s28, s27
	s_min_u32 s30, s28, 32
	s_lshl_b64 s[28:29], s[26:27], s30
	s_min_u32 s28, s28, 1
	s_or_b32 s28, s29, s28
	v_cvt_f32_u32_e32 v57, s28
	s_sub_i32 s30, 32, s30
	s_add_u32 s26, s26, 1
	s_addc_u32 s27, s27, 0
	v_ldexp_f32 v57, v57, s30
	v_cmp_eq_u64_e32 vcc, s[26:27], v[52:53]
	v_mul_f32_e32 v57, v7, v57
	s_or_b64 s[24:25], vcc, s[24:25]
	v_mov_b32_e32 v7, v6
	v_fma_f32 v6, v14, v6, -v57
	s_andn2_b64 exec, exec, s[24:25]
	s_cbranch_execnz .LBB49_8
; %bb.9:
	s_or_b64 exec, exec, s[24:25]
.LBB49_10:
	s_or_b64 exec, exec, s[22:23]
.LBB49_11:
	s_andn2_saveexec_b64 s[20:21], s[20:21]
; %bb.12:
	v_mov_b32_e32 v6, v14
; %bb.13:
	s_or_b64 exec, exec, s[20:21]
.LBB49_14:
	s_or_b64 exec, exec, s[14:15]
.LBB49_15:
	s_or_b64 exec, exec, s[10:11]
	v_and_b32_e32 v7, 0xffff0000, v8
	v_trunc_f32_e32 v7, v7
	s_mov_b32 s10, 0x2f800000
	v_mul_f32_e64 v8, |v7|, s10
	v_floor_f32_e32 v8, v8
	s_mov_b32 s10, 0xcf800000
	v_fma_f32 v14, v8, s10, |v7|
	v_cvt_u32_f32_e32 v14, v14
	v_cvt_u32_f32_e32 v8, v8
	v_ashrrev_i32_e32 v7, 31, v7
	v_xor_b32_e32 v14, v14, v7
	v_xor_b32_e32 v8, v8, v7
	v_sub_co_u32_e32 v52, vcc, v14, v7
	v_subb_co_u32_e32 v53, vcc, v8, v7, vcc
	v_cmp_lt_i64_e32 vcc, -1, v[52:53]
	v_mov_b32_e32 v7, 0
	s_and_saveexec_b64 s[10:11], vcc
	s_cbranch_execz .LBB49_27
; %bb.16:
	v_cmp_lt_i64_e32 vcc, 0, v[52:53]
	v_mov_b32_e32 v7, 1.0
	s_and_saveexec_b64 s[14:15], vcc
	s_cbranch_execz .LBB49_26
; %bb.17:
	v_cmp_ne_u64_e32 vcc, 1, v[52:53]
	s_and_saveexec_b64 s[20:21], vcc
	s_xor_b64 s[20:21], exec, s[20:21]
	s_cbranch_execz .LBB49_23
; %bb.18:
	s_mov_b64 s[22:23], 0x81
	v_cmp_gt_u64_e32 vcc, s[22:23], v[52:53]
	v_mov_b32_e32 v7, 0x7fc00000
	s_and_saveexec_b64 s[22:23], vcc
	s_cbranch_execz .LBB49_22
; %bb.19:
	s_mov_b64 s[26:27], 1
	s_mov_b64 s[24:25], 0
	v_mov_b32_e32 v8, 1.0
	v_mov_b32_e32 v7, v15
.LBB49_20:                              ; =>This Inner Loop Header: Depth=1
	s_flbit_i32_b32 s28, s27
	s_min_u32 s30, s28, 32
	s_lshl_b64 s[28:29], s[26:27], s30
	s_min_u32 s28, s28, 1
	s_or_b32 s28, s29, s28
	v_cvt_f32_u32_e32 v14, s28
	s_sub_i32 s30, 32, s30
	s_add_u32 s26, s26, 1
	s_addc_u32 s27, s27, 0
	v_ldexp_f32 v14, v14, s30
	v_cmp_eq_u64_e32 vcc, s[26:27], v[52:53]
	v_mul_f32_e32 v14, v8, v14
	s_or_b64 s[24:25], vcc, s[24:25]
	v_mov_b32_e32 v8, v7
	v_fma_f32 v7, v15, v7, -v14
	s_andn2_b64 exec, exec, s[24:25]
	s_cbranch_execnz .LBB49_20
; %bb.21:
	s_or_b64 exec, exec, s[24:25]
.LBB49_22:
	s_or_b64 exec, exec, s[22:23]
.LBB49_23:
	s_andn2_saveexec_b64 s[20:21], s[20:21]
; %bb.24:
	v_mov_b32_e32 v7, v15
; %bb.25:
	s_or_b64 exec, exec, s[20:21]
.LBB49_26:
	s_or_b64 exec, exec, s[14:15]
.LBB49_27:
	s_or_b64 exec, exec, s[10:11]
	v_lshlrev_b32_e32 v8, 16, v9
	v_trunc_f32_e32 v8, v8
	s_mov_b32 s10, 0x2f800000
	v_mul_f32_e64 v14, |v8|, s10
	v_floor_f32_e32 v14, v14
	s_mov_b32 s10, 0xcf800000
	v_fma_f32 v15, v14, s10, |v8|
	v_cvt_u32_f32_e32 v14, v14
	v_cvt_u32_f32_e32 v15, v15
	v_ashrrev_i32_e32 v8, 31, v8
	v_xor_b32_e32 v52, v14, v8
	v_xor_b32_e32 v14, v15, v8
	v_sub_co_u32_e32 v14, vcc, v14, v8
	v_subb_co_u32_e32 v15, vcc, v52, v8, vcc
	v_cmp_lt_i64_e32 vcc, -1, v[14:15]
	v_mov_b32_e32 v8, 0
	s_and_saveexec_b64 s[10:11], vcc
	s_cbranch_execz .LBB49_39
; %bb.28:
	v_cmp_lt_i64_e32 vcc, 0, v[14:15]
	v_mov_b32_e32 v8, 1.0
	s_and_saveexec_b64 s[14:15], vcc
	s_cbranch_execz .LBB49_38
; %bb.29:
	v_cmp_ne_u64_e32 vcc, 1, v[14:15]
	s_and_saveexec_b64 s[20:21], vcc
	s_xor_b64 s[20:21], exec, s[20:21]
	s_cbranch_execz .LBB49_35
; %bb.30:
	s_mov_b64 s[22:23], 0x81
	v_cmp_gt_u64_e32 vcc, s[22:23], v[14:15]
	v_mov_b32_e32 v8, 0x7fc00000
	s_and_saveexec_b64 s[22:23], vcc
	s_cbranch_execz .LBB49_34
; %bb.31:
	s_mov_b64 s[26:27], 1
	s_mov_b64 s[24:25], 0
	v_mov_b32_e32 v52, 1.0
	v_mov_b32_e32 v8, v16
.LBB49_32:                              ; =>This Inner Loop Header: Depth=1
	s_flbit_i32_b32 s28, s27
	s_min_u32 s30, s28, 32
	s_lshl_b64 s[28:29], s[26:27], s30
	s_min_u32 s28, s28, 1
	s_or_b32 s28, s29, s28
	v_cvt_f32_u32_e32 v53, s28
	s_sub_i32 s30, 32, s30
	s_add_u32 s26, s26, 1
	s_addc_u32 s27, s27, 0
	v_ldexp_f32 v53, v53, s30
	v_cmp_eq_u64_e32 vcc, s[26:27], v[14:15]
	v_mul_f32_e32 v53, v52, v53
	s_or_b64 s[24:25], vcc, s[24:25]
	v_mov_b32_e32 v52, v8
	v_fma_f32 v8, v16, v8, -v53
	s_andn2_b64 exec, exec, s[24:25]
	s_cbranch_execnz .LBB49_32
; %bb.33:
	s_or_b64 exec, exec, s[24:25]
.LBB49_34:
	s_or_b64 exec, exec, s[22:23]
.LBB49_35:
	s_andn2_saveexec_b64 s[20:21], s[20:21]
; %bb.36:
	v_mov_b32_e32 v8, v16
; %bb.37:
	s_or_b64 exec, exec, s[20:21]
.LBB49_38:
	s_or_b64 exec, exec, s[14:15]
.LBB49_39:
	s_or_b64 exec, exec, s[10:11]
	v_and_b32_e32 v9, 0xffff0000, v9
	v_trunc_f32_e32 v9, v9
	s_mov_b32 s10, 0x2f800000
	v_mul_f32_e64 v14, |v9|, s10
	v_floor_f32_e32 v14, v14
	s_mov_b32 s10, 0xcf800000
	v_fma_f32 v15, v14, s10, |v9|
	v_cvt_u32_f32_e32 v14, v14
	v_cvt_u32_f32_e32 v15, v15
	v_ashrrev_i32_e32 v9, 31, v9
	v_xor_b32_e32 v16, v14, v9
	v_xor_b32_e32 v14, v15, v9
	v_sub_co_u32_e32 v14, vcc, v14, v9
	v_subb_co_u32_e32 v15, vcc, v16, v9, vcc
	v_cmp_lt_i64_e32 vcc, -1, v[14:15]
	v_mov_b32_e32 v9, 0
	s_and_saveexec_b64 s[10:11], vcc
	s_cbranch_execz .LBB49_51
; %bb.40:
	v_cmp_lt_i64_e32 vcc, 0, v[14:15]
	v_mov_b32_e32 v9, 1.0
	s_and_saveexec_b64 s[14:15], vcc
	s_cbranch_execz .LBB49_50
; %bb.41:
	v_cmp_ne_u64_e32 vcc, 1, v[14:15]
	s_and_saveexec_b64 s[20:21], vcc
	s_xor_b64 s[20:21], exec, s[20:21]
	s_cbranch_execz .LBB49_47
; %bb.42:
	s_mov_b64 s[22:23], 0x81
	v_cmp_gt_u64_e32 vcc, s[22:23], v[14:15]
	v_mov_b32_e32 v9, 0x7fc00000
	s_and_saveexec_b64 s[22:23], vcc
	s_cbranch_execz .LBB49_46
; %bb.43:
	s_mov_b64 s[26:27], 1
	s_mov_b64 s[24:25], 0
	v_mov_b32_e32 v16, 1.0
	v_mov_b32_e32 v9, v17
.LBB49_44:                              ; =>This Inner Loop Header: Depth=1
	s_flbit_i32_b32 s28, s27
	s_min_u32 s30, s28, 32
	s_lshl_b64 s[28:29], s[26:27], s30
	s_min_u32 s28, s28, 1
	s_or_b32 s28, s29, s28
	v_cvt_f32_u32_e32 v52, s28
	s_sub_i32 s30, 32, s30
	s_add_u32 s26, s26, 1
	s_addc_u32 s27, s27, 0
	v_ldexp_f32 v52, v52, s30
	v_cmp_eq_u64_e32 vcc, s[26:27], v[14:15]
	v_mul_f32_e32 v52, v16, v52
	s_or_b64 s[24:25], vcc, s[24:25]
	v_mov_b32_e32 v16, v9
	v_fma_f32 v9, v17, v9, -v52
	s_andn2_b64 exec, exec, s[24:25]
	s_cbranch_execnz .LBB49_44
; %bb.45:
	s_or_b64 exec, exec, s[24:25]
.LBB49_46:
	s_or_b64 exec, exec, s[22:23]
                                        ; implicit-def: $vgpr17
.LBB49_47:
	s_andn2_saveexec_b64 s[20:21], s[20:21]
; %bb.48:
	v_mov_b32_e32 v9, v17
; %bb.49:
	s_or_b64 exec, exec, s[20:21]
.LBB49_50:
	s_or_b64 exec, exec, s[14:15]
.LBB49_51:
	s_or_b64 exec, exec, s[10:11]
	s_waitcnt vmcnt(6)
	v_lshlrev_b32_e32 v14, 16, v50
	v_trunc_f32_e32 v14, v14
	s_mov_b32 s10, 0x2f800000
	v_mul_f32_e64 v15, |v14|, s10
	v_floor_f32_e32 v15, v15
	s_mov_b32 s10, 0xcf800000
	v_fma_f32 v16, v15, s10, |v14|
	v_cvt_u32_f32_e32 v16, v16
	v_cvt_u32_f32_e32 v15, v15
	v_ashrrev_i32_e32 v14, 31, v14
	v_xor_b32_e32 v16, v16, v14
	v_xor_b32_e32 v15, v15, v14
	v_sub_co_u32_e32 v16, vcc, v16, v14
	v_subb_co_u32_e32 v17, vcc, v15, v14, vcc
	v_cmp_lt_i64_e32 vcc, -1, v[16:17]
	v_mov_b32_e32 v14, 0
	s_and_saveexec_b64 s[10:11], vcc
	s_cbranch_execz .LBB49_63
; %bb.52:
	v_cmp_lt_i64_e32 vcc, 0, v[16:17]
	v_mov_b32_e32 v14, 1.0
	s_and_saveexec_b64 s[14:15], vcc
	s_cbranch_execz .LBB49_62
; %bb.53:
	v_cmp_ne_u64_e32 vcc, 1, v[16:17]
                                        ; implicit-def: $vgpr14
	s_and_saveexec_b64 s[20:21], vcc
	s_xor_b64 s[20:21], exec, s[20:21]
	s_cbranch_execz .LBB49_59
; %bb.54:
	s_mov_b64 s[22:23], 0x81
	v_cmp_gt_u64_e32 vcc, s[22:23], v[16:17]
	v_mov_b32_e32 v14, 0x7fc00000
	s_and_saveexec_b64 s[22:23], vcc
	s_cbranch_execz .LBB49_58
; %bb.55:
	s_mov_b64 s[26:27], 1
	s_mov_b64 s[24:25], 0
	v_mov_b32_e32 v15, 1.0
	v_mov_b32_e32 v14, v22
.LBB49_56:                              ; =>This Inner Loop Header: Depth=1
	s_flbit_i32_b32 s28, s27
	s_min_u32 s30, s28, 32
	s_lshl_b64 s[28:29], s[26:27], s30
	s_min_u32 s28, s28, 1
	s_or_b32 s28, s29, s28
	v_cvt_f32_u32_e32 v52, s28
	s_sub_i32 s30, 32, s30
	s_add_u32 s26, s26, 1
	s_addc_u32 s27, s27, 0
	v_ldexp_f32 v52, v52, s30
	v_cmp_eq_u64_e32 vcc, s[26:27], v[16:17]
	v_mul_f32_e32 v52, v15, v52
	s_or_b64 s[24:25], vcc, s[24:25]
	v_mov_b32_e32 v15, v14
	v_fma_f32 v14, v22, v14, -v52
	s_andn2_b64 exec, exec, s[24:25]
	s_cbranch_execnz .LBB49_56
; %bb.57:
	s_or_b64 exec, exec, s[24:25]
.LBB49_58:
	s_or_b64 exec, exec, s[22:23]
.LBB49_59:
	s_andn2_saveexec_b64 s[20:21], s[20:21]
; %bb.60:
	v_mov_b32_e32 v14, v22
; %bb.61:
	s_or_b64 exec, exec, s[20:21]
.LBB49_62:
	s_or_b64 exec, exec, s[14:15]
.LBB49_63:
	s_or_b64 exec, exec, s[10:11]
	v_and_b32_e32 v15, 0xffff0000, v50
	v_trunc_f32_e32 v15, v15
	s_mov_b32 s10, 0x2f800000
	v_mul_f32_e64 v16, |v15|, s10
	v_floor_f32_e32 v16, v16
	s_mov_b32 s10, 0xcf800000
	v_fma_f32 v17, v16, s10, |v15|
	v_cvt_u32_f32_e32 v16, v16
	v_cvt_u32_f32_e32 v17, v17
	v_ashrrev_i32_e32 v15, 31, v15
	v_xor_b32_e32 v22, v16, v15
	v_xor_b32_e32 v16, v17, v15
	v_sub_co_u32_e32 v16, vcc, v16, v15
	v_subb_co_u32_e32 v17, vcc, v22, v15, vcc
	v_cmp_lt_i64_e32 vcc, -1, v[16:17]
	v_mov_b32_e32 v15, 0
	s_and_saveexec_b64 s[10:11], vcc
	s_cbranch_execz .LBB49_75
; %bb.64:
	v_cmp_lt_i64_e32 vcc, 0, v[16:17]
	v_mov_b32_e32 v15, 1.0
	s_and_saveexec_b64 s[14:15], vcc
	s_cbranch_execz .LBB49_74
; %bb.65:
	v_cmp_ne_u64_e32 vcc, 1, v[16:17]
	s_and_saveexec_b64 s[20:21], vcc
	s_xor_b64 s[20:21], exec, s[20:21]
	s_cbranch_execz .LBB49_71
; %bb.66:
	s_mov_b64 s[22:23], 0x81
	v_cmp_gt_u64_e32 vcc, s[22:23], v[16:17]
	v_mov_b32_e32 v15, 0x7fc00000
	s_and_saveexec_b64 s[22:23], vcc
	s_cbranch_execz .LBB49_70
; %bb.67:
	s_mov_b64 s[26:27], 1
	s_mov_b64 s[24:25], 0
	v_mov_b32_e32 v22, 1.0
	v_mov_b32_e32 v15, v23
.LBB49_68:                              ; =>This Inner Loop Header: Depth=1
	s_flbit_i32_b32 s28, s27
	s_min_u32 s30, s28, 32
	s_lshl_b64 s[28:29], s[26:27], s30
	s_min_u32 s28, s28, 1
	s_or_b32 s28, s29, s28
	v_cvt_f32_u32_e32 v50, s28
	s_sub_i32 s30, 32, s30
	s_add_u32 s26, s26, 1
	s_addc_u32 s27, s27, 0
	v_ldexp_f32 v50, v50, s30
	v_cmp_eq_u64_e32 vcc, s[26:27], v[16:17]
	v_mul_f32_e32 v50, v22, v50
	s_or_b64 s[24:25], vcc, s[24:25]
	v_mov_b32_e32 v22, v15
	v_fma_f32 v15, v23, v15, -v50
	s_andn2_b64 exec, exec, s[24:25]
	s_cbranch_execnz .LBB49_68
; %bb.69:
	s_or_b64 exec, exec, s[24:25]
.LBB49_70:
	s_or_b64 exec, exec, s[22:23]
.LBB49_71:
	s_andn2_saveexec_b64 s[20:21], s[20:21]
; %bb.72:
	v_mov_b32_e32 v15, v23
; %bb.73:
	s_or_b64 exec, exec, s[20:21]
.LBB49_74:
	s_or_b64 exec, exec, s[14:15]
.LBB49_75:
	s_or_b64 exec, exec, s[10:11]
	v_lshlrev_b32_e32 v16, 16, v51
	v_trunc_f32_e32 v16, v16
	s_mov_b32 s10, 0x2f800000
	v_mul_f32_e64 v17, |v16|, s10
	v_floor_f32_e32 v17, v17
	s_mov_b32 s10, 0xcf800000
	v_fma_f32 v22, v17, s10, |v16|
	v_cvt_u32_f32_e32 v22, v22
	v_cvt_u32_f32_e32 v17, v17
	v_ashrrev_i32_e32 v16, 31, v16
	v_xor_b32_e32 v22, v22, v16
	v_xor_b32_e32 v17, v17, v16
	v_sub_co_u32_e32 v22, vcc, v22, v16
	v_subb_co_u32_e32 v23, vcc, v17, v16, vcc
	v_cmp_lt_i64_e32 vcc, -1, v[22:23]
	v_mov_b32_e32 v16, 0
	s_and_saveexec_b64 s[10:11], vcc
	s_cbranch_execz .LBB49_87
; %bb.76:
	v_cmp_lt_i64_e32 vcc, 0, v[22:23]
	v_mov_b32_e32 v16, 1.0
	s_and_saveexec_b64 s[14:15], vcc
	s_cbranch_execz .LBB49_86
; %bb.77:
	v_cmp_ne_u64_e32 vcc, 1, v[22:23]
	s_and_saveexec_b64 s[20:21], vcc
	s_xor_b64 s[20:21], exec, s[20:21]
	s_cbranch_execz .LBB49_83
; %bb.78:
	s_mov_b64 s[22:23], 0x81
	v_cmp_gt_u64_e32 vcc, s[22:23], v[22:23]
	v_mov_b32_e32 v16, 0x7fc00000
	s_and_saveexec_b64 s[22:23], vcc
	s_cbranch_execz .LBB49_82
; %bb.79:
	s_mov_b64 s[26:27], 1
	s_mov_b64 s[24:25], 0
	v_mov_b32_e32 v17, 1.0
	v_mov_b32_e32 v16, v24
.LBB49_80:                              ; =>This Inner Loop Header: Depth=1
	s_flbit_i32_b32 s28, s27
	s_min_u32 s30, s28, 32
	s_lshl_b64 s[28:29], s[26:27], s30
	s_min_u32 s28, s28, 1
	s_or_b32 s28, s29, s28
	v_cvt_f32_u32_e32 v50, s28
	s_sub_i32 s30, 32, s30
	s_add_u32 s26, s26, 1
	s_addc_u32 s27, s27, 0
	v_ldexp_f32 v50, v50, s30
	v_cmp_eq_u64_e32 vcc, s[26:27], v[22:23]
	v_mul_f32_e32 v50, v17, v50
	s_or_b64 s[24:25], vcc, s[24:25]
	v_mov_b32_e32 v17, v16
	v_fma_f32 v16, v24, v16, -v50
	s_andn2_b64 exec, exec, s[24:25]
	s_cbranch_execnz .LBB49_80
; %bb.81:
	s_or_b64 exec, exec, s[24:25]
.LBB49_82:
	s_or_b64 exec, exec, s[22:23]
.LBB49_83:
	s_andn2_saveexec_b64 s[20:21], s[20:21]
; %bb.84:
	v_mov_b32_e32 v16, v24
; %bb.85:
	s_or_b64 exec, exec, s[20:21]
.LBB49_86:
	s_or_b64 exec, exec, s[14:15]
.LBB49_87:
	s_or_b64 exec, exec, s[10:11]
	v_and_b32_e32 v17, 0xffff0000, v51
	v_trunc_f32_e32 v17, v17
	s_mov_b32 s10, 0x2f800000
	v_mul_f32_e64 v22, |v17|, s10
	v_floor_f32_e32 v22, v22
	s_mov_b32 s10, 0xcf800000
	v_fma_f32 v23, v22, s10, |v17|
	v_cvt_u32_f32_e32 v22, v22
	v_cvt_u32_f32_e32 v23, v23
	v_ashrrev_i32_e32 v17, 31, v17
	v_xor_b32_e32 v24, v22, v17
	v_xor_b32_e32 v22, v23, v17
	v_sub_co_u32_e32 v22, vcc, v22, v17
	v_subb_co_u32_e32 v23, vcc, v24, v17, vcc
	v_cmp_lt_i64_e32 vcc, -1, v[22:23]
	v_mov_b32_e32 v17, 0
	s_and_saveexec_b64 s[10:11], vcc
	s_cbranch_execz .LBB49_99
; %bb.88:
	v_cmp_lt_i64_e32 vcc, 0, v[22:23]
	v_mov_b32_e32 v17, 1.0
	s_and_saveexec_b64 s[14:15], vcc
	s_cbranch_execz .LBB49_98
; %bb.89:
	v_cmp_ne_u64_e32 vcc, 1, v[22:23]
	s_and_saveexec_b64 s[20:21], vcc
	s_xor_b64 s[20:21], exec, s[20:21]
	s_cbranch_execz .LBB49_95
; %bb.90:
	s_mov_b64 s[22:23], 0x81
	v_cmp_gt_u64_e32 vcc, s[22:23], v[22:23]
	v_mov_b32_e32 v17, 0x7fc00000
	s_and_saveexec_b64 s[22:23], vcc
	s_cbranch_execz .LBB49_94
; %bb.91:
	s_mov_b64 s[26:27], 1
	s_mov_b64 s[24:25], 0
	v_mov_b32_e32 v24, 1.0
	v_mov_b32_e32 v17, v25
.LBB49_92:                              ; =>This Inner Loop Header: Depth=1
	s_flbit_i32_b32 s28, s27
	s_min_u32 s30, s28, 32
	s_lshl_b64 s[28:29], s[26:27], s30
	s_min_u32 s28, s28, 1
	s_or_b32 s28, s29, s28
	v_cvt_f32_u32_e32 v50, s28
	s_sub_i32 s30, 32, s30
	s_add_u32 s26, s26, 1
	s_addc_u32 s27, s27, 0
	v_ldexp_f32 v50, v50, s30
	v_cmp_eq_u64_e32 vcc, s[26:27], v[22:23]
	v_mul_f32_e32 v50, v24, v50
	s_or_b64 s[24:25], vcc, s[24:25]
	v_mov_b32_e32 v24, v17
	v_fma_f32 v17, v25, v17, -v50
	s_andn2_b64 exec, exec, s[24:25]
	s_cbranch_execnz .LBB49_92
; %bb.93:
	s_or_b64 exec, exec, s[24:25]
.LBB49_94:
	s_or_b64 exec, exec, s[22:23]
                                        ; implicit-def: $vgpr25
.LBB49_95:
	s_andn2_saveexec_b64 s[20:21], s[20:21]
; %bb.96:
	v_mov_b32_e32 v17, v25
; %bb.97:
	s_or_b64 exec, exec, s[20:21]
.LBB49_98:
	s_or_b64 exec, exec, s[14:15]
.LBB49_99:
	s_or_b64 exec, exec, s[10:11]
	s_waitcnt vmcnt(5)
	v_lshlrev_b32_e32 v22, 16, v30
	v_trunc_f32_e32 v22, v22
	s_mov_b32 s10, 0x2f800000
	v_mul_f32_e64 v23, |v22|, s10
	v_floor_f32_e32 v23, v23
	s_mov_b32 s10, 0xcf800000
	v_fma_f32 v24, v23, s10, |v22|
	v_cvt_u32_f32_e32 v24, v24
	v_cvt_u32_f32_e32 v23, v23
	v_ashrrev_i32_e32 v22, 31, v22
	v_xor_b32_e32 v24, v24, v22
	v_xor_b32_e32 v23, v23, v22
	v_sub_co_u32_e32 v24, vcc, v24, v22
	v_subb_co_u32_e32 v25, vcc, v23, v22, vcc
	v_cmp_lt_i64_e32 vcc, -1, v[24:25]
	v_mov_b32_e32 v22, 0
	s_and_saveexec_b64 s[10:11], vcc
	s_cbranch_execz .LBB49_111
; %bb.100:
	v_cmp_lt_i64_e32 vcc, 0, v[24:25]
	v_mov_b32_e32 v22, 1.0
	s_and_saveexec_b64 s[14:15], vcc
	s_cbranch_execz .LBB49_110
; %bb.101:
	v_cmp_ne_u64_e32 vcc, 1, v[24:25]
                                        ; implicit-def: $vgpr22
	s_and_saveexec_b64 s[20:21], vcc
	s_xor_b64 s[20:21], exec, s[20:21]
	s_cbranch_execz .LBB49_107
; %bb.102:
	s_mov_b64 s[22:23], 0x81
	v_cmp_gt_u64_e32 vcc, s[22:23], v[24:25]
	v_mov_b32_e32 v22, 0x7fc00000
	s_and_saveexec_b64 s[22:23], vcc
	s_cbranch_execz .LBB49_106
; %bb.103:
	s_mov_b64 s[26:27], 1
	s_mov_b64 s[24:25], 0
	v_mov_b32_e32 v23, 1.0
	v_mov_b32_e32 v22, v36
.LBB49_104:                             ; =>This Inner Loop Header: Depth=1
	s_flbit_i32_b32 s28, s27
	s_min_u32 s30, s28, 32
	s_lshl_b64 s[28:29], s[26:27], s30
	s_min_u32 s28, s28, 1
	s_or_b32 s28, s29, s28
	v_cvt_f32_u32_e32 v50, s28
	s_sub_i32 s30, 32, s30
	s_add_u32 s26, s26, 1
	s_addc_u32 s27, s27, 0
	v_ldexp_f32 v50, v50, s30
	v_cmp_eq_u64_e32 vcc, s[26:27], v[24:25]
	v_mul_f32_e32 v50, v23, v50
	s_or_b64 s[24:25], vcc, s[24:25]
	v_mov_b32_e32 v23, v22
	v_fma_f32 v22, v36, v22, -v50
	s_andn2_b64 exec, exec, s[24:25]
	s_cbranch_execnz .LBB49_104
; %bb.105:
	s_or_b64 exec, exec, s[24:25]
.LBB49_106:
	s_or_b64 exec, exec, s[22:23]
.LBB49_107:
	s_andn2_saveexec_b64 s[20:21], s[20:21]
; %bb.108:
	v_mov_b32_e32 v22, v36
; %bb.109:
	s_or_b64 exec, exec, s[20:21]
.LBB49_110:
	s_or_b64 exec, exec, s[14:15]
.LBB49_111:
	s_or_b64 exec, exec, s[10:11]
	v_and_b32_e32 v23, 0xffff0000, v30
	v_trunc_f32_e32 v23, v23
	s_mov_b32 s10, 0x2f800000
	v_mul_f32_e64 v24, |v23|, s10
	v_floor_f32_e32 v24, v24
	s_mov_b32 s10, 0xcf800000
	v_fma_f32 v25, v24, s10, |v23|
	v_cvt_u32_f32_e32 v24, v24
	v_cvt_u32_f32_e32 v25, v25
	v_ashrrev_i32_e32 v23, 31, v23
	v_xor_b32_e32 v30, v24, v23
	v_xor_b32_e32 v24, v25, v23
	v_sub_co_u32_e32 v24, vcc, v24, v23
	v_subb_co_u32_e32 v25, vcc, v30, v23, vcc
	v_cmp_lt_i64_e32 vcc, -1, v[24:25]
	v_mov_b32_e32 v23, 0
	s_and_saveexec_b64 s[10:11], vcc
	s_cbranch_execz .LBB49_123
; %bb.112:
	v_cmp_lt_i64_e32 vcc, 0, v[24:25]
	v_mov_b32_e32 v23, 1.0
	s_and_saveexec_b64 s[14:15], vcc
	s_cbranch_execz .LBB49_122
; %bb.113:
	v_cmp_ne_u64_e32 vcc, 1, v[24:25]
	s_and_saveexec_b64 s[20:21], vcc
	s_xor_b64 s[20:21], exec, s[20:21]
	s_cbranch_execz .LBB49_119
; %bb.114:
	s_mov_b64 s[22:23], 0x81
	v_cmp_gt_u64_e32 vcc, s[22:23], v[24:25]
	v_mov_b32_e32 v23, 0x7fc00000
	s_and_saveexec_b64 s[22:23], vcc
	s_cbranch_execz .LBB49_118
; %bb.115:
	s_mov_b64 s[26:27], 1
	s_mov_b64 s[24:25], 0
	v_mov_b32_e32 v30, 1.0
	v_mov_b32_e32 v23, v37
.LBB49_116:                             ; =>This Inner Loop Header: Depth=1
	s_flbit_i32_b32 s28, s27
	s_min_u32 s30, s28, 32
	s_lshl_b64 s[28:29], s[26:27], s30
	s_min_u32 s28, s28, 1
	s_or_b32 s28, s29, s28
	v_cvt_f32_u32_e32 v36, s28
	s_sub_i32 s30, 32, s30
	s_add_u32 s26, s26, 1
	s_addc_u32 s27, s27, 0
	v_ldexp_f32 v36, v36, s30
	v_cmp_eq_u64_e32 vcc, s[26:27], v[24:25]
	v_mul_f32_e32 v36, v30, v36
	s_or_b64 s[24:25], vcc, s[24:25]
	v_mov_b32_e32 v30, v23
	v_fma_f32 v23, v37, v23, -v36
	s_andn2_b64 exec, exec, s[24:25]
	s_cbranch_execnz .LBB49_116
; %bb.117:
	s_or_b64 exec, exec, s[24:25]
.LBB49_118:
	s_or_b64 exec, exec, s[22:23]
.LBB49_119:
	s_andn2_saveexec_b64 s[20:21], s[20:21]
; %bb.120:
	v_mov_b32_e32 v23, v37
; %bb.121:
	s_or_b64 exec, exec, s[20:21]
.LBB49_122:
	s_or_b64 exec, exec, s[14:15]
.LBB49_123:
	s_or_b64 exec, exec, s[10:11]
	v_lshlrev_b32_e32 v24, 16, v31
	v_trunc_f32_e32 v24, v24
	s_mov_b32 s10, 0x2f800000
	v_mul_f32_e64 v25, |v24|, s10
	v_floor_f32_e32 v25, v25
	s_mov_b32 s10, 0xcf800000
	v_fma_f32 v30, v25, s10, |v24|
	v_cvt_u32_f32_e32 v30, v30
	v_cvt_u32_f32_e32 v25, v25
	v_ashrrev_i32_e32 v24, 31, v24
	v_xor_b32_e32 v30, v30, v24
	v_xor_b32_e32 v25, v25, v24
	v_sub_co_u32_e32 v36, vcc, v30, v24
	v_subb_co_u32_e32 v37, vcc, v25, v24, vcc
	v_cmp_lt_i64_e32 vcc, -1, v[36:37]
	v_mov_b32_e32 v24, 0
	s_and_saveexec_b64 s[10:11], vcc
	s_cbranch_execz .LBB49_135
; %bb.124:
	v_cmp_lt_i64_e32 vcc, 0, v[36:37]
	v_mov_b32_e32 v24, 1.0
	s_and_saveexec_b64 s[14:15], vcc
	s_cbranch_execz .LBB49_134
; %bb.125:
	v_cmp_ne_u64_e32 vcc, 1, v[36:37]
	s_and_saveexec_b64 s[20:21], vcc
	s_xor_b64 s[20:21], exec, s[20:21]
	s_cbranch_execz .LBB49_131
; %bb.126:
	s_mov_b64 s[22:23], 0x81
	v_cmp_gt_u64_e32 vcc, s[22:23], v[36:37]
	v_mov_b32_e32 v24, 0x7fc00000
	s_and_saveexec_b64 s[22:23], vcc
	s_cbranch_execz .LBB49_130
; %bb.127:
	s_mov_b64 s[26:27], 1
	s_mov_b64 s[24:25], 0
	v_mov_b32_e32 v25, 1.0
	v_mov_b32_e32 v24, v38
.LBB49_128:                             ; =>This Inner Loop Header: Depth=1
	s_flbit_i32_b32 s28, s27
	s_min_u32 s30, s28, 32
	s_lshl_b64 s[28:29], s[26:27], s30
	s_min_u32 s28, s28, 1
	s_or_b32 s28, s29, s28
	v_cvt_f32_u32_e32 v30, s28
	s_sub_i32 s30, 32, s30
	s_add_u32 s26, s26, 1
	s_addc_u32 s27, s27, 0
	v_ldexp_f32 v30, v30, s30
	v_cmp_eq_u64_e32 vcc, s[26:27], v[36:37]
	v_mul_f32_e32 v30, v25, v30
	s_or_b64 s[24:25], vcc, s[24:25]
	v_mov_b32_e32 v25, v24
	v_fma_f32 v24, v38, v24, -v30
	s_andn2_b64 exec, exec, s[24:25]
	s_cbranch_execnz .LBB49_128
; %bb.129:
	s_or_b64 exec, exec, s[24:25]
.LBB49_130:
	s_or_b64 exec, exec, s[22:23]
.LBB49_131:
	s_andn2_saveexec_b64 s[20:21], s[20:21]
; %bb.132:
	v_mov_b32_e32 v24, v38
; %bb.133:
	s_or_b64 exec, exec, s[20:21]
.LBB49_134:
	s_or_b64 exec, exec, s[14:15]
.LBB49_135:
	s_or_b64 exec, exec, s[10:11]
	v_and_b32_e32 v25, 0xffff0000, v31
	v_trunc_f32_e32 v25, v25
	s_mov_b32 s10, 0x2f800000
	v_mul_f32_e64 v30, |v25|, s10
	v_floor_f32_e32 v30, v30
	s_mov_b32 s10, 0xcf800000
	v_fma_f32 v31, v30, s10, |v25|
	v_cvt_u32_f32_e32 v30, v30
	v_cvt_u32_f32_e32 v31, v31
	v_ashrrev_i32_e32 v25, 31, v25
	v_xor_b32_e32 v36, v30, v25
	v_xor_b32_e32 v30, v31, v25
	v_sub_co_u32_e32 v30, vcc, v30, v25
	v_subb_co_u32_e32 v31, vcc, v36, v25, vcc
	v_cmp_lt_i64_e32 vcc, -1, v[30:31]
	v_mov_b32_e32 v25, 0
	s_and_saveexec_b64 s[10:11], vcc
	s_cbranch_execz .LBB49_147
; %bb.136:
	v_cmp_lt_i64_e32 vcc, 0, v[30:31]
	v_mov_b32_e32 v25, 1.0
	s_and_saveexec_b64 s[14:15], vcc
	s_cbranch_execz .LBB49_146
; %bb.137:
	v_cmp_ne_u64_e32 vcc, 1, v[30:31]
	s_and_saveexec_b64 s[20:21], vcc
	s_xor_b64 s[20:21], exec, s[20:21]
	s_cbranch_execz .LBB49_143
; %bb.138:
	s_mov_b64 s[22:23], 0x81
	v_cmp_gt_u64_e32 vcc, s[22:23], v[30:31]
	v_mov_b32_e32 v25, 0x7fc00000
	s_and_saveexec_b64 s[22:23], vcc
	s_cbranch_execz .LBB49_142
; %bb.139:
	s_mov_b64 s[26:27], 1
	s_mov_b64 s[24:25], 0
	v_mov_b32_e32 v36, 1.0
	v_mov_b32_e32 v25, v39
.LBB49_140:                             ; =>This Inner Loop Header: Depth=1
	s_flbit_i32_b32 s28, s27
	s_min_u32 s30, s28, 32
	s_lshl_b64 s[28:29], s[26:27], s30
	s_min_u32 s28, s28, 1
	s_or_b32 s28, s29, s28
	v_cvt_f32_u32_e32 v37, s28
	s_sub_i32 s30, 32, s30
	s_add_u32 s26, s26, 1
	s_addc_u32 s27, s27, 0
	v_ldexp_f32 v37, v37, s30
	v_cmp_eq_u64_e32 vcc, s[26:27], v[30:31]
	v_mul_f32_e32 v37, v36, v37
	s_or_b64 s[24:25], vcc, s[24:25]
	v_mov_b32_e32 v36, v25
	v_fma_f32 v25, v39, v25, -v37
	s_andn2_b64 exec, exec, s[24:25]
	s_cbranch_execnz .LBB49_140
; %bb.141:
	s_or_b64 exec, exec, s[24:25]
.LBB49_142:
	s_or_b64 exec, exec, s[22:23]
                                        ; implicit-def: $vgpr39
.LBB49_143:
	s_andn2_saveexec_b64 s[20:21], s[20:21]
; %bb.144:
	v_mov_b32_e32 v25, v39
; %bb.145:
	s_or_b64 exec, exec, s[20:21]
.LBB49_146:
	s_or_b64 exec, exec, s[14:15]
.LBB49_147:
	s_or_b64 exec, exec, s[10:11]
	s_waitcnt vmcnt(4)
	v_lshlrev_b32_e32 v30, 16, v48
	v_trunc_f32_e32 v30, v30
	s_mov_b32 s10, 0x2f800000
	v_mul_f32_e64 v31, |v30|, s10
	v_floor_f32_e32 v31, v31
	s_mov_b32 s10, 0xcf800000
	v_fma_f32 v36, v31, s10, |v30|
	v_cvt_u32_f32_e32 v36, v36
	v_cvt_u32_f32_e32 v31, v31
	v_ashrrev_i32_e32 v30, 31, v30
	v_xor_b32_e32 v36, v36, v30
	v_xor_b32_e32 v31, v31, v30
	v_sub_co_u32_e32 v36, vcc, v36, v30
	v_subb_co_u32_e32 v37, vcc, v31, v30, vcc
	v_cmp_lt_i64_e32 vcc, -1, v[36:37]
	v_mov_b32_e32 v30, 0
	s_and_saveexec_b64 s[10:11], vcc
	s_cbranch_execz .LBB49_159
; %bb.148:
	v_cmp_lt_i64_e32 vcc, 0, v[36:37]
	v_mov_b32_e32 v30, 1.0
	s_and_saveexec_b64 s[14:15], vcc
	s_cbranch_execz .LBB49_158
; %bb.149:
	v_cmp_ne_u64_e32 vcc, 1, v[36:37]
                                        ; implicit-def: $vgpr30
	s_and_saveexec_b64 s[20:21], vcc
	s_xor_b64 s[20:21], exec, s[20:21]
	s_cbranch_execz .LBB49_155
; %bb.150:
	s_mov_b64 s[22:23], 0x81
	v_cmp_gt_u64_e32 vcc, s[22:23], v[36:37]
	v_mov_b32_e32 v30, 0x7fc00000
	s_and_saveexec_b64 s[22:23], vcc
	s_cbranch_execz .LBB49_154
; %bb.151:
	s_mov_b64 s[26:27], 1
	s_mov_b64 s[24:25], 0
	v_mov_b32_e32 v31, 1.0
	v_mov_b32_e32 v30, v32
.LBB49_152:                             ; =>This Inner Loop Header: Depth=1
	s_flbit_i32_b32 s28, s27
	s_min_u32 s30, s28, 32
	s_lshl_b64 s[28:29], s[26:27], s30
	s_min_u32 s28, s28, 1
	s_or_b32 s28, s29, s28
	v_cvt_f32_u32_e32 v38, s28
	s_sub_i32 s30, 32, s30
	s_add_u32 s26, s26, 1
	s_addc_u32 s27, s27, 0
	v_ldexp_f32 v38, v38, s30
	v_cmp_eq_u64_e32 vcc, s[26:27], v[36:37]
	v_mul_f32_e32 v38, v31, v38
	s_or_b64 s[24:25], vcc, s[24:25]
	v_mov_b32_e32 v31, v30
	v_fma_f32 v30, v32, v30, -v38
	s_andn2_b64 exec, exec, s[24:25]
	s_cbranch_execnz .LBB49_152
; %bb.153:
	s_or_b64 exec, exec, s[24:25]
.LBB49_154:
	s_or_b64 exec, exec, s[22:23]
.LBB49_155:
	s_andn2_saveexec_b64 s[20:21], s[20:21]
; %bb.156:
	v_mov_b32_e32 v30, v32
; %bb.157:
	s_or_b64 exec, exec, s[20:21]
.LBB49_158:
	s_or_b64 exec, exec, s[14:15]
.LBB49_159:
	s_or_b64 exec, exec, s[10:11]
	v_and_b32_e32 v31, 0xffff0000, v48
	v_trunc_f32_e32 v31, v31
	s_mov_b32 s10, 0x2f800000
	v_mul_f32_e64 v32, |v31|, s10
	v_floor_f32_e32 v32, v32
	s_mov_b32 s10, 0xcf800000
	v_fma_f32 v36, v32, s10, |v31|
	v_cvt_u32_f32_e32 v36, v36
	v_cvt_u32_f32_e32 v32, v32
	v_ashrrev_i32_e32 v31, 31, v31
	v_xor_b32_e32 v36, v36, v31
	v_xor_b32_e32 v32, v32, v31
	v_sub_co_u32_e32 v36, vcc, v36, v31
	v_subb_co_u32_e32 v37, vcc, v32, v31, vcc
	v_cmp_lt_i64_e32 vcc, -1, v[36:37]
	v_mov_b32_e32 v31, 0
	s_and_saveexec_b64 s[10:11], vcc
	s_cbranch_execz .LBB49_171
; %bb.160:
	v_cmp_lt_i64_e32 vcc, 0, v[36:37]
	v_mov_b32_e32 v31, 1.0
	s_and_saveexec_b64 s[14:15], vcc
	s_cbranch_execz .LBB49_170
; %bb.161:
	v_cmp_ne_u64_e32 vcc, 1, v[36:37]
	s_and_saveexec_b64 s[20:21], vcc
	s_xor_b64 s[20:21], exec, s[20:21]
	s_cbranch_execz .LBB49_167
; %bb.162:
	s_mov_b64 s[22:23], 0x81
	v_cmp_gt_u64_e32 vcc, s[22:23], v[36:37]
	v_mov_b32_e32 v31, 0x7fc00000
	s_and_saveexec_b64 s[22:23], vcc
	s_cbranch_execz .LBB49_166
; %bb.163:
	s_mov_b64 s[26:27], 1
	s_mov_b64 s[24:25], 0
	v_mov_b32_e32 v32, 1.0
	v_mov_b32_e32 v31, v33
.LBB49_164:                             ; =>This Inner Loop Header: Depth=1
	s_flbit_i32_b32 s28, s27
	s_min_u32 s30, s28, 32
	s_lshl_b64 s[28:29], s[26:27], s30
	s_min_u32 s28, s28, 1
	s_or_b32 s28, s29, s28
	v_cvt_f32_u32_e32 v38, s28
	s_sub_i32 s30, 32, s30
	s_add_u32 s26, s26, 1
	s_addc_u32 s27, s27, 0
	v_ldexp_f32 v38, v38, s30
	v_cmp_eq_u64_e32 vcc, s[26:27], v[36:37]
	v_mul_f32_e32 v38, v32, v38
	s_or_b64 s[24:25], vcc, s[24:25]
	v_mov_b32_e32 v32, v31
	v_fma_f32 v31, v33, v31, -v38
	s_andn2_b64 exec, exec, s[24:25]
	s_cbranch_execnz .LBB49_164
; %bb.165:
	s_or_b64 exec, exec, s[24:25]
.LBB49_166:
	s_or_b64 exec, exec, s[22:23]
.LBB49_167:
	s_andn2_saveexec_b64 s[20:21], s[20:21]
; %bb.168:
	v_mov_b32_e32 v31, v33
; %bb.169:
	s_or_b64 exec, exec, s[20:21]
.LBB49_170:
	s_or_b64 exec, exec, s[14:15]
.LBB49_171:
	s_or_b64 exec, exec, s[10:11]
	v_lshlrev_b32_e32 v32, 16, v49
	v_trunc_f32_e32 v32, v32
	s_mov_b32 s10, 0x2f800000
	v_mul_f32_e64 v33, |v32|, s10
	v_floor_f32_e32 v33, v33
	s_mov_b32 s10, 0xcf800000
	v_fma_f32 v36, v33, s10, |v32|
	v_cvt_u32_f32_e32 v36, v36
	v_cvt_u32_f32_e32 v33, v33
	v_ashrrev_i32_e32 v32, 31, v32
	v_xor_b32_e32 v36, v36, v32
	v_xor_b32_e32 v33, v33, v32
	v_sub_co_u32_e32 v36, vcc, v36, v32
	v_subb_co_u32_e32 v37, vcc, v33, v32, vcc
	v_cmp_lt_i64_e32 vcc, -1, v[36:37]
	v_mov_b32_e32 v32, 0
	s_and_saveexec_b64 s[10:11], vcc
	s_cbranch_execz .LBB49_183
; %bb.172:
	v_cmp_lt_i64_e32 vcc, 0, v[36:37]
	v_mov_b32_e32 v32, 1.0
	s_and_saveexec_b64 s[14:15], vcc
	s_cbranch_execz .LBB49_182
; %bb.173:
	v_cmp_ne_u64_e32 vcc, 1, v[36:37]
	s_and_saveexec_b64 s[20:21], vcc
	s_xor_b64 s[20:21], exec, s[20:21]
	s_cbranch_execz .LBB49_179
; %bb.174:
	s_mov_b64 s[22:23], 0x81
	v_cmp_gt_u64_e32 vcc, s[22:23], v[36:37]
	v_mov_b32_e32 v32, 0x7fc00000
	s_and_saveexec_b64 s[22:23], vcc
	s_cbranch_execz .LBB49_178
; %bb.175:
	s_mov_b64 s[26:27], 1
	s_mov_b64 s[24:25], 0
	v_mov_b32_e32 v33, 1.0
	v_mov_b32_e32 v32, v34
.LBB49_176:                             ; =>This Inner Loop Header: Depth=1
	s_flbit_i32_b32 s28, s27
	s_min_u32 s30, s28, 32
	s_lshl_b64 s[28:29], s[26:27], s30
	s_min_u32 s28, s28, 1
	s_or_b32 s28, s29, s28
	v_cvt_f32_u32_e32 v38, s28
	s_sub_i32 s30, 32, s30
	s_add_u32 s26, s26, 1
	s_addc_u32 s27, s27, 0
	v_ldexp_f32 v38, v38, s30
	v_cmp_eq_u64_e32 vcc, s[26:27], v[36:37]
	v_mul_f32_e32 v38, v33, v38
	s_or_b64 s[24:25], vcc, s[24:25]
	v_mov_b32_e32 v33, v32
	v_fma_f32 v32, v34, v32, -v38
	s_andn2_b64 exec, exec, s[24:25]
	s_cbranch_execnz .LBB49_176
; %bb.177:
	s_or_b64 exec, exec, s[24:25]
.LBB49_178:
	s_or_b64 exec, exec, s[22:23]
.LBB49_179:
	s_andn2_saveexec_b64 s[20:21], s[20:21]
; %bb.180:
	v_mov_b32_e32 v32, v34
; %bb.181:
	s_or_b64 exec, exec, s[20:21]
.LBB49_182:
	s_or_b64 exec, exec, s[14:15]
.LBB49_183:
	s_or_b64 exec, exec, s[10:11]
	v_and_b32_e32 v33, 0xffff0000, v49
	v_trunc_f32_e32 v33, v33
	s_mov_b32 s10, 0x2f800000
	v_mul_f32_e64 v34, |v33|, s10
	v_floor_f32_e32 v34, v34
	s_mov_b32 s10, 0xcf800000
	v_fma_f32 v36, v34, s10, |v33|
	v_cvt_u32_f32_e32 v36, v36
	v_cvt_u32_f32_e32 v34, v34
	v_ashrrev_i32_e32 v33, 31, v33
	v_xor_b32_e32 v36, v36, v33
	v_xor_b32_e32 v34, v34, v33
	v_sub_co_u32_e32 v36, vcc, v36, v33
	v_subb_co_u32_e32 v37, vcc, v34, v33, vcc
	v_cmp_lt_i64_e32 vcc, -1, v[36:37]
	v_mov_b32_e32 v33, 0
	s_and_saveexec_b64 s[10:11], vcc
	s_cbranch_execz .LBB49_195
; %bb.184:
	v_cmp_lt_i64_e32 vcc, 0, v[36:37]
	v_mov_b32_e32 v33, 1.0
	s_and_saveexec_b64 s[14:15], vcc
	s_cbranch_execz .LBB49_194
; %bb.185:
	v_cmp_ne_u64_e32 vcc, 1, v[36:37]
	s_and_saveexec_b64 s[20:21], vcc
	s_xor_b64 s[20:21], exec, s[20:21]
	s_cbranch_execz .LBB49_191
; %bb.186:
	s_mov_b64 s[22:23], 0x81
	v_cmp_gt_u64_e32 vcc, s[22:23], v[36:37]
	v_mov_b32_e32 v33, 0x7fc00000
	s_and_saveexec_b64 s[22:23], vcc
	s_cbranch_execz .LBB49_190
; %bb.187:
	s_mov_b64 s[26:27], 1
	s_mov_b64 s[24:25], 0
	v_mov_b32_e32 v34, 1.0
	v_mov_b32_e32 v33, v35
.LBB49_188:                             ; =>This Inner Loop Header: Depth=1
	s_flbit_i32_b32 s28, s27
	s_min_u32 s30, s28, 32
	s_lshl_b64 s[28:29], s[26:27], s30
	s_min_u32 s28, s28, 1
	s_or_b32 s28, s29, s28
	v_cvt_f32_u32_e32 v38, s28
	s_sub_i32 s30, 32, s30
	s_add_u32 s26, s26, 1
	s_addc_u32 s27, s27, 0
	v_ldexp_f32 v38, v38, s30
	v_cmp_eq_u64_e32 vcc, s[26:27], v[36:37]
	v_mul_f32_e32 v38, v34, v38
	s_or_b64 s[24:25], vcc, s[24:25]
	v_mov_b32_e32 v34, v33
	v_fma_f32 v33, v35, v33, -v38
	s_andn2_b64 exec, exec, s[24:25]
	s_cbranch_execnz .LBB49_188
; %bb.189:
	s_or_b64 exec, exec, s[24:25]
.LBB49_190:
	s_or_b64 exec, exec, s[22:23]
                                        ; implicit-def: $vgpr35
.LBB49_191:
	s_andn2_saveexec_b64 s[20:21], s[20:21]
; %bb.192:
	v_mov_b32_e32 v33, v35
; %bb.193:
	s_or_b64 exec, exec, s[20:21]
.LBB49_194:
	s_or_b64 exec, exec, s[14:15]
.LBB49_195:
	s_or_b64 exec, exec, s[10:11]
	s_waitcnt vmcnt(3)
	v_lshlrev_b32_e32 v34, 16, v46
	v_trunc_f32_e32 v34, v34
	s_mov_b32 s10, 0x2f800000
	v_mul_f32_e64 v35, |v34|, s10
	v_floor_f32_e32 v35, v35
	s_mov_b32 s10, 0xcf800000
	v_fma_f32 v36, v35, s10, |v34|
	v_cvt_u32_f32_e32 v36, v36
	v_cvt_u32_f32_e32 v35, v35
	v_ashrrev_i32_e32 v34, 31, v34
	v_xor_b32_e32 v36, v36, v34
	v_xor_b32_e32 v35, v35, v34
	v_sub_co_u32_e32 v36, vcc, v36, v34
	v_subb_co_u32_e32 v37, vcc, v35, v34, vcc
	v_cmp_lt_i64_e32 vcc, -1, v[36:37]
	v_mov_b32_e32 v34, 0
	s_and_saveexec_b64 s[10:11], vcc
	s_cbranch_execz .LBB49_207
; %bb.196:
	v_cmp_lt_i64_e32 vcc, 0, v[36:37]
	v_mov_b32_e32 v34, 1.0
	s_and_saveexec_b64 s[14:15], vcc
	s_cbranch_execz .LBB49_206
; %bb.197:
	v_cmp_ne_u64_e32 vcc, 1, v[36:37]
                                        ; implicit-def: $vgpr34
	s_and_saveexec_b64 s[20:21], vcc
	s_xor_b64 s[20:21], exec, s[20:21]
	s_cbranch_execz .LBB49_203
; %bb.198:
	s_mov_b64 s[22:23], 0x81
	v_cmp_gt_u64_e32 vcc, s[22:23], v[36:37]
	v_mov_b32_e32 v34, 0x7fc00000
	s_and_saveexec_b64 s[22:23], vcc
	s_cbranch_execz .LBB49_202
; %bb.199:
	s_mov_b64 s[26:27], 1
	s_mov_b64 s[24:25], 0
	v_mov_b32_e32 v35, 1.0
	v_mov_b32_e32 v34, v26
.LBB49_200:                             ; =>This Inner Loop Header: Depth=1
	s_flbit_i32_b32 s28, s27
	s_min_u32 s30, s28, 32
	s_lshl_b64 s[28:29], s[26:27], s30
	s_min_u32 s28, s28, 1
	s_or_b32 s28, s29, s28
	v_cvt_f32_u32_e32 v38, s28
	s_sub_i32 s30, 32, s30
	s_add_u32 s26, s26, 1
	s_addc_u32 s27, s27, 0
	v_ldexp_f32 v38, v38, s30
	v_cmp_eq_u64_e32 vcc, s[26:27], v[36:37]
	v_mul_f32_e32 v38, v35, v38
	s_or_b64 s[24:25], vcc, s[24:25]
	v_mov_b32_e32 v35, v34
	v_fma_f32 v34, v26, v34, -v38
	s_andn2_b64 exec, exec, s[24:25]
	s_cbranch_execnz .LBB49_200
; %bb.201:
	s_or_b64 exec, exec, s[24:25]
.LBB49_202:
	s_or_b64 exec, exec, s[22:23]
.LBB49_203:
	s_andn2_saveexec_b64 s[20:21], s[20:21]
; %bb.204:
	v_mov_b32_e32 v34, v26
; %bb.205:
	s_or_b64 exec, exec, s[20:21]
.LBB49_206:
	s_or_b64 exec, exec, s[14:15]
.LBB49_207:
	s_or_b64 exec, exec, s[10:11]
	v_and_b32_e32 v26, 0xffff0000, v46
	v_trunc_f32_e32 v26, v26
	s_mov_b32 s10, 0x2f800000
	v_mul_f32_e64 v35, |v26|, s10
	v_floor_f32_e32 v35, v35
	s_mov_b32 s10, 0xcf800000
	v_fma_f32 v36, v35, s10, |v26|
	v_cvt_u32_f32_e32 v36, v36
	v_cvt_u32_f32_e32 v35, v35
	v_ashrrev_i32_e32 v26, 31, v26
	v_xor_b32_e32 v36, v36, v26
	v_xor_b32_e32 v35, v35, v26
	v_sub_co_u32_e32 v36, vcc, v36, v26
	v_subb_co_u32_e32 v37, vcc, v35, v26, vcc
	v_cmp_lt_i64_e32 vcc, -1, v[36:37]
	v_mov_b32_e32 v35, 0
	s_and_saveexec_b64 s[10:11], vcc
	s_cbranch_execz .LBB49_219
; %bb.208:
	v_cmp_lt_i64_e32 vcc, 0, v[36:37]
	v_mov_b32_e32 v35, 1.0
	s_and_saveexec_b64 s[14:15], vcc
	s_cbranch_execz .LBB49_218
; %bb.209:
	v_cmp_ne_u64_e32 vcc, 1, v[36:37]
	s_and_saveexec_b64 s[20:21], vcc
	s_xor_b64 s[20:21], exec, s[20:21]
	s_cbranch_execz .LBB49_215
; %bb.210:
	s_mov_b64 s[22:23], 0x81
	v_cmp_gt_u64_e32 vcc, s[22:23], v[36:37]
	v_mov_b32_e32 v35, 0x7fc00000
	s_and_saveexec_b64 s[22:23], vcc
	s_cbranch_execz .LBB49_214
; %bb.211:
	s_mov_b64 s[26:27], 1
	s_mov_b64 s[24:25], 0
	v_mov_b32_e32 v26, 1.0
	v_mov_b32_e32 v35, v27
.LBB49_212:                             ; =>This Inner Loop Header: Depth=1
	s_flbit_i32_b32 s28, s27
	s_min_u32 s30, s28, 32
	s_lshl_b64 s[28:29], s[26:27], s30
	s_min_u32 s28, s28, 1
	s_or_b32 s28, s29, s28
	v_cvt_f32_u32_e32 v38, s28
	s_sub_i32 s30, 32, s30
	s_add_u32 s26, s26, 1
	s_addc_u32 s27, s27, 0
	v_ldexp_f32 v38, v38, s30
	v_cmp_eq_u64_e32 vcc, s[26:27], v[36:37]
	v_mul_f32_e32 v38, v26, v38
	s_or_b64 s[24:25], vcc, s[24:25]
	v_mov_b32_e32 v26, v35
	v_fma_f32 v35, v27, v35, -v38
	s_andn2_b64 exec, exec, s[24:25]
	s_cbranch_execnz .LBB49_212
; %bb.213:
	s_or_b64 exec, exec, s[24:25]
.LBB49_214:
	s_or_b64 exec, exec, s[22:23]
.LBB49_215:
	s_andn2_saveexec_b64 s[20:21], s[20:21]
; %bb.216:
	v_mov_b32_e32 v35, v27
; %bb.217:
	s_or_b64 exec, exec, s[20:21]
.LBB49_218:
	s_or_b64 exec, exec, s[14:15]
.LBB49_219:
	s_or_b64 exec, exec, s[10:11]
	v_lshlrev_b32_e32 v26, 16, v47
	v_trunc_f32_e32 v26, v26
	s_mov_b32 s10, 0x2f800000
	v_mul_f32_e64 v27, |v26|, s10
	v_floor_f32_e32 v27, v27
	s_mov_b32 s10, 0xcf800000
	v_fma_f32 v36, v27, s10, |v26|
	v_cvt_u32_f32_e32 v36, v36
	v_cvt_u32_f32_e32 v27, v27
	v_ashrrev_i32_e32 v37, 31, v26
	v_xor_b32_e32 v26, v36, v37
	v_xor_b32_e32 v27, v27, v37
	v_sub_co_u32_e32 v26, vcc, v26, v37
	v_subb_co_u32_e32 v27, vcc, v27, v37, vcc
	v_cmp_lt_i64_e32 vcc, -1, v[26:27]
	v_mov_b32_e32 v36, 0
	s_and_saveexec_b64 s[10:11], vcc
	s_cbranch_execz .LBB49_231
; %bb.220:
	v_cmp_lt_i64_e32 vcc, 0, v[26:27]
	v_mov_b32_e32 v36, 1.0
	s_and_saveexec_b64 s[14:15], vcc
	s_cbranch_execz .LBB49_230
; %bb.221:
	v_cmp_ne_u64_e32 vcc, 1, v[26:27]
	s_and_saveexec_b64 s[20:21], vcc
	s_xor_b64 s[20:21], exec, s[20:21]
	s_cbranch_execz .LBB49_227
; %bb.222:
	s_mov_b64 s[22:23], 0x81
	v_cmp_gt_u64_e32 vcc, s[22:23], v[26:27]
	v_mov_b32_e32 v36, 0x7fc00000
	s_and_saveexec_b64 s[22:23], vcc
	s_cbranch_execz .LBB49_226
; %bb.223:
	s_mov_b64 s[26:27], 1
	s_mov_b64 s[24:25], 0
	v_mov_b32_e32 v37, 1.0
	v_mov_b32_e32 v36, v28
.LBB49_224:                             ; =>This Inner Loop Header: Depth=1
	s_flbit_i32_b32 s28, s27
	s_min_u32 s30, s28, 32
	s_lshl_b64 s[28:29], s[26:27], s30
	s_min_u32 s28, s28, 1
	s_or_b32 s28, s29, s28
	v_cvt_f32_u32_e32 v38, s28
	s_sub_i32 s30, 32, s30
	s_add_u32 s26, s26, 1
	s_addc_u32 s27, s27, 0
	v_ldexp_f32 v38, v38, s30
	v_cmp_eq_u64_e32 vcc, s[26:27], v[26:27]
	v_mul_f32_e32 v38, v37, v38
	s_or_b64 s[24:25], vcc, s[24:25]
	v_mov_b32_e32 v37, v36
	v_fma_f32 v36, v28, v36, -v38
	s_andn2_b64 exec, exec, s[24:25]
	s_cbranch_execnz .LBB49_224
; %bb.225:
	s_or_b64 exec, exec, s[24:25]
.LBB49_226:
	s_or_b64 exec, exec, s[22:23]
.LBB49_227:
	s_andn2_saveexec_b64 s[20:21], s[20:21]
; %bb.228:
	v_mov_b32_e32 v36, v28
; %bb.229:
	s_or_b64 exec, exec, s[20:21]
.LBB49_230:
	s_or_b64 exec, exec, s[14:15]
.LBB49_231:
	s_or_b64 exec, exec, s[10:11]
	v_and_b32_e32 v26, 0xffff0000, v47
	v_trunc_f32_e32 v26, v26
	s_mov_b32 s10, 0x2f800000
	v_mul_f32_e64 v27, |v26|, s10
	v_floor_f32_e32 v27, v27
	s_mov_b32 s10, 0xcf800000
	v_fma_f32 v28, v27, s10, |v26|
	v_cvt_u32_f32_e32 v28, v28
	v_cvt_u32_f32_e32 v27, v27
	v_ashrrev_i32_e32 v37, 31, v26
	v_xor_b32_e32 v26, v28, v37
	v_xor_b32_e32 v27, v27, v37
	v_sub_co_u32_e32 v26, vcc, v26, v37
	v_subb_co_u32_e32 v27, vcc, v27, v37, vcc
	v_cmp_lt_i64_e32 vcc, -1, v[26:27]
	v_mov_b32_e32 v37, 0
	s_and_saveexec_b64 s[10:11], vcc
	s_cbranch_execz .LBB49_243
; %bb.232:
	v_cmp_lt_i64_e32 vcc, 0, v[26:27]
	v_mov_b32_e32 v37, 1.0
	s_and_saveexec_b64 s[14:15], vcc
	s_cbranch_execz .LBB49_242
; %bb.233:
	v_cmp_ne_u64_e32 vcc, 1, v[26:27]
	s_and_saveexec_b64 s[20:21], vcc
	s_xor_b64 s[20:21], exec, s[20:21]
	s_cbranch_execz .LBB49_239
; %bb.234:
	s_mov_b64 s[22:23], 0x81
	v_cmp_gt_u64_e32 vcc, s[22:23], v[26:27]
	v_mov_b32_e32 v37, 0x7fc00000
	s_and_saveexec_b64 s[22:23], vcc
	s_cbranch_execz .LBB49_238
; %bb.235:
	s_mov_b64 s[26:27], 1
	s_mov_b64 s[24:25], 0
	v_mov_b32_e32 v28, 1.0
	v_mov_b32_e32 v37, v29
.LBB49_236:                             ; =>This Inner Loop Header: Depth=1
	s_flbit_i32_b32 s28, s27
	s_min_u32 s30, s28, 32
	s_lshl_b64 s[28:29], s[26:27], s30
	s_min_u32 s28, s28, 1
	s_or_b32 s28, s29, s28
	v_cvt_f32_u32_e32 v38, s28
	s_sub_i32 s30, 32, s30
	s_add_u32 s26, s26, 1
	s_addc_u32 s27, s27, 0
	v_ldexp_f32 v38, v38, s30
	v_cmp_eq_u64_e32 vcc, s[26:27], v[26:27]
	v_mul_f32_e32 v38, v28, v38
	s_or_b64 s[24:25], vcc, s[24:25]
	v_mov_b32_e32 v28, v37
	v_fma_f32 v37, v29, v37, -v38
	s_andn2_b64 exec, exec, s[24:25]
	s_cbranch_execnz .LBB49_236
; %bb.237:
	s_or_b64 exec, exec, s[24:25]
.LBB49_238:
	s_or_b64 exec, exec, s[22:23]
                                        ; implicit-def: $vgpr29
.LBB49_239:
	s_andn2_saveexec_b64 s[20:21], s[20:21]
; %bb.240:
	v_mov_b32_e32 v37, v29
; %bb.241:
	s_or_b64 exec, exec, s[20:21]
.LBB49_242:
	s_or_b64 exec, exec, s[14:15]
.LBB49_243:
	s_or_b64 exec, exec, s[10:11]
	s_waitcnt vmcnt(2)
	v_lshlrev_b32_e32 v26, 16, v44
	v_trunc_f32_e32 v26, v26
	s_mov_b32 s10, 0x2f800000
	v_mul_f32_e64 v27, |v26|, s10
	v_floor_f32_e32 v27, v27
	s_mov_b32 s10, 0xcf800000
	v_fma_f32 v28, v27, s10, |v26|
	v_cvt_u32_f32_e32 v28, v28
	v_cvt_u32_f32_e32 v27, v27
	v_ashrrev_i32_e32 v26, 31, v26
	v_xor_b32_e32 v28, v28, v26
	v_xor_b32_e32 v27, v27, v26
	v_sub_co_u32_e32 v28, vcc, v28, v26
	v_subb_co_u32_e32 v29, vcc, v27, v26, vcc
	v_cmp_lt_i64_e32 vcc, -1, v[28:29]
	v_mov_b32_e32 v26, 0
	s_and_saveexec_b64 s[10:11], vcc
	s_cbranch_execz .LBB49_255
; %bb.244:
	v_cmp_lt_i64_e32 vcc, 0, v[28:29]
	v_mov_b32_e32 v26, 1.0
	s_and_saveexec_b64 s[14:15], vcc
	s_cbranch_execz .LBB49_254
; %bb.245:
	v_cmp_ne_u64_e32 vcc, 1, v[28:29]
                                        ; implicit-def: $vgpr26
	s_and_saveexec_b64 s[20:21], vcc
	s_xor_b64 s[20:21], exec, s[20:21]
	s_cbranch_execz .LBB49_251
; %bb.246:
	s_mov_b64 s[22:23], 0x81
	v_cmp_gt_u64_e32 vcc, s[22:23], v[28:29]
	v_mov_b32_e32 v26, 0x7fc00000
	s_and_saveexec_b64 s[22:23], vcc
	s_cbranch_execz .LBB49_250
; %bb.247:
	s_mov_b64 s[26:27], 1
	s_mov_b64 s[24:25], 0
	v_mov_b32_e32 v27, 1.0
	v_mov_b32_e32 v26, v18
.LBB49_248:                             ; =>This Inner Loop Header: Depth=1
	s_flbit_i32_b32 s28, s27
	s_min_u32 s30, s28, 32
	s_lshl_b64 s[28:29], s[26:27], s30
	s_min_u32 s28, s28, 1
	s_or_b32 s28, s29, s28
	v_cvt_f32_u32_e32 v38, s28
	s_sub_i32 s30, 32, s30
	s_add_u32 s26, s26, 1
	s_addc_u32 s27, s27, 0
	v_ldexp_f32 v38, v38, s30
	v_cmp_eq_u64_e32 vcc, s[26:27], v[28:29]
	v_mul_f32_e32 v38, v27, v38
	s_or_b64 s[24:25], vcc, s[24:25]
	v_mov_b32_e32 v27, v26
	v_fma_f32 v26, v18, v26, -v38
	s_andn2_b64 exec, exec, s[24:25]
	s_cbranch_execnz .LBB49_248
; %bb.249:
	s_or_b64 exec, exec, s[24:25]
.LBB49_250:
	s_or_b64 exec, exec, s[22:23]
.LBB49_251:
	s_andn2_saveexec_b64 s[20:21], s[20:21]
; %bb.252:
	v_mov_b32_e32 v26, v18
; %bb.253:
	s_or_b64 exec, exec, s[20:21]
.LBB49_254:
	s_or_b64 exec, exec, s[14:15]
.LBB49_255:
	s_or_b64 exec, exec, s[10:11]
	v_and_b32_e32 v18, 0xffff0000, v44
	v_trunc_f32_e32 v18, v18
	s_mov_b32 s10, 0x2f800000
	v_mul_f32_e64 v27, |v18|, s10
	v_floor_f32_e32 v27, v27
	s_mov_b32 s10, 0xcf800000
	v_fma_f32 v28, v27, s10, |v18|
	v_cvt_u32_f32_e32 v28, v28
	v_cvt_u32_f32_e32 v27, v27
	v_ashrrev_i32_e32 v18, 31, v18
	v_xor_b32_e32 v28, v28, v18
	v_xor_b32_e32 v27, v27, v18
	v_sub_co_u32_e32 v28, vcc, v28, v18
	v_subb_co_u32_e32 v29, vcc, v27, v18, vcc
	v_cmp_lt_i64_e32 vcc, -1, v[28:29]
	v_mov_b32_e32 v27, 0
	s_and_saveexec_b64 s[10:11], vcc
	s_cbranch_execz .LBB49_267
; %bb.256:
	v_cmp_lt_i64_e32 vcc, 0, v[28:29]
	v_mov_b32_e32 v27, 1.0
	s_and_saveexec_b64 s[14:15], vcc
	s_cbranch_execz .LBB49_266
; %bb.257:
	v_cmp_ne_u64_e32 vcc, 1, v[28:29]
	s_and_saveexec_b64 s[20:21], vcc
	s_xor_b64 s[20:21], exec, s[20:21]
	s_cbranch_execz .LBB49_263
; %bb.258:
	s_mov_b64 s[22:23], 0x81
	v_cmp_gt_u64_e32 vcc, s[22:23], v[28:29]
	v_mov_b32_e32 v27, 0x7fc00000
	s_and_saveexec_b64 s[22:23], vcc
	s_cbranch_execz .LBB49_262
; %bb.259:
	s_mov_b64 s[26:27], 1
	s_mov_b64 s[24:25], 0
	v_mov_b32_e32 v18, 1.0
	v_mov_b32_e32 v27, v19
.LBB49_260:                             ; =>This Inner Loop Header: Depth=1
	s_flbit_i32_b32 s28, s27
	s_min_u32 s30, s28, 32
	s_lshl_b64 s[28:29], s[26:27], s30
	s_min_u32 s28, s28, 1
	s_or_b32 s28, s29, s28
	v_cvt_f32_u32_e32 v38, s28
	s_sub_i32 s30, 32, s30
	s_add_u32 s26, s26, 1
	s_addc_u32 s27, s27, 0
	v_ldexp_f32 v38, v38, s30
	v_cmp_eq_u64_e32 vcc, s[26:27], v[28:29]
	v_mul_f32_e32 v38, v18, v38
	s_or_b64 s[24:25], vcc, s[24:25]
	v_mov_b32_e32 v18, v27
	v_fma_f32 v27, v19, v27, -v38
	s_andn2_b64 exec, exec, s[24:25]
	s_cbranch_execnz .LBB49_260
; %bb.261:
	s_or_b64 exec, exec, s[24:25]
.LBB49_262:
	s_or_b64 exec, exec, s[22:23]
.LBB49_263:
	s_andn2_saveexec_b64 s[20:21], s[20:21]
; %bb.264:
	v_mov_b32_e32 v27, v19
; %bb.265:
	s_or_b64 exec, exec, s[20:21]
.LBB49_266:
	s_or_b64 exec, exec, s[14:15]
.LBB49_267:
	s_or_b64 exec, exec, s[10:11]
	v_lshlrev_b32_e32 v18, 16, v45
	v_trunc_f32_e32 v18, v18
	s_mov_b32 s10, 0x2f800000
	v_mul_f32_e64 v19, |v18|, s10
	v_floor_f32_e32 v19, v19
	s_mov_b32 s10, 0xcf800000
	v_fma_f32 v28, v19, s10, |v18|
	v_cvt_u32_f32_e32 v28, v28
	v_cvt_u32_f32_e32 v19, v19
	v_ashrrev_i32_e32 v29, 31, v18
	v_xor_b32_e32 v18, v28, v29
	v_xor_b32_e32 v19, v19, v29
	v_sub_co_u32_e32 v18, vcc, v18, v29
	v_subb_co_u32_e32 v19, vcc, v19, v29, vcc
	v_cmp_lt_i64_e32 vcc, -1, v[18:19]
	v_mov_b32_e32 v28, 0
	s_and_saveexec_b64 s[10:11], vcc
	s_cbranch_execz .LBB49_279
; %bb.268:
	v_cmp_lt_i64_e32 vcc, 0, v[18:19]
	v_mov_b32_e32 v28, 1.0
	s_and_saveexec_b64 s[14:15], vcc
	s_cbranch_execz .LBB49_278
; %bb.269:
	v_cmp_ne_u64_e32 vcc, 1, v[18:19]
	s_and_saveexec_b64 s[20:21], vcc
	s_xor_b64 s[20:21], exec, s[20:21]
	s_cbranch_execz .LBB49_275
; %bb.270:
	s_mov_b64 s[22:23], 0x81
	v_cmp_gt_u64_e32 vcc, s[22:23], v[18:19]
	v_mov_b32_e32 v28, 0x7fc00000
	s_and_saveexec_b64 s[22:23], vcc
	s_cbranch_execz .LBB49_274
; %bb.271:
	s_mov_b64 s[26:27], 1
	s_mov_b64 s[24:25], 0
	v_mov_b32_e32 v29, 1.0
	v_mov_b32_e32 v28, v20
.LBB49_272:                             ; =>This Inner Loop Header: Depth=1
	s_flbit_i32_b32 s28, s27
	s_min_u32 s30, s28, 32
	s_lshl_b64 s[28:29], s[26:27], s30
	s_min_u32 s28, s28, 1
	s_or_b32 s28, s29, s28
	v_cvt_f32_u32_e32 v38, s28
	s_sub_i32 s30, 32, s30
	s_add_u32 s26, s26, 1
	s_addc_u32 s27, s27, 0
	v_ldexp_f32 v38, v38, s30
	v_cmp_eq_u64_e32 vcc, s[26:27], v[18:19]
	v_mul_f32_e32 v38, v29, v38
	s_or_b64 s[24:25], vcc, s[24:25]
	v_mov_b32_e32 v29, v28
	v_fma_f32 v28, v20, v28, -v38
	s_andn2_b64 exec, exec, s[24:25]
	s_cbranch_execnz .LBB49_272
; %bb.273:
	s_or_b64 exec, exec, s[24:25]
.LBB49_274:
	s_or_b64 exec, exec, s[22:23]
.LBB49_275:
	s_andn2_saveexec_b64 s[20:21], s[20:21]
; %bb.276:
	v_mov_b32_e32 v28, v20
; %bb.277:
	s_or_b64 exec, exec, s[20:21]
.LBB49_278:
	s_or_b64 exec, exec, s[14:15]
.LBB49_279:
	s_or_b64 exec, exec, s[10:11]
	v_and_b32_e32 v18, 0xffff0000, v45
	v_trunc_f32_e32 v18, v18
	s_mov_b32 s10, 0x2f800000
	v_mul_f32_e64 v19, |v18|, s10
	v_floor_f32_e32 v19, v19
	s_mov_b32 s10, 0xcf800000
	v_fma_f32 v20, v19, s10, |v18|
	v_cvt_u32_f32_e32 v20, v20
	v_cvt_u32_f32_e32 v19, v19
	v_ashrrev_i32_e32 v29, 31, v18
	v_xor_b32_e32 v18, v20, v29
	v_xor_b32_e32 v19, v19, v29
	v_sub_co_u32_e32 v18, vcc, v18, v29
	v_subb_co_u32_e32 v19, vcc, v19, v29, vcc
	v_cmp_lt_i64_e32 vcc, -1, v[18:19]
	v_mov_b32_e32 v29, 0
	s_and_saveexec_b64 s[10:11], vcc
	s_cbranch_execz .LBB49_291
; %bb.280:
	v_cmp_lt_i64_e32 vcc, 0, v[18:19]
	v_mov_b32_e32 v29, 1.0
	s_and_saveexec_b64 s[14:15], vcc
	s_cbranch_execz .LBB49_290
; %bb.281:
	v_cmp_ne_u64_e32 vcc, 1, v[18:19]
	s_and_saveexec_b64 s[20:21], vcc
	s_xor_b64 s[20:21], exec, s[20:21]
	s_cbranch_execz .LBB49_287
; %bb.282:
	s_mov_b64 s[22:23], 0x81
	v_cmp_gt_u64_e32 vcc, s[22:23], v[18:19]
	v_mov_b32_e32 v29, 0x7fc00000
	s_and_saveexec_b64 s[22:23], vcc
	s_cbranch_execz .LBB49_286
; %bb.283:
	s_mov_b64 s[26:27], 1
	s_mov_b64 s[24:25], 0
	v_mov_b32_e32 v20, 1.0
	v_mov_b32_e32 v29, v21
.LBB49_284:                             ; =>This Inner Loop Header: Depth=1
	s_flbit_i32_b32 s28, s27
	s_min_u32 s30, s28, 32
	s_lshl_b64 s[28:29], s[26:27], s30
	s_min_u32 s28, s28, 1
	s_or_b32 s28, s29, s28
	v_cvt_f32_u32_e32 v38, s28
	s_sub_i32 s30, 32, s30
	s_add_u32 s26, s26, 1
	s_addc_u32 s27, s27, 0
	v_ldexp_f32 v38, v38, s30
	v_cmp_eq_u64_e32 vcc, s[26:27], v[18:19]
	v_mul_f32_e32 v38, v20, v38
	s_or_b64 s[24:25], vcc, s[24:25]
	v_mov_b32_e32 v20, v29
	v_fma_f32 v29, v21, v29, -v38
	s_andn2_b64 exec, exec, s[24:25]
	s_cbranch_execnz .LBB49_284
; %bb.285:
	s_or_b64 exec, exec, s[24:25]
.LBB49_286:
	s_or_b64 exec, exec, s[22:23]
                                        ; implicit-def: $vgpr21
.LBB49_287:
	s_andn2_saveexec_b64 s[20:21], s[20:21]
; %bb.288:
	v_mov_b32_e32 v29, v21
; %bb.289:
	s_or_b64 exec, exec, s[20:21]
.LBB49_290:
	s_or_b64 exec, exec, s[14:15]
.LBB49_291:
	s_or_b64 exec, exec, s[10:11]
	s_waitcnt vmcnt(1)
	v_lshlrev_b32_e32 v18, 16, v42
	v_trunc_f32_e32 v18, v18
	s_mov_b32 s10, 0x2f800000
	v_mul_f32_e64 v19, |v18|, s10
	v_floor_f32_e32 v19, v19
	s_mov_b32 s10, 0xcf800000
	v_fma_f32 v20, v19, s10, |v18|
	v_cvt_u32_f32_e32 v20, v20
	v_cvt_u32_f32_e32 v19, v19
	v_ashrrev_i32_e32 v18, 31, v18
	v_xor_b32_e32 v20, v20, v18
	v_xor_b32_e32 v19, v19, v18
	v_sub_co_u32_e32 v20, vcc, v20, v18
	v_subb_co_u32_e32 v21, vcc, v19, v18, vcc
	v_cmp_lt_i64_e32 vcc, -1, v[20:21]
	v_mov_b32_e32 v18, 0
	s_and_saveexec_b64 s[10:11], vcc
	s_cbranch_execz .LBB49_303
; %bb.292:
	v_cmp_lt_i64_e32 vcc, 0, v[20:21]
	v_mov_b32_e32 v18, 1.0
	s_and_saveexec_b64 s[14:15], vcc
	s_cbranch_execz .LBB49_302
; %bb.293:
	v_cmp_ne_u64_e32 vcc, 1, v[20:21]
                                        ; implicit-def: $vgpr18
	s_and_saveexec_b64 s[20:21], vcc
	s_xor_b64 s[20:21], exec, s[20:21]
	s_cbranch_execz .LBB49_299
; %bb.294:
	s_mov_b64 s[22:23], 0x81
	v_cmp_gt_u64_e32 vcc, s[22:23], v[20:21]
	v_mov_b32_e32 v18, 0x7fc00000
	s_and_saveexec_b64 s[22:23], vcc
	s_cbranch_execz .LBB49_298
; %bb.295:
	s_mov_b64 s[26:27], 1
	s_mov_b64 s[24:25], 0
	v_mov_b32_e32 v19, 1.0
	v_mov_b32_e32 v18, v10
.LBB49_296:                             ; =>This Inner Loop Header: Depth=1
	s_flbit_i32_b32 s28, s27
	s_min_u32 s30, s28, 32
	s_lshl_b64 s[28:29], s[26:27], s30
	s_min_u32 s28, s28, 1
	s_or_b32 s28, s29, s28
	v_cvt_f32_u32_e32 v38, s28
	s_sub_i32 s30, 32, s30
	s_add_u32 s26, s26, 1
	s_addc_u32 s27, s27, 0
	v_ldexp_f32 v38, v38, s30
	v_cmp_eq_u64_e32 vcc, s[26:27], v[20:21]
	v_mul_f32_e32 v38, v19, v38
	s_or_b64 s[24:25], vcc, s[24:25]
	v_mov_b32_e32 v19, v18
	v_fma_f32 v18, v10, v18, -v38
	s_andn2_b64 exec, exec, s[24:25]
	s_cbranch_execnz .LBB49_296
; %bb.297:
	s_or_b64 exec, exec, s[24:25]
.LBB49_298:
	s_or_b64 exec, exec, s[22:23]
.LBB49_299:
	s_andn2_saveexec_b64 s[20:21], s[20:21]
; %bb.300:
	v_mov_b32_e32 v18, v10
; %bb.301:
	s_or_b64 exec, exec, s[20:21]
.LBB49_302:
	s_or_b64 exec, exec, s[14:15]
.LBB49_303:
	s_or_b64 exec, exec, s[10:11]
	v_and_b32_e32 v10, 0xffff0000, v42
	v_trunc_f32_e32 v10, v10
	s_mov_b32 s10, 0x2f800000
	v_mul_f32_e64 v19, |v10|, s10
	v_floor_f32_e32 v19, v19
	s_mov_b32 s10, 0xcf800000
	v_fma_f32 v20, v19, s10, |v10|
	v_cvt_u32_f32_e32 v20, v20
	v_cvt_u32_f32_e32 v19, v19
	v_ashrrev_i32_e32 v10, 31, v10
	v_xor_b32_e32 v20, v20, v10
	v_xor_b32_e32 v19, v19, v10
	v_sub_co_u32_e32 v20, vcc, v20, v10
	v_subb_co_u32_e32 v21, vcc, v19, v10, vcc
	v_cmp_lt_i64_e32 vcc, -1, v[20:21]
	v_mov_b32_e32 v19, 0
	s_and_saveexec_b64 s[10:11], vcc
	s_cbranch_execz .LBB49_315
; %bb.304:
	v_cmp_lt_i64_e32 vcc, 0, v[20:21]
	v_mov_b32_e32 v19, 1.0
	s_and_saveexec_b64 s[14:15], vcc
	s_cbranch_execz .LBB49_314
; %bb.305:
	v_cmp_ne_u64_e32 vcc, 1, v[20:21]
	s_and_saveexec_b64 s[20:21], vcc
	s_xor_b64 s[20:21], exec, s[20:21]
	s_cbranch_execz .LBB49_311
; %bb.306:
	s_mov_b64 s[22:23], 0x81
	v_cmp_gt_u64_e32 vcc, s[22:23], v[20:21]
	v_mov_b32_e32 v19, 0x7fc00000
	s_and_saveexec_b64 s[22:23], vcc
	s_cbranch_execz .LBB49_310
; %bb.307:
	s_mov_b64 s[26:27], 1
	s_mov_b64 s[24:25], 0
	v_mov_b32_e32 v10, 1.0
	v_mov_b32_e32 v19, v11
.LBB49_308:                             ; =>This Inner Loop Header: Depth=1
	s_flbit_i32_b32 s28, s27
	s_min_u32 s30, s28, 32
	s_lshl_b64 s[28:29], s[26:27], s30
	s_min_u32 s28, s28, 1
	s_or_b32 s28, s29, s28
	v_cvt_f32_u32_e32 v38, s28
	s_sub_i32 s30, 32, s30
	s_add_u32 s26, s26, 1
	s_addc_u32 s27, s27, 0
	v_ldexp_f32 v38, v38, s30
	v_cmp_eq_u64_e32 vcc, s[26:27], v[20:21]
	v_mul_f32_e32 v38, v10, v38
	s_or_b64 s[24:25], vcc, s[24:25]
	v_mov_b32_e32 v10, v19
	v_fma_f32 v19, v11, v19, -v38
	s_andn2_b64 exec, exec, s[24:25]
	s_cbranch_execnz .LBB49_308
; %bb.309:
	s_or_b64 exec, exec, s[24:25]
.LBB49_310:
	s_or_b64 exec, exec, s[22:23]
.LBB49_311:
	s_andn2_saveexec_b64 s[20:21], s[20:21]
; %bb.312:
	v_mov_b32_e32 v19, v11
; %bb.313:
	s_or_b64 exec, exec, s[20:21]
.LBB49_314:
	s_or_b64 exec, exec, s[14:15]
.LBB49_315:
	s_or_b64 exec, exec, s[10:11]
	v_lshlrev_b32_e32 v10, 16, v43
	v_trunc_f32_e32 v10, v10
	s_mov_b32 s10, 0x2f800000
	v_mul_f32_e64 v11, |v10|, s10
	v_floor_f32_e32 v11, v11
	s_mov_b32 s10, 0xcf800000
	v_fma_f32 v20, v11, s10, |v10|
	v_cvt_u32_f32_e32 v20, v20
	v_cvt_u32_f32_e32 v11, v11
	v_ashrrev_i32_e32 v21, 31, v10
	v_xor_b32_e32 v10, v20, v21
	v_xor_b32_e32 v11, v11, v21
	v_sub_co_u32_e32 v10, vcc, v10, v21
	v_subb_co_u32_e32 v11, vcc, v11, v21, vcc
	v_cmp_lt_i64_e32 vcc, -1, v[10:11]
	v_mov_b32_e32 v20, 0
	s_and_saveexec_b64 s[10:11], vcc
	s_cbranch_execz .LBB49_327
; %bb.316:
	v_cmp_lt_i64_e32 vcc, 0, v[10:11]
	v_mov_b32_e32 v20, 1.0
	s_and_saveexec_b64 s[14:15], vcc
	s_cbranch_execz .LBB49_326
; %bb.317:
	v_cmp_ne_u64_e32 vcc, 1, v[10:11]
	s_and_saveexec_b64 s[20:21], vcc
	s_xor_b64 s[20:21], exec, s[20:21]
	s_cbranch_execz .LBB49_323
; %bb.318:
	s_mov_b64 s[22:23], 0x81
	v_cmp_gt_u64_e32 vcc, s[22:23], v[10:11]
	v_mov_b32_e32 v20, 0x7fc00000
	s_and_saveexec_b64 s[22:23], vcc
	s_cbranch_execz .LBB49_322
; %bb.319:
	s_mov_b64 s[26:27], 1
	s_mov_b64 s[24:25], 0
	v_mov_b32_e32 v21, 1.0
	v_mov_b32_e32 v20, v12
.LBB49_320:                             ; =>This Inner Loop Header: Depth=1
	s_flbit_i32_b32 s28, s27
	s_min_u32 s30, s28, 32
	s_lshl_b64 s[28:29], s[26:27], s30
	s_min_u32 s28, s28, 1
	s_or_b32 s28, s29, s28
	v_cvt_f32_u32_e32 v38, s28
	s_sub_i32 s30, 32, s30
	s_add_u32 s26, s26, 1
	s_addc_u32 s27, s27, 0
	v_ldexp_f32 v38, v38, s30
	v_cmp_eq_u64_e32 vcc, s[26:27], v[10:11]
	v_mul_f32_e32 v38, v21, v38
	s_or_b64 s[24:25], vcc, s[24:25]
	v_mov_b32_e32 v21, v20
	v_fma_f32 v20, v12, v20, -v38
	s_andn2_b64 exec, exec, s[24:25]
	s_cbranch_execnz .LBB49_320
; %bb.321:
	s_or_b64 exec, exec, s[24:25]
.LBB49_322:
	s_or_b64 exec, exec, s[22:23]
.LBB49_323:
	s_andn2_saveexec_b64 s[20:21], s[20:21]
; %bb.324:
	v_mov_b32_e32 v20, v12
; %bb.325:
	s_or_b64 exec, exec, s[20:21]
.LBB49_326:
	s_or_b64 exec, exec, s[14:15]
.LBB49_327:
	s_or_b64 exec, exec, s[10:11]
	v_and_b32_e32 v10, 0xffff0000, v43
	v_trunc_f32_e32 v10, v10
	s_mov_b32 s10, 0x2f800000
	v_mul_f32_e64 v11, |v10|, s10
	v_floor_f32_e32 v11, v11
	s_mov_b32 s10, 0xcf800000
	v_fma_f32 v12, v11, s10, |v10|
	v_cvt_u32_f32_e32 v12, v12
	v_cvt_u32_f32_e32 v11, v11
	v_ashrrev_i32_e32 v21, 31, v10
	v_xor_b32_e32 v10, v12, v21
	v_xor_b32_e32 v11, v11, v21
	v_sub_co_u32_e32 v10, vcc, v10, v21
	v_subb_co_u32_e32 v11, vcc, v11, v21, vcc
	v_cmp_lt_i64_e32 vcc, -1, v[10:11]
	v_mov_b32_e32 v21, 0
	s_and_saveexec_b64 s[10:11], vcc
	s_cbranch_execz .LBB49_339
; %bb.328:
	v_cmp_lt_i64_e32 vcc, 0, v[10:11]
	v_mov_b32_e32 v21, 1.0
	s_and_saveexec_b64 s[14:15], vcc
	s_cbranch_execz .LBB49_338
; %bb.329:
	v_cmp_ne_u64_e32 vcc, 1, v[10:11]
	s_and_saveexec_b64 s[20:21], vcc
	s_xor_b64 s[20:21], exec, s[20:21]
	s_cbranch_execz .LBB49_335
; %bb.330:
	s_mov_b64 s[22:23], 0x81
	v_cmp_gt_u64_e32 vcc, s[22:23], v[10:11]
	v_mov_b32_e32 v21, 0x7fc00000
	s_and_saveexec_b64 s[22:23], vcc
	s_cbranch_execz .LBB49_334
; %bb.331:
	s_mov_b64 s[26:27], 1
	s_mov_b64 s[24:25], 0
	v_mov_b32_e32 v12, 1.0
	v_mov_b32_e32 v21, v13
.LBB49_332:                             ; =>This Inner Loop Header: Depth=1
	s_flbit_i32_b32 s28, s27
	s_min_u32 s30, s28, 32
	s_lshl_b64 s[28:29], s[26:27], s30
	s_min_u32 s28, s28, 1
	s_or_b32 s28, s29, s28
	v_cvt_f32_u32_e32 v38, s28
	s_sub_i32 s30, 32, s30
	s_add_u32 s26, s26, 1
	s_addc_u32 s27, s27, 0
	v_ldexp_f32 v38, v38, s30
	v_cmp_eq_u64_e32 vcc, s[26:27], v[10:11]
	v_mul_f32_e32 v38, v12, v38
	s_or_b64 s[24:25], vcc, s[24:25]
	v_mov_b32_e32 v12, v21
	v_fma_f32 v21, v13, v21, -v38
	s_andn2_b64 exec, exec, s[24:25]
	s_cbranch_execnz .LBB49_332
; %bb.333:
	s_or_b64 exec, exec, s[24:25]
.LBB49_334:
	s_or_b64 exec, exec, s[22:23]
                                        ; implicit-def: $vgpr13
.LBB49_335:
	s_andn2_saveexec_b64 s[20:21], s[20:21]
; %bb.336:
	v_mov_b32_e32 v21, v13
; %bb.337:
	s_or_b64 exec, exec, s[20:21]
.LBB49_338:
	s_or_b64 exec, exec, s[14:15]
.LBB49_339:
	s_or_b64 exec, exec, s[10:11]
	s_waitcnt vmcnt(0)
	v_lshlrev_b32_e32 v10, 16, v40
	v_trunc_f32_e32 v10, v10
	s_mov_b32 s10, 0x2f800000
	v_mul_f32_e64 v11, |v10|, s10
	v_floor_f32_e32 v11, v11
	s_mov_b32 s10, 0xcf800000
	v_fma_f32 v12, v11, s10, |v10|
	v_cvt_u32_f32_e32 v12, v12
	v_cvt_u32_f32_e32 v11, v11
	v_ashrrev_i32_e32 v10, 31, v10
	v_xor_b32_e32 v12, v12, v10
	v_xor_b32_e32 v11, v11, v10
	v_sub_co_u32_e32 v12, vcc, v12, v10
	v_subb_co_u32_e32 v13, vcc, v11, v10, vcc
	v_cmp_lt_i64_e32 vcc, -1, v[12:13]
	v_mov_b32_e32 v10, 0
	s_and_saveexec_b64 s[10:11], vcc
	s_cbranch_execz .LBB49_351
; %bb.340:
	v_cmp_lt_i64_e32 vcc, 0, v[12:13]
	v_mov_b32_e32 v10, 1.0
	s_and_saveexec_b64 s[14:15], vcc
	s_cbranch_execz .LBB49_350
; %bb.341:
	v_cmp_ne_u64_e32 vcc, 1, v[12:13]
                                        ; implicit-def: $vgpr10
	s_and_saveexec_b64 s[20:21], vcc
	s_xor_b64 s[20:21], exec, s[20:21]
	s_cbranch_execz .LBB49_347
; %bb.342:
	s_mov_b64 s[22:23], 0x81
	v_cmp_gt_u64_e32 vcc, s[22:23], v[12:13]
	v_mov_b32_e32 v10, 0x7fc00000
	s_and_saveexec_b64 s[22:23], vcc
	s_cbranch_execz .LBB49_346
; %bb.343:
	s_mov_b64 s[26:27], 1
	s_mov_b64 s[24:25], 0
	v_mov_b32_e32 v11, 1.0
	v_mov_b32_e32 v10, v2
.LBB49_344:                             ; =>This Inner Loop Header: Depth=1
	s_flbit_i32_b32 s28, s27
	s_min_u32 s30, s28, 32
	s_lshl_b64 s[28:29], s[26:27], s30
	s_min_u32 s28, s28, 1
	s_or_b32 s28, s29, s28
	v_cvt_f32_u32_e32 v38, s28
	s_sub_i32 s30, 32, s30
	s_add_u32 s26, s26, 1
	s_addc_u32 s27, s27, 0
	v_ldexp_f32 v38, v38, s30
	v_cmp_eq_u64_e32 vcc, s[26:27], v[12:13]
	v_mul_f32_e32 v38, v11, v38
	s_or_b64 s[24:25], vcc, s[24:25]
	v_mov_b32_e32 v11, v10
	v_fma_f32 v10, v2, v10, -v38
	s_andn2_b64 exec, exec, s[24:25]
	s_cbranch_execnz .LBB49_344
; %bb.345:
	s_or_b64 exec, exec, s[24:25]
.LBB49_346:
	s_or_b64 exec, exec, s[22:23]
.LBB49_347:
	s_andn2_saveexec_b64 s[20:21], s[20:21]
; %bb.348:
	v_mov_b32_e32 v10, v2
; %bb.349:
	s_or_b64 exec, exec, s[20:21]
.LBB49_350:
	s_or_b64 exec, exec, s[14:15]
.LBB49_351:
	s_or_b64 exec, exec, s[10:11]
	v_and_b32_e32 v2, 0xffff0000, v40
	v_trunc_f32_e32 v2, v2
	s_mov_b32 s10, 0x2f800000
	v_mul_f32_e64 v11, |v2|, s10
	v_floor_f32_e32 v11, v11
	s_mov_b32 s10, 0xcf800000
	v_fma_f32 v12, v11, s10, |v2|
	v_cvt_u32_f32_e32 v12, v12
	v_cvt_u32_f32_e32 v11, v11
	v_ashrrev_i32_e32 v2, 31, v2
	v_xor_b32_e32 v12, v12, v2
	v_xor_b32_e32 v11, v11, v2
	v_sub_co_u32_e32 v12, vcc, v12, v2
	v_subb_co_u32_e32 v13, vcc, v11, v2, vcc
	v_cmp_lt_i64_e32 vcc, -1, v[12:13]
	v_mov_b32_e32 v11, 0
	s_and_saveexec_b64 s[10:11], vcc
	s_cbranch_execz .LBB49_363
; %bb.352:
	v_cmp_lt_i64_e32 vcc, 0, v[12:13]
	v_mov_b32_e32 v11, 1.0
	s_and_saveexec_b64 s[14:15], vcc
	s_cbranch_execz .LBB49_362
; %bb.353:
	v_cmp_ne_u64_e32 vcc, 1, v[12:13]
	s_and_saveexec_b64 s[20:21], vcc
	s_xor_b64 s[20:21], exec, s[20:21]
	s_cbranch_execz .LBB49_359
; %bb.354:
	s_mov_b64 s[22:23], 0x81
	v_cmp_gt_u64_e32 vcc, s[22:23], v[12:13]
	v_mov_b32_e32 v11, 0x7fc00000
	s_and_saveexec_b64 s[22:23], vcc
	s_cbranch_execz .LBB49_358
; %bb.355:
	s_mov_b64 s[26:27], 1
	s_mov_b64 s[24:25], 0
	v_mov_b32_e32 v2, 1.0
	v_mov_b32_e32 v11, v3
.LBB49_356:                             ; =>This Inner Loop Header: Depth=1
	s_flbit_i32_b32 s28, s27
	s_min_u32 s30, s28, 32
	s_lshl_b64 s[28:29], s[26:27], s30
	s_min_u32 s28, s28, 1
	s_or_b32 s28, s29, s28
	v_cvt_f32_u32_e32 v38, s28
	s_sub_i32 s30, 32, s30
	s_add_u32 s26, s26, 1
	s_addc_u32 s27, s27, 0
	v_ldexp_f32 v38, v38, s30
	v_cmp_eq_u64_e32 vcc, s[26:27], v[12:13]
	v_mul_f32_e32 v38, v2, v38
	s_or_b64 s[24:25], vcc, s[24:25]
	v_mov_b32_e32 v2, v11
	v_fma_f32 v11, v3, v11, -v38
	s_andn2_b64 exec, exec, s[24:25]
	s_cbranch_execnz .LBB49_356
; %bb.357:
	s_or_b64 exec, exec, s[24:25]
.LBB49_358:
	s_or_b64 exec, exec, s[22:23]
.LBB49_359:
	s_andn2_saveexec_b64 s[20:21], s[20:21]
; %bb.360:
	v_mov_b32_e32 v11, v3
; %bb.361:
	s_or_b64 exec, exec, s[20:21]
.LBB49_362:
	s_or_b64 exec, exec, s[14:15]
.LBB49_363:
	s_or_b64 exec, exec, s[10:11]
	v_lshlrev_b32_e32 v2, 16, v41
	v_trunc_f32_e32 v2, v2
	s_mov_b32 s10, 0x2f800000
	v_mul_f32_e64 v3, |v2|, s10
	v_floor_f32_e32 v3, v3
	s_mov_b32 s10, 0xcf800000
	v_fma_f32 v12, v3, s10, |v2|
	v_cvt_u32_f32_e32 v12, v12
	v_cvt_u32_f32_e32 v3, v3
	v_ashrrev_i32_e32 v13, 31, v2
	v_xor_b32_e32 v2, v12, v13
	v_xor_b32_e32 v3, v3, v13
	v_sub_co_u32_e32 v2, vcc, v2, v13
	v_subb_co_u32_e32 v3, vcc, v3, v13, vcc
	v_cmp_lt_i64_e32 vcc, -1, v[2:3]
	v_mov_b32_e32 v12, 0
	s_and_saveexec_b64 s[10:11], vcc
	s_cbranch_execz .LBB49_375
; %bb.364:
	v_cmp_lt_i64_e32 vcc, 0, v[2:3]
	v_mov_b32_e32 v12, 1.0
	s_and_saveexec_b64 s[14:15], vcc
	s_cbranch_execz .LBB49_374
; %bb.365:
	v_cmp_ne_u64_e32 vcc, 1, v[2:3]
	s_and_saveexec_b64 s[20:21], vcc
	s_xor_b64 s[20:21], exec, s[20:21]
	s_cbranch_execz .LBB49_371
; %bb.366:
	s_mov_b64 s[22:23], 0x81
	v_cmp_gt_u64_e32 vcc, s[22:23], v[2:3]
	v_mov_b32_e32 v12, 0x7fc00000
	s_and_saveexec_b64 s[22:23], vcc
	s_cbranch_execz .LBB49_370
; %bb.367:
	s_mov_b64 s[26:27], 1
	s_mov_b64 s[24:25], 0
	v_mov_b32_e32 v13, 1.0
	v_mov_b32_e32 v12, v4
.LBB49_368:                             ; =>This Inner Loop Header: Depth=1
	s_flbit_i32_b32 s28, s27
	s_min_u32 s30, s28, 32
	s_lshl_b64 s[28:29], s[26:27], s30
	s_min_u32 s28, s28, 1
	s_or_b32 s28, s29, s28
	v_cvt_f32_u32_e32 v38, s28
	s_sub_i32 s30, 32, s30
	s_add_u32 s26, s26, 1
	s_addc_u32 s27, s27, 0
	v_ldexp_f32 v38, v38, s30
	v_cmp_eq_u64_e32 vcc, s[26:27], v[2:3]
	v_mul_f32_e32 v38, v13, v38
	s_or_b64 s[24:25], vcc, s[24:25]
	v_mov_b32_e32 v13, v12
	v_fma_f32 v12, v4, v12, -v38
	s_andn2_b64 exec, exec, s[24:25]
	s_cbranch_execnz .LBB49_368
; %bb.369:
	s_or_b64 exec, exec, s[24:25]
.LBB49_370:
	s_or_b64 exec, exec, s[22:23]
.LBB49_371:
	s_andn2_saveexec_b64 s[20:21], s[20:21]
; %bb.372:
	v_mov_b32_e32 v12, v4
; %bb.373:
	s_or_b64 exec, exec, s[20:21]
.LBB49_374:
	s_or_b64 exec, exec, s[14:15]
.LBB49_375:
	s_or_b64 exec, exec, s[10:11]
	v_and_b32_e32 v2, 0xffff0000, v41
	v_trunc_f32_e32 v2, v2
	s_mov_b32 s10, 0x2f800000
	v_mul_f32_e64 v3, |v2|, s10
	v_floor_f32_e32 v3, v3
	s_mov_b32 s10, 0xcf800000
	v_fma_f32 v4, v3, s10, |v2|
	v_cvt_u32_f32_e32 v4, v4
	v_cvt_u32_f32_e32 v3, v3
	v_ashrrev_i32_e32 v13, 31, v2
	v_xor_b32_e32 v2, v4, v13
	v_xor_b32_e32 v3, v3, v13
	v_sub_co_u32_e32 v2, vcc, v2, v13
	v_subb_co_u32_e32 v3, vcc, v3, v13, vcc
	v_cmp_lt_i64_e32 vcc, -1, v[2:3]
	v_mov_b32_e32 v13, 0
	s_and_saveexec_b64 s[10:11], vcc
	s_cbranch_execz .LBB49_387
; %bb.376:
	v_cmp_lt_i64_e32 vcc, 0, v[2:3]
	v_mov_b32_e32 v13, 1.0
	s_and_saveexec_b64 s[14:15], vcc
	s_cbranch_execz .LBB49_386
; %bb.377:
	v_cmp_ne_u64_e32 vcc, 1, v[2:3]
	s_and_saveexec_b64 s[20:21], vcc
	s_xor_b64 s[20:21], exec, s[20:21]
	s_cbranch_execz .LBB49_383
; %bb.378:
	s_mov_b64 s[22:23], 0x81
	v_cmp_gt_u64_e32 vcc, s[22:23], v[2:3]
	v_mov_b32_e32 v13, 0x7fc00000
	s_and_saveexec_b64 s[22:23], vcc
	s_cbranch_execz .LBB49_382
; %bb.379:
	s_mov_b64 s[26:27], 1
	s_mov_b64 s[24:25], 0
	v_mov_b32_e32 v4, 1.0
	v_mov_b32_e32 v13, v5
.LBB49_380:                             ; =>This Inner Loop Header: Depth=1
	s_flbit_i32_b32 s28, s27
	s_min_u32 s30, s28, 32
	s_lshl_b64 s[28:29], s[26:27], s30
	s_min_u32 s28, s28, 1
	s_or_b32 s28, s29, s28
	v_cvt_f32_u32_e32 v38, s28
	s_sub_i32 s30, 32, s30
	s_add_u32 s26, s26, 1
	s_addc_u32 s27, s27, 0
	v_ldexp_f32 v38, v38, s30
	v_cmp_eq_u64_e32 vcc, s[26:27], v[2:3]
	v_mul_f32_e32 v38, v4, v38
	s_or_b64 s[24:25], vcc, s[24:25]
	v_mov_b32_e32 v4, v13
	v_fma_f32 v13, v5, v13, -v38
	s_andn2_b64 exec, exec, s[24:25]
	s_cbranch_execnz .LBB49_380
; %bb.381:
	s_or_b64 exec, exec, s[24:25]
.LBB49_382:
	s_or_b64 exec, exec, s[22:23]
                                        ; implicit-def: $vgpr5
.LBB49_383:
	s_andn2_saveexec_b64 s[20:21], s[20:21]
; %bb.384:
	v_mov_b32_e32 v13, v5
; %bb.385:
	s_or_b64 exec, exec, s[20:21]
.LBB49_386:
	s_or_b64 exec, exec, s[14:15]
.LBB49_387:
	s_or_b64 exec, exec, s[10:11]
	s_add_u32 s8, s16, s8
	s_addc_u32 s9, s17, s9
	v_mov_b32_e32 v2, s9
	v_add_co_u32_e32 v4, vcc, s8, v55
	v_addc_co_u32_e32 v5, vcc, 0, v2, vcc
	v_add_co_u32_e32 v2, vcc, 0x2000, v4
	v_addc_co_u32_e32 v3, vcc, 0, v5, vcc
	global_store_dwordx4 v55, v[6:9], s[8:9]
	global_store_dwordx4 v[2:3], v[14:17], off
	global_store_dwordx4 v56, v[22:25], s[8:9]
	v_add_co_u32_e32 v2, vcc, 0x6000, v4
	v_addc_co_u32_e32 v3, vcc, 0, v5, vcc
	global_store_dwordx4 v[2:3], v[30:33], off
	global_store_dwordx4 v54, v[34:37], s[8:9]
	v_add_co_u32_e32 v2, vcc, 0xa000, v4
	v_addc_co_u32_e32 v3, vcc, 0, v5, vcc
	;; [unrolled: 4-line block ×3, first 2 shown]
	global_store_dwordx4 v[2:3], v[10:13], off
	s_branch .LBB49_2
.LBB49_388:
	s_load_dword s10, s[4:5], 0x24
	s_load_dwordx4 s[20:23], s[4:5], 0x28
	s_add_u32 s8, s4, 56
	s_addc_u32 s9, s5, 0
	v_mov_b32_e32 v31, v0
	s_waitcnt lgkmcnt(0)
	v_lshrrev_b16_e64 v8, 8, s10
	v_mov_b32_e32 v0, s16
	v_mov_b32_e32 v1, s17
	;; [unrolled: 1-line block ×12, first 2 shown]
	s_getpc_b64 s[4:5]
	s_add_u32 s4, s4, _ZN2at6native25elementwise_kernel_helperILb1ENS0_13BinaryFunctorIfffZZZNS0_12_GLOBAL__N_133hermite_polynomial_he_kernel_cudaERNS_18TensorIteratorBaseEENKUlvE_clEvENKUlvE0_clEvEUlffE_EENS0_6memory8policies11unroll_baseILi512ESt5arrayIPcLm3EE23TrivialOffsetCalculatorILi2EjESG_ILi1EjENSA_12LoadWithCastILi2EEENSA_13StoreWithCastILi1EEELi32ELi1EEEEEvT0_T1_@rel32@lo+4
	s_addc_u32 s5, s5, _ZN2at6native25elementwise_kernel_helperILb1ENS0_13BinaryFunctorIfffZZZNS0_12_GLOBAL__N_133hermite_polynomial_he_kernel_cudaERNS_18TensorIteratorBaseEENKUlvE_clEvENKUlvE0_clEvEUlffE_EENS0_6memory8policies11unroll_baseILi512ESt5arrayIPcLm3EE23TrivialOffsetCalculatorILi2EjESG_ILi1EjENSA_12LoadWithCastILi2EEENSA_13StoreWithCastILi1EEELi32ELi1EEEEEvT0_T1_@rel32@hi+12
	s_swappc_b64 s[30:31], s[4:5]
	s_endpgm
	.section	.rodata,"a",@progbits
	.p2align	6, 0x0
	.amdhsa_kernel _ZN2at6native39vectorized_templated_elementwise_kernelILi4ENS0_13BinaryFunctorIfffZZZNS0_12_GLOBAL__N_133hermite_polynomial_he_kernel_cudaERNS_18TensorIteratorBaseEENKUlvE_clEvENKUlvE0_clEvEUlffE_EESt5arrayIPcLm3EE23TrivialOffsetCalculatorILi2EjESD_ILi1EjENS0_6memory12LoadWithCastILi2EEENSG_13StoreWithCastILi1EEEfJfN3c108BFloat16EEEEviT0_T1_T2_T3_T4_T5_
		.amdhsa_group_segment_fixed_size 0
		.amdhsa_private_segment_fixed_size 288
		.amdhsa_kernarg_size 312
		.amdhsa_user_sgpr_count 8
		.amdhsa_user_sgpr_private_segment_buffer 1
		.amdhsa_user_sgpr_dispatch_ptr 0
		.amdhsa_user_sgpr_queue_ptr 0
		.amdhsa_user_sgpr_kernarg_segment_ptr 1
		.amdhsa_user_sgpr_dispatch_id 0
		.amdhsa_user_sgpr_flat_scratch_init 1
		.amdhsa_user_sgpr_kernarg_preload_length 0
		.amdhsa_user_sgpr_kernarg_preload_offset 0
		.amdhsa_user_sgpr_private_segment_size 0
		.amdhsa_uses_dynamic_stack 0
		.amdhsa_system_sgpr_private_segment_wavefront_offset 1
		.amdhsa_system_sgpr_workgroup_id_x 1
		.amdhsa_system_sgpr_workgroup_id_y 0
		.amdhsa_system_sgpr_workgroup_id_z 0
		.amdhsa_system_sgpr_workgroup_info 0
		.amdhsa_system_vgpr_workitem_id 0
		.amdhsa_next_free_vgpr 120
		.amdhsa_next_free_sgpr 98
		.amdhsa_accum_offset 120
		.amdhsa_reserve_vcc 1
		.amdhsa_reserve_flat_scratch 1
		.amdhsa_float_round_mode_32 0
		.amdhsa_float_round_mode_16_64 0
		.amdhsa_float_denorm_mode_32 3
		.amdhsa_float_denorm_mode_16_64 3
		.amdhsa_dx10_clamp 1
		.amdhsa_ieee_mode 1
		.amdhsa_fp16_overflow 0
		.amdhsa_tg_split 0
		.amdhsa_exception_fp_ieee_invalid_op 0
		.amdhsa_exception_fp_denorm_src 0
		.amdhsa_exception_fp_ieee_div_zero 0
		.amdhsa_exception_fp_ieee_overflow 0
		.amdhsa_exception_fp_ieee_underflow 0
		.amdhsa_exception_fp_ieee_inexact 0
		.amdhsa_exception_int_div_zero 0
	.end_amdhsa_kernel
	.section	.text._ZN2at6native39vectorized_templated_elementwise_kernelILi4ENS0_13BinaryFunctorIfffZZZNS0_12_GLOBAL__N_133hermite_polynomial_he_kernel_cudaERNS_18TensorIteratorBaseEENKUlvE_clEvENKUlvE0_clEvEUlffE_EESt5arrayIPcLm3EE23TrivialOffsetCalculatorILi2EjESD_ILi1EjENS0_6memory12LoadWithCastILi2EEENSG_13StoreWithCastILi1EEEfJfN3c108BFloat16EEEEviT0_T1_T2_T3_T4_T5_,"axG",@progbits,_ZN2at6native39vectorized_templated_elementwise_kernelILi4ENS0_13BinaryFunctorIfffZZZNS0_12_GLOBAL__N_133hermite_polynomial_he_kernel_cudaERNS_18TensorIteratorBaseEENKUlvE_clEvENKUlvE0_clEvEUlffE_EESt5arrayIPcLm3EE23TrivialOffsetCalculatorILi2EjESD_ILi1EjENS0_6memory12LoadWithCastILi2EEENSG_13StoreWithCastILi1EEEfJfN3c108BFloat16EEEEviT0_T1_T2_T3_T4_T5_,comdat
.Lfunc_end49:
	.size	_ZN2at6native39vectorized_templated_elementwise_kernelILi4ENS0_13BinaryFunctorIfffZZZNS0_12_GLOBAL__N_133hermite_polynomial_he_kernel_cudaERNS_18TensorIteratorBaseEENKUlvE_clEvENKUlvE0_clEvEUlffE_EESt5arrayIPcLm3EE23TrivialOffsetCalculatorILi2EjESD_ILi1EjENS0_6memory12LoadWithCastILi2EEENSG_13StoreWithCastILi1EEEfJfN3c108BFloat16EEEEviT0_T1_T2_T3_T4_T5_, .Lfunc_end49-_ZN2at6native39vectorized_templated_elementwise_kernelILi4ENS0_13BinaryFunctorIfffZZZNS0_12_GLOBAL__N_133hermite_polynomial_he_kernel_cudaERNS_18TensorIteratorBaseEENKUlvE_clEvENKUlvE0_clEvEUlffE_EESt5arrayIPcLm3EE23TrivialOffsetCalculatorILi2EjESD_ILi1EjENS0_6memory12LoadWithCastILi2EEENSG_13StoreWithCastILi1EEEfJfN3c108BFloat16EEEEviT0_T1_T2_T3_T4_T5_
                                        ; -- End function
	.section	.AMDGPU.csdata,"",@progbits
; Kernel info:
; codeLenInByte = 9360
; NumSgprs: 104
; NumVgprs: 120
; NumAgprs: 0
; TotalNumVgprs: 120
; ScratchSize: 288
; MemoryBound: 0
; FloatMode: 240
; IeeeMode: 1
; LDSByteSize: 0 bytes/workgroup (compile time only)
; SGPRBlocks: 12
; VGPRBlocks: 14
; NumSGPRsForWavesPerEU: 104
; NumVGPRsForWavesPerEU: 120
; AccumOffset: 120
; Occupancy: 4
; WaveLimiterHint : 0
; COMPUTE_PGM_RSRC2:SCRATCH_EN: 1
; COMPUTE_PGM_RSRC2:USER_SGPR: 8
; COMPUTE_PGM_RSRC2:TRAP_HANDLER: 0
; COMPUTE_PGM_RSRC2:TGID_X_EN: 1
; COMPUTE_PGM_RSRC2:TGID_Y_EN: 0
; COMPUTE_PGM_RSRC2:TGID_Z_EN: 0
; COMPUTE_PGM_RSRC2:TIDIG_COMP_CNT: 0
; COMPUTE_PGM_RSRC3_GFX90A:ACCUM_OFFSET: 29
; COMPUTE_PGM_RSRC3_GFX90A:TG_SPLIT: 0
	.section	.text._ZN2at6native39vectorized_templated_elementwise_kernelILi2ENS0_13BinaryFunctorIfffZZZNS0_12_GLOBAL__N_133hermite_polynomial_he_kernel_cudaERNS_18TensorIteratorBaseEENKUlvE_clEvENKUlvE0_clEvEUlffE_EESt5arrayIPcLm3EE23TrivialOffsetCalculatorILi2EjESD_ILi1EjENS0_6memory12LoadWithCastILi2EEENSG_13StoreWithCastILi1EEEfJfN3c108BFloat16EEEEviT0_T1_T2_T3_T4_T5_,"axG",@progbits,_ZN2at6native39vectorized_templated_elementwise_kernelILi2ENS0_13BinaryFunctorIfffZZZNS0_12_GLOBAL__N_133hermite_polynomial_he_kernel_cudaERNS_18TensorIteratorBaseEENKUlvE_clEvENKUlvE0_clEvEUlffE_EESt5arrayIPcLm3EE23TrivialOffsetCalculatorILi2EjESD_ILi1EjENS0_6memory12LoadWithCastILi2EEENSG_13StoreWithCastILi1EEEfJfN3c108BFloat16EEEEviT0_T1_T2_T3_T4_T5_,comdat
	.globl	_ZN2at6native39vectorized_templated_elementwise_kernelILi2ENS0_13BinaryFunctorIfffZZZNS0_12_GLOBAL__N_133hermite_polynomial_he_kernel_cudaERNS_18TensorIteratorBaseEENKUlvE_clEvENKUlvE0_clEvEUlffE_EESt5arrayIPcLm3EE23TrivialOffsetCalculatorILi2EjESD_ILi1EjENS0_6memory12LoadWithCastILi2EEENSG_13StoreWithCastILi1EEEfJfN3c108BFloat16EEEEviT0_T1_T2_T3_T4_T5_ ; -- Begin function _ZN2at6native39vectorized_templated_elementwise_kernelILi2ENS0_13BinaryFunctorIfffZZZNS0_12_GLOBAL__N_133hermite_polynomial_he_kernel_cudaERNS_18TensorIteratorBaseEENKUlvE_clEvENKUlvE0_clEvEUlffE_EESt5arrayIPcLm3EE23TrivialOffsetCalculatorILi2EjESD_ILi1EjENS0_6memory12LoadWithCastILi2EEENSG_13StoreWithCastILi1EEEfJfN3c108BFloat16EEEEviT0_T1_T2_T3_T4_T5_
	.p2align	8
	.type	_ZN2at6native39vectorized_templated_elementwise_kernelILi2ENS0_13BinaryFunctorIfffZZZNS0_12_GLOBAL__N_133hermite_polynomial_he_kernel_cudaERNS_18TensorIteratorBaseEENKUlvE_clEvENKUlvE0_clEvEUlffE_EESt5arrayIPcLm3EE23TrivialOffsetCalculatorILi2EjESD_ILi1EjENS0_6memory12LoadWithCastILi2EEENSG_13StoreWithCastILi1EEEfJfN3c108BFloat16EEEEviT0_T1_T2_T3_T4_T5_,@function
_ZN2at6native39vectorized_templated_elementwise_kernelILi2ENS0_13BinaryFunctorIfffZZZNS0_12_GLOBAL__N_133hermite_polynomial_he_kernel_cudaERNS_18TensorIteratorBaseEENKUlvE_clEvENKUlvE0_clEvEUlffE_EESt5arrayIPcLm3EE23TrivialOffsetCalculatorILi2EjESD_ILi1EjENS0_6memory12LoadWithCastILi2EEENSG_13StoreWithCastILi1EEEfJfN3c108BFloat16EEEEviT0_T1_T2_T3_T4_T5_: ; @_ZN2at6native39vectorized_templated_elementwise_kernelILi2ENS0_13BinaryFunctorIfffZZZNS0_12_GLOBAL__N_133hermite_polynomial_he_kernel_cudaERNS_18TensorIteratorBaseEENKUlvE_clEvENKUlvE0_clEvEUlffE_EESt5arrayIPcLm3EE23TrivialOffsetCalculatorILi2EjESD_ILi1EjENS0_6memory12LoadWithCastILi2EEENSG_13StoreWithCastILi1EEEfJfN3c108BFloat16EEEEviT0_T1_T2_T3_T4_T5_
; %bb.0:
	s_add_u32 flat_scratch_lo, s6, s9
	s_addc_u32 flat_scratch_hi, s7, 0
	s_add_u32 s0, s0, s9
	s_mov_b32 s12, s8
	s_load_dword s8, s[4:5], 0x38
	s_load_dwordx2 s[6:7], s[4:5], 0x18
	s_load_dword s9, s[4:5], 0x0
	s_load_dwordx4 s[16:19], s[4:5], 0x8
	s_addc_u32 s1, s1, 0
	s_not_b32 s10, s12
	s_waitcnt lgkmcnt(0)
	s_add_i32 s8, s8, s10
	s_lshl_b32 s14, s8, 14
	s_sub_i32 s13, s9, s14
	s_cmpk_gt_i32 s13, 0x3fff
	s_mov_b64 s[8:9], -1
	s_mov_b32 s32, 0
	s_cbranch_scc1 .LBB50_3
; %bb.1:
	s_and_b64 vcc, exec, s[8:9]
	s_cbranch_vccnz .LBB50_388
.LBB50_2:
	s_endpgm
.LBB50_3:
	s_ashr_i32 s15, s14, 31
	s_lshl_b64 s[8:9], s[14:15], 2
	s_add_u32 s10, s18, s8
	s_addc_u32 s11, s19, s9
	v_lshlrev_b32_e32 v1, 3, v0
	v_mov_b32_e32 v2, s11
	v_add_co_u32_e32 v10, vcc, s10, v1
	v_addc_co_u32_e32 v11, vcc, 0, v2, vcc
	v_add_co_u32_e32 v2, vcc, 0x1000, v10
	v_addc_co_u32_e32 v3, vcc, 0, v11, vcc
	s_lshl_b64 s[14:15], s[14:15], 1
	v_add_co_u32_e32 v4, vcc, 0x3000, v10
	s_add_u32 s14, s6, s14
	v_or_b32_e32 v14, 0x400, v0
	v_addc_co_u32_e32 v5, vcc, 0, v11, vcc
	s_addc_u32 s15, s7, s15
	v_lshlrev_b32_e32 v15, 2, v0
	v_lshlrev_b32_e32 v38, 3, v14
	global_load_dwordx2 v[8:9], v1, s[10:11]
	global_load_dwordx2 v[12:13], v[2:3], off
	global_load_dwordx2 v[16:17], v38, s[10:11]
	global_load_dwordx2 v[20:21], v[4:5], off
	v_add_co_u32_e32 v2, vcc, 0x5000, v10
	global_load_dword v5, v15, s[14:15]
	v_addc_co_u32_e32 v3, vcc, 0, v11, vcc
	v_or_b32_e32 v4, 0x800, v0
	v_add_co_u32_e32 v6, vcc, 0x7000, v10
	v_lshlrev_b32_e32 v44, 3, v4
	v_or_b32_e32 v36, 0xc00, v0
	v_addc_co_u32_e32 v7, vcc, 0, v11, vcc
	v_lshlrev_b32_e32 v42, 3, v36
	global_load_dwordx2 v[24:25], v44, s[10:11]
	global_load_dwordx2 v[28:29], v[2:3], off
	global_load_dwordx2 v[32:33], v42, s[10:11]
	global_load_dwordx2 v[34:35], v[6:7], off
	v_add_co_u32_e32 v2, vcc, 0x9000, v10
	v_addc_co_u32_e32 v3, vcc, 0, v11, vcc
	v_add_co_u32_e32 v6, vcc, 0xb000, v10
	v_addc_co_u32_e32 v7, vcc, 0, v11, vcc
	;; [unrolled: 2-line block ×3, first 2 shown]
	v_or_b32_e32 v37, 0x1000, v0
	v_add_co_u32_e32 v62, vcc, 0xf000, v10
	v_lshlrev_b32_e32 v43, 3, v37
	v_or_b32_e32 v45, 0x1400, v0
	v_addc_co_u32_e32 v63, vcc, 0, v11, vcc
	v_lshlrev_b32_e32 v40, 3, v45
	global_load_dwordx2 v[30:31], v43, s[10:11]
	global_load_dwordx2 v[26:27], v[2:3], off
	global_load_dwordx2 v[22:23], v40, s[10:11]
	global_load_dwordx2 v[18:19], v[6:7], off
	v_mov_b32_e32 v2, s15
	v_add_co_u32_e32 v64, vcc, s14, v15
	s_movk_i32 s20, 0x1000
	v_addc_co_u32_e32 v65, vcc, 0, v2, vcc
	v_add_co_u32_e32 v2, vcc, s20, v64
	v_addc_co_u32_e32 v3, vcc, 0, v65, vcc
	s_movk_i32 s20, 0x2000
	v_add_co_u32_e32 v6, vcc, s20, v64
	s_movk_i32 s21, 0x3000
	v_addc_co_u32_e32 v7, vcc, 0, v65, vcc
	v_add_co_u32_e32 v10, vcc, s21, v64
	v_addc_co_u32_e32 v11, vcc, 0, v65, vcc
	s_movk_i32 s20, 0x4000
	v_lshlrev_b32_e32 v14, 2, v14
	v_lshlrev_b32_e32 v4, 2, v4
	;; [unrolled: 1-line block ×3, first 2 shown]
	global_load_dword v59, v15, s[14:15] offset:2048
	global_load_dword v58, v14, s[14:15]
	global_load_dword v57, v[2:3], off offset:2048
	global_load_dword v56, v4, s[14:15]
	global_load_dword v55, v[6:7], off offset:2048
	global_load_dword v54, v36, s[14:15]
	global_load_dword v53, v[10:11], off offset:2048
	v_add_co_u32_e32 v2, vcc, s20, v64
	s_movk_i32 s22, 0x5000
	v_addc_co_u32_e32 v3, vcc, 0, v65, vcc
	v_add_co_u32_e32 v6, vcc, s22, v64
	v_addc_co_u32_e32 v7, vcc, 0, v65, vcc
	s_movk_i32 s20, 0x6000
	v_or_b32_e32 v46, 0x1800, v0
	v_lshlrev_b32_e32 v14, 2, v37
	v_add_co_u32_e32 v10, vcc, s20, v64
	v_lshlrev_b32_e32 v15, 2, v45
	v_lshlrev_b32_e32 v36, 2, v46
	v_addc_co_u32_e32 v11, vcc, 0, v65, vcc
	global_load_dword v52, v14, s[14:15]
	global_load_dword v51, v[2:3], off offset:2048
	global_load_dword v50, v15, s[14:15]
	global_load_dword v49, v[6:7], off offset:2048
	;; [unrolled: 2-line block ×3, first 2 shown]
	s_mov_b32 s20, 0x2f800000
	s_movk_i32 s23, 0x7000
	v_add_co_u32_e32 v64, vcc, s23, v64
	s_waitcnt vmcnt(21)
	v_lshlrev_b32_e32 v4, 16, v5
	v_trunc_f32_e32 v2, v4
	v_mul_f32_e64 v3, |v2|, s20
	v_floor_f32_e32 v3, v3
	s_mov_b32 s20, 0xcf800000
	v_fma_f32 v4, v3, s20, |v2|
	v_cvt_u32_f32_e32 v4, v4
	v_cvt_u32_f32_e32 v3, v3
	v_ashrrev_i32_e32 v2, 31, v2
	v_addc_co_u32_e32 v65, vcc, 0, v65, vcc
	v_xor_b32_e32 v4, v4, v2
	v_lshlrev_b32_e32 v41, 3, v46
	v_or_b32_e32 v66, 0x1c00, v0
	v_xor_b32_e32 v3, v3, v2
	v_sub_co_u32_e32 v36, vcc, v4, v2
	v_lshlrev_b32_e32 v39, 3, v66
	v_subb_co_u32_e32 v37, vcc, v3, v2, vcc
	global_load_dwordx2 v[14:15], v41, s[10:11]
	global_load_dwordx2 v[10:11], v[60:61], off
	global_load_dwordx2 v[6:7], v39, s[10:11]
	global_load_dwordx2 v[2:3], v[62:63], off
	v_lshlrev_b32_e32 v4, 2, v66
	global_load_dword v46, v4, s[14:15]
	global_load_dword v45, v[64:65], off offset:2048
	v_cmp_lt_i64_e32 vcc, -1, v[36:37]
	v_mov_b32_e32 v4, 0
	s_and_saveexec_b64 s[10:11], vcc
	s_cbranch_execz .LBB50_15
; %bb.4:
	v_cmp_lt_i64_e32 vcc, 0, v[36:37]
	v_mov_b32_e32 v4, 1.0
	s_and_saveexec_b64 s[14:15], vcc
	s_cbranch_execz .LBB50_14
; %bb.5:
	v_cmp_ne_u64_e32 vcc, 1, v[36:37]
                                        ; implicit-def: $vgpr4
	s_and_saveexec_b64 s[20:21], vcc
	s_xor_b64 s[20:21], exec, s[20:21]
	s_cbranch_execz .LBB50_11
; %bb.6:
	s_mov_b64 s[22:23], 0x81
	v_cmp_gt_u64_e32 vcc, s[22:23], v[36:37]
	v_mov_b32_e32 v4, 0x7fc00000
	s_and_saveexec_b64 s[22:23], vcc
	s_cbranch_execz .LBB50_10
; %bb.7:
	s_mov_b64 s[26:27], 1
	s_mov_b64 s[24:25], 0
	v_mov_b32_e32 v60, 1.0
	v_mov_b32_e32 v4, v8
.LBB50_8:                               ; =>This Inner Loop Header: Depth=1
	s_flbit_i32_b32 s28, s27
	s_min_u32 s30, s28, 32
	s_lshl_b64 s[28:29], s[26:27], s30
	s_min_u32 s28, s28, 1
	s_or_b32 s28, s29, s28
	v_cvt_f32_u32_e32 v61, s28
	s_sub_i32 s30, 32, s30
	s_add_u32 s26, s26, 1
	s_addc_u32 s27, s27, 0
	v_ldexp_f32 v61, v61, s30
	v_cmp_eq_u64_e32 vcc, s[26:27], v[36:37]
	v_mul_f32_e32 v61, v60, v61
	s_or_b64 s[24:25], vcc, s[24:25]
	v_mov_b32_e32 v60, v4
	v_fma_f32 v4, v8, v4, -v61
	s_andn2_b64 exec, exec, s[24:25]
	s_cbranch_execnz .LBB50_8
; %bb.9:
	s_or_b64 exec, exec, s[24:25]
.LBB50_10:
	s_or_b64 exec, exec, s[22:23]
.LBB50_11:
	s_andn2_saveexec_b64 s[20:21], s[20:21]
; %bb.12:
	v_mov_b32_e32 v4, v8
; %bb.13:
	s_or_b64 exec, exec, s[20:21]
.LBB50_14:
	s_or_b64 exec, exec, s[14:15]
.LBB50_15:
	s_or_b64 exec, exec, s[10:11]
	v_and_b32_e32 v5, 0xffff0000, v5
	v_trunc_f32_e32 v5, v5
	s_mov_b32 s10, 0x2f800000
	v_mul_f32_e64 v8, |v5|, s10
	v_floor_f32_e32 v8, v8
	s_mov_b32 s10, 0xcf800000
	v_fma_f32 v36, v8, s10, |v5|
	v_cvt_u32_f32_e32 v36, v36
	v_cvt_u32_f32_e32 v8, v8
	v_ashrrev_i32_e32 v5, 31, v5
	v_xor_b32_e32 v36, v36, v5
	v_xor_b32_e32 v8, v8, v5
	v_sub_co_u32_e32 v36, vcc, v36, v5
	v_subb_co_u32_e32 v37, vcc, v8, v5, vcc
	v_cmp_lt_i64_e32 vcc, -1, v[36:37]
	v_mov_b32_e32 v5, 0
	s_and_saveexec_b64 s[10:11], vcc
	s_cbranch_execz .LBB50_27
; %bb.16:
	v_cmp_lt_i64_e32 vcc, 0, v[36:37]
	v_mov_b32_e32 v5, 1.0
	s_and_saveexec_b64 s[14:15], vcc
	s_cbranch_execz .LBB50_26
; %bb.17:
	v_cmp_ne_u64_e32 vcc, 1, v[36:37]
	s_and_saveexec_b64 s[20:21], vcc
	s_xor_b64 s[20:21], exec, s[20:21]
	s_cbranch_execz .LBB50_23
; %bb.18:
	s_mov_b64 s[22:23], 0x81
	v_cmp_gt_u64_e32 vcc, s[22:23], v[36:37]
	v_mov_b32_e32 v5, 0x7fc00000
	s_and_saveexec_b64 s[22:23], vcc
	s_cbranch_execz .LBB50_22
; %bb.19:
	s_mov_b64 s[26:27], 1
	s_mov_b64 s[24:25], 0
	v_mov_b32_e32 v8, 1.0
	v_mov_b32_e32 v5, v9
.LBB50_20:                              ; =>This Inner Loop Header: Depth=1
	s_flbit_i32_b32 s28, s27
	s_min_u32 s30, s28, 32
	s_lshl_b64 s[28:29], s[26:27], s30
	s_min_u32 s28, s28, 1
	s_or_b32 s28, s29, s28
	v_cvt_f32_u32_e32 v60, s28
	s_sub_i32 s30, 32, s30
	s_add_u32 s26, s26, 1
	s_addc_u32 s27, s27, 0
	v_ldexp_f32 v60, v60, s30
	v_cmp_eq_u64_e32 vcc, s[26:27], v[36:37]
	v_mul_f32_e32 v60, v8, v60
	s_or_b64 s[24:25], vcc, s[24:25]
	v_mov_b32_e32 v8, v5
	v_fma_f32 v5, v9, v5, -v60
	s_andn2_b64 exec, exec, s[24:25]
	s_cbranch_execnz .LBB50_20
; %bb.21:
	s_or_b64 exec, exec, s[24:25]
.LBB50_22:
	s_or_b64 exec, exec, s[22:23]
                                        ; implicit-def: $vgpr9
.LBB50_23:
	s_andn2_saveexec_b64 s[20:21], s[20:21]
; %bb.24:
	v_mov_b32_e32 v5, v9
; %bb.25:
	s_or_b64 exec, exec, s[20:21]
.LBB50_26:
	s_or_b64 exec, exec, s[14:15]
.LBB50_27:
	s_or_b64 exec, exec, s[10:11]
	s_waitcnt vmcnt(18)
	v_lshlrev_b32_e32 v8, 16, v59
	v_trunc_f32_e32 v8, v8
	s_mov_b32 s10, 0x2f800000
	v_mul_f32_e64 v9, |v8|, s10
	v_floor_f32_e32 v9, v9
	s_mov_b32 s10, 0xcf800000
	v_fma_f32 v36, v9, s10, |v8|
	v_cvt_u32_f32_e32 v36, v36
	v_cvt_u32_f32_e32 v9, v9
	v_ashrrev_i32_e32 v8, 31, v8
	v_xor_b32_e32 v36, v36, v8
	v_xor_b32_e32 v9, v9, v8
	v_sub_co_u32_e32 v36, vcc, v36, v8
	v_subb_co_u32_e32 v37, vcc, v9, v8, vcc
	v_cmp_lt_i64_e32 vcc, -1, v[36:37]
	v_mov_b32_e32 v8, 0
	s_and_saveexec_b64 s[10:11], vcc
	s_cbranch_execz .LBB50_39
; %bb.28:
	v_cmp_lt_i64_e32 vcc, 0, v[36:37]
	v_mov_b32_e32 v8, 1.0
	s_and_saveexec_b64 s[14:15], vcc
	s_cbranch_execz .LBB50_38
; %bb.29:
	v_cmp_ne_u64_e32 vcc, 1, v[36:37]
                                        ; implicit-def: $vgpr8
	s_and_saveexec_b64 s[20:21], vcc
	s_xor_b64 s[20:21], exec, s[20:21]
	s_cbranch_execz .LBB50_35
; %bb.30:
	s_mov_b64 s[22:23], 0x81
	v_cmp_gt_u64_e32 vcc, s[22:23], v[36:37]
	v_mov_b32_e32 v8, 0x7fc00000
	s_and_saveexec_b64 s[22:23], vcc
	s_cbranch_execz .LBB50_34
; %bb.31:
	s_mov_b64 s[26:27], 1
	s_mov_b64 s[24:25], 0
	v_mov_b32_e32 v9, 1.0
	v_mov_b32_e32 v8, v12
.LBB50_32:                              ; =>This Inner Loop Header: Depth=1
	s_flbit_i32_b32 s28, s27
	s_min_u32 s30, s28, 32
	s_lshl_b64 s[28:29], s[26:27], s30
	s_min_u32 s28, s28, 1
	s_or_b32 s28, s29, s28
	v_cvt_f32_u32_e32 v60, s28
	s_sub_i32 s30, 32, s30
	s_add_u32 s26, s26, 1
	s_addc_u32 s27, s27, 0
	v_ldexp_f32 v60, v60, s30
	v_cmp_eq_u64_e32 vcc, s[26:27], v[36:37]
	v_mul_f32_e32 v60, v9, v60
	s_or_b64 s[24:25], vcc, s[24:25]
	v_mov_b32_e32 v9, v8
	v_fma_f32 v8, v12, v8, -v60
	s_andn2_b64 exec, exec, s[24:25]
	s_cbranch_execnz .LBB50_32
; %bb.33:
	s_or_b64 exec, exec, s[24:25]
.LBB50_34:
	s_or_b64 exec, exec, s[22:23]
.LBB50_35:
	s_andn2_saveexec_b64 s[20:21], s[20:21]
; %bb.36:
	v_mov_b32_e32 v8, v12
; %bb.37:
	s_or_b64 exec, exec, s[20:21]
.LBB50_38:
	s_or_b64 exec, exec, s[14:15]
.LBB50_39:
	s_or_b64 exec, exec, s[10:11]
	v_and_b32_e32 v9, 0xffff0000, v59
	v_trunc_f32_e32 v9, v9
	s_mov_b32 s10, 0x2f800000
	v_mul_f32_e64 v12, |v9|, s10
	v_floor_f32_e32 v12, v12
	s_mov_b32 s10, 0xcf800000
	v_fma_f32 v36, v12, s10, |v9|
	v_cvt_u32_f32_e32 v36, v36
	v_cvt_u32_f32_e32 v12, v12
	v_ashrrev_i32_e32 v9, 31, v9
	v_xor_b32_e32 v36, v36, v9
	v_xor_b32_e32 v12, v12, v9
	v_sub_co_u32_e32 v36, vcc, v36, v9
	v_subb_co_u32_e32 v37, vcc, v12, v9, vcc
	v_cmp_lt_i64_e32 vcc, -1, v[36:37]
	v_mov_b32_e32 v9, 0
	s_and_saveexec_b64 s[10:11], vcc
	s_cbranch_execz .LBB50_51
; %bb.40:
	v_cmp_lt_i64_e32 vcc, 0, v[36:37]
	v_mov_b32_e32 v9, 1.0
	s_and_saveexec_b64 s[14:15], vcc
	s_cbranch_execz .LBB50_50
; %bb.41:
	v_cmp_ne_u64_e32 vcc, 1, v[36:37]
	s_and_saveexec_b64 s[20:21], vcc
	s_xor_b64 s[20:21], exec, s[20:21]
	s_cbranch_execz .LBB50_47
; %bb.42:
	s_mov_b64 s[22:23], 0x81
	v_cmp_gt_u64_e32 vcc, s[22:23], v[36:37]
	v_mov_b32_e32 v9, 0x7fc00000
	s_and_saveexec_b64 s[22:23], vcc
	s_cbranch_execz .LBB50_46
; %bb.43:
	s_mov_b64 s[26:27], 1
	s_mov_b64 s[24:25], 0
	v_mov_b32_e32 v12, 1.0
	v_mov_b32_e32 v9, v13
.LBB50_44:                              ; =>This Inner Loop Header: Depth=1
	s_flbit_i32_b32 s28, s27
	s_min_u32 s30, s28, 32
	s_lshl_b64 s[28:29], s[26:27], s30
	s_min_u32 s28, s28, 1
	s_or_b32 s28, s29, s28
	v_cvt_f32_u32_e32 v59, s28
	s_sub_i32 s30, 32, s30
	s_add_u32 s26, s26, 1
	s_addc_u32 s27, s27, 0
	v_ldexp_f32 v59, v59, s30
	v_cmp_eq_u64_e32 vcc, s[26:27], v[36:37]
	v_mul_f32_e32 v59, v12, v59
	s_or_b64 s[24:25], vcc, s[24:25]
	v_mov_b32_e32 v12, v9
	v_fma_f32 v9, v13, v9, -v59
	s_andn2_b64 exec, exec, s[24:25]
	s_cbranch_execnz .LBB50_44
; %bb.45:
	s_or_b64 exec, exec, s[24:25]
.LBB50_46:
	s_or_b64 exec, exec, s[22:23]
                                        ; implicit-def: $vgpr13
.LBB50_47:
	s_andn2_saveexec_b64 s[20:21], s[20:21]
; %bb.48:
	v_mov_b32_e32 v9, v13
; %bb.49:
	s_or_b64 exec, exec, s[20:21]
.LBB50_50:
	s_or_b64 exec, exec, s[14:15]
.LBB50_51:
	s_or_b64 exec, exec, s[10:11]
	s_waitcnt vmcnt(17)
	v_lshlrev_b32_e32 v12, 16, v58
	v_trunc_f32_e32 v12, v12
	s_mov_b32 s10, 0x2f800000
	v_mul_f32_e64 v13, |v12|, s10
	v_floor_f32_e32 v13, v13
	s_mov_b32 s10, 0xcf800000
	v_fma_f32 v36, v13, s10, |v12|
	v_cvt_u32_f32_e32 v36, v36
	v_cvt_u32_f32_e32 v13, v13
	v_ashrrev_i32_e32 v12, 31, v12
	v_xor_b32_e32 v36, v36, v12
	v_xor_b32_e32 v13, v13, v12
	v_sub_co_u32_e32 v36, vcc, v36, v12
	v_subb_co_u32_e32 v37, vcc, v13, v12, vcc
	v_cmp_lt_i64_e32 vcc, -1, v[36:37]
	v_mov_b32_e32 v12, 0
	s_and_saveexec_b64 s[10:11], vcc
	s_cbranch_execz .LBB50_63
; %bb.52:
	v_cmp_lt_i64_e32 vcc, 0, v[36:37]
	v_mov_b32_e32 v12, 1.0
	s_and_saveexec_b64 s[14:15], vcc
	s_cbranch_execz .LBB50_62
; %bb.53:
	v_cmp_ne_u64_e32 vcc, 1, v[36:37]
                                        ; implicit-def: $vgpr12
	s_and_saveexec_b64 s[20:21], vcc
	s_xor_b64 s[20:21], exec, s[20:21]
	s_cbranch_execz .LBB50_59
; %bb.54:
	s_mov_b64 s[22:23], 0x81
	v_cmp_gt_u64_e32 vcc, s[22:23], v[36:37]
	v_mov_b32_e32 v12, 0x7fc00000
	s_and_saveexec_b64 s[22:23], vcc
	s_cbranch_execz .LBB50_58
; %bb.55:
	s_mov_b64 s[26:27], 1
	s_mov_b64 s[24:25], 0
	v_mov_b32_e32 v13, 1.0
	v_mov_b32_e32 v12, v16
.LBB50_56:                              ; =>This Inner Loop Header: Depth=1
	s_flbit_i32_b32 s28, s27
	s_min_u32 s30, s28, 32
	s_lshl_b64 s[28:29], s[26:27], s30
	s_min_u32 s28, s28, 1
	s_or_b32 s28, s29, s28
	v_cvt_f32_u32_e32 v59, s28
	s_sub_i32 s30, 32, s30
	s_add_u32 s26, s26, 1
	s_addc_u32 s27, s27, 0
	v_ldexp_f32 v59, v59, s30
	v_cmp_eq_u64_e32 vcc, s[26:27], v[36:37]
	v_mul_f32_e32 v59, v13, v59
	s_or_b64 s[24:25], vcc, s[24:25]
	v_mov_b32_e32 v13, v12
	v_fma_f32 v12, v16, v12, -v59
	s_andn2_b64 exec, exec, s[24:25]
	s_cbranch_execnz .LBB50_56
; %bb.57:
	s_or_b64 exec, exec, s[24:25]
.LBB50_58:
	s_or_b64 exec, exec, s[22:23]
.LBB50_59:
	s_andn2_saveexec_b64 s[20:21], s[20:21]
; %bb.60:
	v_mov_b32_e32 v12, v16
; %bb.61:
	s_or_b64 exec, exec, s[20:21]
.LBB50_62:
	s_or_b64 exec, exec, s[14:15]
.LBB50_63:
	s_or_b64 exec, exec, s[10:11]
	v_and_b32_e32 v13, 0xffff0000, v58
	v_trunc_f32_e32 v13, v13
	s_mov_b32 s10, 0x2f800000
	v_mul_f32_e64 v16, |v13|, s10
	v_floor_f32_e32 v16, v16
	s_mov_b32 s10, 0xcf800000
	v_fma_f32 v36, v16, s10, |v13|
	v_cvt_u32_f32_e32 v36, v36
	v_cvt_u32_f32_e32 v16, v16
	v_ashrrev_i32_e32 v13, 31, v13
	v_xor_b32_e32 v36, v36, v13
	v_xor_b32_e32 v16, v16, v13
	v_sub_co_u32_e32 v36, vcc, v36, v13
	v_subb_co_u32_e32 v37, vcc, v16, v13, vcc
	v_cmp_lt_i64_e32 vcc, -1, v[36:37]
	v_mov_b32_e32 v13, 0
	s_and_saveexec_b64 s[10:11], vcc
	s_cbranch_execz .LBB50_75
; %bb.64:
	v_cmp_lt_i64_e32 vcc, 0, v[36:37]
	v_mov_b32_e32 v13, 1.0
	s_and_saveexec_b64 s[14:15], vcc
	s_cbranch_execz .LBB50_74
; %bb.65:
	v_cmp_ne_u64_e32 vcc, 1, v[36:37]
	s_and_saveexec_b64 s[20:21], vcc
	s_xor_b64 s[20:21], exec, s[20:21]
	s_cbranch_execz .LBB50_71
; %bb.66:
	s_mov_b64 s[22:23], 0x81
	v_cmp_gt_u64_e32 vcc, s[22:23], v[36:37]
	v_mov_b32_e32 v13, 0x7fc00000
	s_and_saveexec_b64 s[22:23], vcc
	s_cbranch_execz .LBB50_70
; %bb.67:
	s_mov_b64 s[26:27], 1
	s_mov_b64 s[24:25], 0
	v_mov_b32_e32 v16, 1.0
	v_mov_b32_e32 v13, v17
.LBB50_68:                              ; =>This Inner Loop Header: Depth=1
	s_flbit_i32_b32 s28, s27
	s_min_u32 s30, s28, 32
	s_lshl_b64 s[28:29], s[26:27], s30
	s_min_u32 s28, s28, 1
	s_or_b32 s28, s29, s28
	v_cvt_f32_u32_e32 v58, s28
	s_sub_i32 s30, 32, s30
	s_add_u32 s26, s26, 1
	s_addc_u32 s27, s27, 0
	v_ldexp_f32 v58, v58, s30
	v_cmp_eq_u64_e32 vcc, s[26:27], v[36:37]
	v_mul_f32_e32 v58, v16, v58
	s_or_b64 s[24:25], vcc, s[24:25]
	v_mov_b32_e32 v16, v13
	v_fma_f32 v13, v17, v13, -v58
	s_andn2_b64 exec, exec, s[24:25]
	s_cbranch_execnz .LBB50_68
; %bb.69:
	s_or_b64 exec, exec, s[24:25]
.LBB50_70:
	s_or_b64 exec, exec, s[22:23]
                                        ; implicit-def: $vgpr17
.LBB50_71:
	s_andn2_saveexec_b64 s[20:21], s[20:21]
; %bb.72:
	v_mov_b32_e32 v13, v17
; %bb.73:
	s_or_b64 exec, exec, s[20:21]
.LBB50_74:
	s_or_b64 exec, exec, s[14:15]
.LBB50_75:
	s_or_b64 exec, exec, s[10:11]
	s_waitcnt vmcnt(16)
	v_lshlrev_b32_e32 v16, 16, v57
	v_trunc_f32_e32 v16, v16
	s_mov_b32 s10, 0x2f800000
	v_mul_f32_e64 v17, |v16|, s10
	v_floor_f32_e32 v17, v17
	s_mov_b32 s10, 0xcf800000
	v_fma_f32 v36, v17, s10, |v16|
	v_cvt_u32_f32_e32 v36, v36
	v_cvt_u32_f32_e32 v17, v17
	v_ashrrev_i32_e32 v16, 31, v16
	v_xor_b32_e32 v36, v36, v16
	v_xor_b32_e32 v17, v17, v16
	v_sub_co_u32_e32 v36, vcc, v36, v16
	v_subb_co_u32_e32 v37, vcc, v17, v16, vcc
	v_cmp_lt_i64_e32 vcc, -1, v[36:37]
	v_mov_b32_e32 v16, 0
	s_and_saveexec_b64 s[10:11], vcc
	s_cbranch_execz .LBB50_87
; %bb.76:
	v_cmp_lt_i64_e32 vcc, 0, v[36:37]
	v_mov_b32_e32 v16, 1.0
	s_and_saveexec_b64 s[14:15], vcc
	s_cbranch_execz .LBB50_86
; %bb.77:
	v_cmp_ne_u64_e32 vcc, 1, v[36:37]
                                        ; implicit-def: $vgpr16
	s_and_saveexec_b64 s[20:21], vcc
	s_xor_b64 s[20:21], exec, s[20:21]
	s_cbranch_execz .LBB50_83
; %bb.78:
	s_mov_b64 s[22:23], 0x81
	v_cmp_gt_u64_e32 vcc, s[22:23], v[36:37]
	v_mov_b32_e32 v16, 0x7fc00000
	s_and_saveexec_b64 s[22:23], vcc
	s_cbranch_execz .LBB50_82
; %bb.79:
	s_mov_b64 s[26:27], 1
	s_mov_b64 s[24:25], 0
	v_mov_b32_e32 v17, 1.0
	v_mov_b32_e32 v16, v20
.LBB50_80:                              ; =>This Inner Loop Header: Depth=1
	s_flbit_i32_b32 s28, s27
	s_min_u32 s30, s28, 32
	s_lshl_b64 s[28:29], s[26:27], s30
	s_min_u32 s28, s28, 1
	s_or_b32 s28, s29, s28
	v_cvt_f32_u32_e32 v58, s28
	s_sub_i32 s30, 32, s30
	s_add_u32 s26, s26, 1
	s_addc_u32 s27, s27, 0
	v_ldexp_f32 v58, v58, s30
	v_cmp_eq_u64_e32 vcc, s[26:27], v[36:37]
	v_mul_f32_e32 v58, v17, v58
	s_or_b64 s[24:25], vcc, s[24:25]
	v_mov_b32_e32 v17, v16
	v_fma_f32 v16, v20, v16, -v58
	s_andn2_b64 exec, exec, s[24:25]
	s_cbranch_execnz .LBB50_80
; %bb.81:
	s_or_b64 exec, exec, s[24:25]
.LBB50_82:
	s_or_b64 exec, exec, s[22:23]
.LBB50_83:
	s_andn2_saveexec_b64 s[20:21], s[20:21]
; %bb.84:
	v_mov_b32_e32 v16, v20
; %bb.85:
	s_or_b64 exec, exec, s[20:21]
.LBB50_86:
	s_or_b64 exec, exec, s[14:15]
.LBB50_87:
	s_or_b64 exec, exec, s[10:11]
	v_and_b32_e32 v17, 0xffff0000, v57
	v_trunc_f32_e32 v17, v17
	s_mov_b32 s10, 0x2f800000
	v_mul_f32_e64 v20, |v17|, s10
	v_floor_f32_e32 v20, v20
	s_mov_b32 s10, 0xcf800000
	v_fma_f32 v36, v20, s10, |v17|
	v_cvt_u32_f32_e32 v36, v36
	v_cvt_u32_f32_e32 v20, v20
	v_ashrrev_i32_e32 v17, 31, v17
	v_xor_b32_e32 v36, v36, v17
	v_xor_b32_e32 v20, v20, v17
	v_sub_co_u32_e32 v36, vcc, v36, v17
	v_subb_co_u32_e32 v37, vcc, v20, v17, vcc
	v_cmp_lt_i64_e32 vcc, -1, v[36:37]
	v_mov_b32_e32 v17, 0
	s_and_saveexec_b64 s[10:11], vcc
	s_cbranch_execz .LBB50_99
; %bb.88:
	v_cmp_lt_i64_e32 vcc, 0, v[36:37]
	v_mov_b32_e32 v17, 1.0
	s_and_saveexec_b64 s[14:15], vcc
	s_cbranch_execz .LBB50_98
; %bb.89:
	v_cmp_ne_u64_e32 vcc, 1, v[36:37]
	s_and_saveexec_b64 s[20:21], vcc
	s_xor_b64 s[20:21], exec, s[20:21]
	s_cbranch_execz .LBB50_95
; %bb.90:
	s_mov_b64 s[22:23], 0x81
	v_cmp_gt_u64_e32 vcc, s[22:23], v[36:37]
	v_mov_b32_e32 v17, 0x7fc00000
	s_and_saveexec_b64 s[22:23], vcc
	s_cbranch_execz .LBB50_94
; %bb.91:
	s_mov_b64 s[26:27], 1
	s_mov_b64 s[24:25], 0
	v_mov_b32_e32 v20, 1.0
	v_mov_b32_e32 v17, v21
.LBB50_92:                              ; =>This Inner Loop Header: Depth=1
	s_flbit_i32_b32 s28, s27
	s_min_u32 s30, s28, 32
	s_lshl_b64 s[28:29], s[26:27], s30
	s_min_u32 s28, s28, 1
	s_or_b32 s28, s29, s28
	v_cvt_f32_u32_e32 v57, s28
	s_sub_i32 s30, 32, s30
	s_add_u32 s26, s26, 1
	s_addc_u32 s27, s27, 0
	v_ldexp_f32 v57, v57, s30
	v_cmp_eq_u64_e32 vcc, s[26:27], v[36:37]
	v_mul_f32_e32 v57, v20, v57
	s_or_b64 s[24:25], vcc, s[24:25]
	v_mov_b32_e32 v20, v17
	v_fma_f32 v17, v21, v17, -v57
	s_andn2_b64 exec, exec, s[24:25]
	s_cbranch_execnz .LBB50_92
; %bb.93:
	s_or_b64 exec, exec, s[24:25]
.LBB50_94:
	s_or_b64 exec, exec, s[22:23]
                                        ; implicit-def: $vgpr21
.LBB50_95:
	s_andn2_saveexec_b64 s[20:21], s[20:21]
; %bb.96:
	v_mov_b32_e32 v17, v21
; %bb.97:
	s_or_b64 exec, exec, s[20:21]
.LBB50_98:
	s_or_b64 exec, exec, s[14:15]
.LBB50_99:
	s_or_b64 exec, exec, s[10:11]
	s_waitcnt vmcnt(15)
	v_lshlrev_b32_e32 v20, 16, v56
	v_trunc_f32_e32 v20, v20
	s_mov_b32 s10, 0x2f800000
	v_mul_f32_e64 v21, |v20|, s10
	v_floor_f32_e32 v21, v21
	s_mov_b32 s10, 0xcf800000
	v_fma_f32 v36, v21, s10, |v20|
	v_cvt_u32_f32_e32 v36, v36
	v_cvt_u32_f32_e32 v21, v21
	v_ashrrev_i32_e32 v20, 31, v20
	v_xor_b32_e32 v36, v36, v20
	v_xor_b32_e32 v21, v21, v20
	v_sub_co_u32_e32 v36, vcc, v36, v20
	v_subb_co_u32_e32 v37, vcc, v21, v20, vcc
	v_cmp_lt_i64_e32 vcc, -1, v[36:37]
	v_mov_b32_e32 v20, 0
	s_and_saveexec_b64 s[10:11], vcc
	s_cbranch_execz .LBB50_111
; %bb.100:
	v_cmp_lt_i64_e32 vcc, 0, v[36:37]
	v_mov_b32_e32 v20, 1.0
	s_and_saveexec_b64 s[14:15], vcc
	s_cbranch_execz .LBB50_110
; %bb.101:
	v_cmp_ne_u64_e32 vcc, 1, v[36:37]
                                        ; implicit-def: $vgpr20
	s_and_saveexec_b64 s[20:21], vcc
	s_xor_b64 s[20:21], exec, s[20:21]
	s_cbranch_execz .LBB50_107
; %bb.102:
	s_mov_b64 s[22:23], 0x81
	v_cmp_gt_u64_e32 vcc, s[22:23], v[36:37]
	v_mov_b32_e32 v20, 0x7fc00000
	s_and_saveexec_b64 s[22:23], vcc
	s_cbranch_execz .LBB50_106
; %bb.103:
	s_mov_b64 s[26:27], 1
	s_mov_b64 s[24:25], 0
	v_mov_b32_e32 v21, 1.0
	v_mov_b32_e32 v20, v24
.LBB50_104:                             ; =>This Inner Loop Header: Depth=1
	s_flbit_i32_b32 s28, s27
	s_min_u32 s30, s28, 32
	s_lshl_b64 s[28:29], s[26:27], s30
	s_min_u32 s28, s28, 1
	s_or_b32 s28, s29, s28
	v_cvt_f32_u32_e32 v57, s28
	s_sub_i32 s30, 32, s30
	s_add_u32 s26, s26, 1
	s_addc_u32 s27, s27, 0
	v_ldexp_f32 v57, v57, s30
	v_cmp_eq_u64_e32 vcc, s[26:27], v[36:37]
	v_mul_f32_e32 v57, v21, v57
	s_or_b64 s[24:25], vcc, s[24:25]
	v_mov_b32_e32 v21, v20
	v_fma_f32 v20, v24, v20, -v57
	s_andn2_b64 exec, exec, s[24:25]
	s_cbranch_execnz .LBB50_104
; %bb.105:
	s_or_b64 exec, exec, s[24:25]
.LBB50_106:
	s_or_b64 exec, exec, s[22:23]
.LBB50_107:
	s_andn2_saveexec_b64 s[20:21], s[20:21]
; %bb.108:
	v_mov_b32_e32 v20, v24
; %bb.109:
	s_or_b64 exec, exec, s[20:21]
.LBB50_110:
	s_or_b64 exec, exec, s[14:15]
.LBB50_111:
	s_or_b64 exec, exec, s[10:11]
	v_and_b32_e32 v21, 0xffff0000, v56
	v_trunc_f32_e32 v21, v21
	s_mov_b32 s10, 0x2f800000
	v_mul_f32_e64 v24, |v21|, s10
	v_floor_f32_e32 v24, v24
	s_mov_b32 s10, 0xcf800000
	v_fma_f32 v36, v24, s10, |v21|
	v_cvt_u32_f32_e32 v36, v36
	v_cvt_u32_f32_e32 v24, v24
	v_ashrrev_i32_e32 v21, 31, v21
	v_xor_b32_e32 v36, v36, v21
	v_xor_b32_e32 v24, v24, v21
	v_sub_co_u32_e32 v36, vcc, v36, v21
	v_subb_co_u32_e32 v37, vcc, v24, v21, vcc
	v_cmp_lt_i64_e32 vcc, -1, v[36:37]
	v_mov_b32_e32 v21, 0
	s_and_saveexec_b64 s[10:11], vcc
	s_cbranch_execz .LBB50_123
; %bb.112:
	v_cmp_lt_i64_e32 vcc, 0, v[36:37]
	v_mov_b32_e32 v21, 1.0
	s_and_saveexec_b64 s[14:15], vcc
	s_cbranch_execz .LBB50_122
; %bb.113:
	v_cmp_ne_u64_e32 vcc, 1, v[36:37]
	s_and_saveexec_b64 s[20:21], vcc
	s_xor_b64 s[20:21], exec, s[20:21]
	s_cbranch_execz .LBB50_119
; %bb.114:
	s_mov_b64 s[22:23], 0x81
	v_cmp_gt_u64_e32 vcc, s[22:23], v[36:37]
	v_mov_b32_e32 v21, 0x7fc00000
	s_and_saveexec_b64 s[22:23], vcc
	s_cbranch_execz .LBB50_118
; %bb.115:
	s_mov_b64 s[26:27], 1
	s_mov_b64 s[24:25], 0
	v_mov_b32_e32 v24, 1.0
	v_mov_b32_e32 v21, v25
.LBB50_116:                             ; =>This Inner Loop Header: Depth=1
	s_flbit_i32_b32 s28, s27
	s_min_u32 s30, s28, 32
	s_lshl_b64 s[28:29], s[26:27], s30
	s_min_u32 s28, s28, 1
	s_or_b32 s28, s29, s28
	v_cvt_f32_u32_e32 v56, s28
	s_sub_i32 s30, 32, s30
	s_add_u32 s26, s26, 1
	s_addc_u32 s27, s27, 0
	v_ldexp_f32 v56, v56, s30
	v_cmp_eq_u64_e32 vcc, s[26:27], v[36:37]
	v_mul_f32_e32 v56, v24, v56
	s_or_b64 s[24:25], vcc, s[24:25]
	v_mov_b32_e32 v24, v21
	v_fma_f32 v21, v25, v21, -v56
	s_andn2_b64 exec, exec, s[24:25]
	s_cbranch_execnz .LBB50_116
; %bb.117:
	s_or_b64 exec, exec, s[24:25]
.LBB50_118:
	s_or_b64 exec, exec, s[22:23]
                                        ; implicit-def: $vgpr25
.LBB50_119:
	s_andn2_saveexec_b64 s[20:21], s[20:21]
; %bb.120:
	v_mov_b32_e32 v21, v25
; %bb.121:
	s_or_b64 exec, exec, s[20:21]
.LBB50_122:
	s_or_b64 exec, exec, s[14:15]
.LBB50_123:
	s_or_b64 exec, exec, s[10:11]
	s_waitcnt vmcnt(14)
	v_lshlrev_b32_e32 v24, 16, v55
	v_trunc_f32_e32 v24, v24
	s_mov_b32 s10, 0x2f800000
	v_mul_f32_e64 v25, |v24|, s10
	v_floor_f32_e32 v25, v25
	s_mov_b32 s10, 0xcf800000
	v_fma_f32 v36, v25, s10, |v24|
	v_cvt_u32_f32_e32 v36, v36
	v_cvt_u32_f32_e32 v25, v25
	v_ashrrev_i32_e32 v24, 31, v24
	v_xor_b32_e32 v36, v36, v24
	v_xor_b32_e32 v25, v25, v24
	v_sub_co_u32_e32 v36, vcc, v36, v24
	v_subb_co_u32_e32 v37, vcc, v25, v24, vcc
	v_cmp_lt_i64_e32 vcc, -1, v[36:37]
	v_mov_b32_e32 v24, 0
	s_and_saveexec_b64 s[10:11], vcc
	s_cbranch_execz .LBB50_135
; %bb.124:
	v_cmp_lt_i64_e32 vcc, 0, v[36:37]
	v_mov_b32_e32 v24, 1.0
	s_and_saveexec_b64 s[14:15], vcc
	s_cbranch_execz .LBB50_134
; %bb.125:
	v_cmp_ne_u64_e32 vcc, 1, v[36:37]
                                        ; implicit-def: $vgpr24
	s_and_saveexec_b64 s[20:21], vcc
	s_xor_b64 s[20:21], exec, s[20:21]
	s_cbranch_execz .LBB50_131
; %bb.126:
	s_mov_b64 s[22:23], 0x81
	v_cmp_gt_u64_e32 vcc, s[22:23], v[36:37]
	v_mov_b32_e32 v24, 0x7fc00000
	s_and_saveexec_b64 s[22:23], vcc
	s_cbranch_execz .LBB50_130
; %bb.127:
	s_mov_b64 s[26:27], 1
	s_mov_b64 s[24:25], 0
	v_mov_b32_e32 v25, 1.0
	v_mov_b32_e32 v24, v28
.LBB50_128:                             ; =>This Inner Loop Header: Depth=1
	s_flbit_i32_b32 s28, s27
	s_min_u32 s30, s28, 32
	s_lshl_b64 s[28:29], s[26:27], s30
	s_min_u32 s28, s28, 1
	s_or_b32 s28, s29, s28
	v_cvt_f32_u32_e32 v56, s28
	s_sub_i32 s30, 32, s30
	s_add_u32 s26, s26, 1
	s_addc_u32 s27, s27, 0
	v_ldexp_f32 v56, v56, s30
	v_cmp_eq_u64_e32 vcc, s[26:27], v[36:37]
	v_mul_f32_e32 v56, v25, v56
	s_or_b64 s[24:25], vcc, s[24:25]
	v_mov_b32_e32 v25, v24
	v_fma_f32 v24, v28, v24, -v56
	s_andn2_b64 exec, exec, s[24:25]
	s_cbranch_execnz .LBB50_128
; %bb.129:
	s_or_b64 exec, exec, s[24:25]
.LBB50_130:
	s_or_b64 exec, exec, s[22:23]
.LBB50_131:
	s_andn2_saveexec_b64 s[20:21], s[20:21]
; %bb.132:
	v_mov_b32_e32 v24, v28
; %bb.133:
	s_or_b64 exec, exec, s[20:21]
.LBB50_134:
	s_or_b64 exec, exec, s[14:15]
.LBB50_135:
	s_or_b64 exec, exec, s[10:11]
	v_and_b32_e32 v25, 0xffff0000, v55
	v_trunc_f32_e32 v25, v25
	s_mov_b32 s10, 0x2f800000
	v_mul_f32_e64 v28, |v25|, s10
	v_floor_f32_e32 v28, v28
	s_mov_b32 s10, 0xcf800000
	v_fma_f32 v36, v28, s10, |v25|
	v_cvt_u32_f32_e32 v36, v36
	v_cvt_u32_f32_e32 v28, v28
	v_ashrrev_i32_e32 v25, 31, v25
	v_xor_b32_e32 v36, v36, v25
	v_xor_b32_e32 v28, v28, v25
	v_sub_co_u32_e32 v36, vcc, v36, v25
	v_subb_co_u32_e32 v37, vcc, v28, v25, vcc
	v_cmp_lt_i64_e32 vcc, -1, v[36:37]
	v_mov_b32_e32 v25, 0
	s_and_saveexec_b64 s[10:11], vcc
	s_cbranch_execz .LBB50_147
; %bb.136:
	v_cmp_lt_i64_e32 vcc, 0, v[36:37]
	v_mov_b32_e32 v25, 1.0
	s_and_saveexec_b64 s[14:15], vcc
	s_cbranch_execz .LBB50_146
; %bb.137:
	v_cmp_ne_u64_e32 vcc, 1, v[36:37]
	s_and_saveexec_b64 s[20:21], vcc
	s_xor_b64 s[20:21], exec, s[20:21]
	s_cbranch_execz .LBB50_143
; %bb.138:
	s_mov_b64 s[22:23], 0x81
	v_cmp_gt_u64_e32 vcc, s[22:23], v[36:37]
	v_mov_b32_e32 v25, 0x7fc00000
	s_and_saveexec_b64 s[22:23], vcc
	s_cbranch_execz .LBB50_142
; %bb.139:
	s_mov_b64 s[26:27], 1
	s_mov_b64 s[24:25], 0
	v_mov_b32_e32 v28, 1.0
	v_mov_b32_e32 v25, v29
.LBB50_140:                             ; =>This Inner Loop Header: Depth=1
	s_flbit_i32_b32 s28, s27
	s_min_u32 s30, s28, 32
	s_lshl_b64 s[28:29], s[26:27], s30
	s_min_u32 s28, s28, 1
	s_or_b32 s28, s29, s28
	v_cvt_f32_u32_e32 v55, s28
	s_sub_i32 s30, 32, s30
	s_add_u32 s26, s26, 1
	s_addc_u32 s27, s27, 0
	v_ldexp_f32 v55, v55, s30
	v_cmp_eq_u64_e32 vcc, s[26:27], v[36:37]
	v_mul_f32_e32 v55, v28, v55
	s_or_b64 s[24:25], vcc, s[24:25]
	v_mov_b32_e32 v28, v25
	v_fma_f32 v25, v29, v25, -v55
	s_andn2_b64 exec, exec, s[24:25]
	s_cbranch_execnz .LBB50_140
; %bb.141:
	s_or_b64 exec, exec, s[24:25]
.LBB50_142:
	s_or_b64 exec, exec, s[22:23]
                                        ; implicit-def: $vgpr29
.LBB50_143:
	s_andn2_saveexec_b64 s[20:21], s[20:21]
; %bb.144:
	v_mov_b32_e32 v25, v29
; %bb.145:
	s_or_b64 exec, exec, s[20:21]
.LBB50_146:
	s_or_b64 exec, exec, s[14:15]
.LBB50_147:
	s_or_b64 exec, exec, s[10:11]
	s_waitcnt vmcnt(13)
	v_lshlrev_b32_e32 v28, 16, v54
	v_trunc_f32_e32 v28, v28
	s_mov_b32 s10, 0x2f800000
	v_mul_f32_e64 v29, |v28|, s10
	v_floor_f32_e32 v29, v29
	s_mov_b32 s10, 0xcf800000
	v_fma_f32 v36, v29, s10, |v28|
	v_cvt_u32_f32_e32 v36, v36
	v_cvt_u32_f32_e32 v29, v29
	v_ashrrev_i32_e32 v28, 31, v28
	v_xor_b32_e32 v36, v36, v28
	v_xor_b32_e32 v29, v29, v28
	v_sub_co_u32_e32 v36, vcc, v36, v28
	v_subb_co_u32_e32 v37, vcc, v29, v28, vcc
	v_cmp_lt_i64_e32 vcc, -1, v[36:37]
	v_mov_b32_e32 v28, 0
	s_and_saveexec_b64 s[10:11], vcc
	s_cbranch_execz .LBB50_159
; %bb.148:
	v_cmp_lt_i64_e32 vcc, 0, v[36:37]
	v_mov_b32_e32 v28, 1.0
	s_and_saveexec_b64 s[14:15], vcc
	s_cbranch_execz .LBB50_158
; %bb.149:
	v_cmp_ne_u64_e32 vcc, 1, v[36:37]
                                        ; implicit-def: $vgpr28
	s_and_saveexec_b64 s[20:21], vcc
	s_xor_b64 s[20:21], exec, s[20:21]
	s_cbranch_execz .LBB50_155
; %bb.150:
	s_mov_b64 s[22:23], 0x81
	v_cmp_gt_u64_e32 vcc, s[22:23], v[36:37]
	v_mov_b32_e32 v28, 0x7fc00000
	s_and_saveexec_b64 s[22:23], vcc
	s_cbranch_execz .LBB50_154
; %bb.151:
	s_mov_b64 s[26:27], 1
	s_mov_b64 s[24:25], 0
	v_mov_b32_e32 v29, 1.0
	v_mov_b32_e32 v28, v32
.LBB50_152:                             ; =>This Inner Loop Header: Depth=1
	s_flbit_i32_b32 s28, s27
	s_min_u32 s30, s28, 32
	s_lshl_b64 s[28:29], s[26:27], s30
	s_min_u32 s28, s28, 1
	s_or_b32 s28, s29, s28
	v_cvt_f32_u32_e32 v55, s28
	s_sub_i32 s30, 32, s30
	s_add_u32 s26, s26, 1
	s_addc_u32 s27, s27, 0
	v_ldexp_f32 v55, v55, s30
	v_cmp_eq_u64_e32 vcc, s[26:27], v[36:37]
	v_mul_f32_e32 v55, v29, v55
	s_or_b64 s[24:25], vcc, s[24:25]
	v_mov_b32_e32 v29, v28
	v_fma_f32 v28, v32, v28, -v55
	s_andn2_b64 exec, exec, s[24:25]
	s_cbranch_execnz .LBB50_152
; %bb.153:
	s_or_b64 exec, exec, s[24:25]
.LBB50_154:
	s_or_b64 exec, exec, s[22:23]
.LBB50_155:
	s_andn2_saveexec_b64 s[20:21], s[20:21]
; %bb.156:
	v_mov_b32_e32 v28, v32
; %bb.157:
	s_or_b64 exec, exec, s[20:21]
.LBB50_158:
	s_or_b64 exec, exec, s[14:15]
.LBB50_159:
	s_or_b64 exec, exec, s[10:11]
	v_and_b32_e32 v29, 0xffff0000, v54
	v_trunc_f32_e32 v29, v29
	s_mov_b32 s10, 0x2f800000
	v_mul_f32_e64 v32, |v29|, s10
	v_floor_f32_e32 v32, v32
	s_mov_b32 s10, 0xcf800000
	v_fma_f32 v36, v32, s10, |v29|
	v_cvt_u32_f32_e32 v36, v36
	v_cvt_u32_f32_e32 v32, v32
	v_ashrrev_i32_e32 v29, 31, v29
	v_xor_b32_e32 v36, v36, v29
	v_xor_b32_e32 v32, v32, v29
	v_sub_co_u32_e32 v36, vcc, v36, v29
	v_subb_co_u32_e32 v37, vcc, v32, v29, vcc
	v_cmp_lt_i64_e32 vcc, -1, v[36:37]
	v_mov_b32_e32 v29, 0
	s_and_saveexec_b64 s[10:11], vcc
	s_cbranch_execz .LBB50_171
; %bb.160:
	v_cmp_lt_i64_e32 vcc, 0, v[36:37]
	v_mov_b32_e32 v29, 1.0
	s_and_saveexec_b64 s[14:15], vcc
	s_cbranch_execz .LBB50_170
; %bb.161:
	v_cmp_ne_u64_e32 vcc, 1, v[36:37]
	s_and_saveexec_b64 s[20:21], vcc
	s_xor_b64 s[20:21], exec, s[20:21]
	s_cbranch_execz .LBB50_167
; %bb.162:
	s_mov_b64 s[22:23], 0x81
	v_cmp_gt_u64_e32 vcc, s[22:23], v[36:37]
	v_mov_b32_e32 v29, 0x7fc00000
	s_and_saveexec_b64 s[22:23], vcc
	s_cbranch_execz .LBB50_166
; %bb.163:
	s_mov_b64 s[26:27], 1
	s_mov_b64 s[24:25], 0
	v_mov_b32_e32 v32, 1.0
	v_mov_b32_e32 v29, v33
.LBB50_164:                             ; =>This Inner Loop Header: Depth=1
	s_flbit_i32_b32 s28, s27
	s_min_u32 s30, s28, 32
	s_lshl_b64 s[28:29], s[26:27], s30
	s_min_u32 s28, s28, 1
	s_or_b32 s28, s29, s28
	v_cvt_f32_u32_e32 v54, s28
	s_sub_i32 s30, 32, s30
	s_add_u32 s26, s26, 1
	s_addc_u32 s27, s27, 0
	v_ldexp_f32 v54, v54, s30
	v_cmp_eq_u64_e32 vcc, s[26:27], v[36:37]
	v_mul_f32_e32 v54, v32, v54
	s_or_b64 s[24:25], vcc, s[24:25]
	v_mov_b32_e32 v32, v29
	v_fma_f32 v29, v33, v29, -v54
	s_andn2_b64 exec, exec, s[24:25]
	s_cbranch_execnz .LBB50_164
; %bb.165:
	s_or_b64 exec, exec, s[24:25]
.LBB50_166:
	s_or_b64 exec, exec, s[22:23]
                                        ; implicit-def: $vgpr33
.LBB50_167:
	s_andn2_saveexec_b64 s[20:21], s[20:21]
; %bb.168:
	v_mov_b32_e32 v29, v33
; %bb.169:
	s_or_b64 exec, exec, s[20:21]
.LBB50_170:
	s_or_b64 exec, exec, s[14:15]
.LBB50_171:
	s_or_b64 exec, exec, s[10:11]
	s_waitcnt vmcnt(12)
	v_lshlrev_b32_e32 v32, 16, v53
	v_trunc_f32_e32 v32, v32
	s_mov_b32 s10, 0x2f800000
	v_mul_f32_e64 v33, |v32|, s10
	v_floor_f32_e32 v33, v33
	s_mov_b32 s10, 0xcf800000
	v_fma_f32 v36, v33, s10, |v32|
	v_cvt_u32_f32_e32 v36, v36
	v_cvt_u32_f32_e32 v33, v33
	v_ashrrev_i32_e32 v32, 31, v32
	v_xor_b32_e32 v36, v36, v32
	v_xor_b32_e32 v33, v33, v32
	v_sub_co_u32_e32 v36, vcc, v36, v32
	v_subb_co_u32_e32 v37, vcc, v33, v32, vcc
	v_cmp_lt_i64_e32 vcc, -1, v[36:37]
	v_mov_b32_e32 v32, 0
	s_and_saveexec_b64 s[10:11], vcc
	s_cbranch_execz .LBB50_183
; %bb.172:
	v_cmp_lt_i64_e32 vcc, 0, v[36:37]
	v_mov_b32_e32 v32, 1.0
	s_and_saveexec_b64 s[14:15], vcc
	s_cbranch_execz .LBB50_182
; %bb.173:
	v_cmp_ne_u64_e32 vcc, 1, v[36:37]
                                        ; implicit-def: $vgpr32
	s_and_saveexec_b64 s[20:21], vcc
	s_xor_b64 s[20:21], exec, s[20:21]
	s_cbranch_execz .LBB50_179
; %bb.174:
	s_mov_b64 s[22:23], 0x81
	v_cmp_gt_u64_e32 vcc, s[22:23], v[36:37]
	v_mov_b32_e32 v32, 0x7fc00000
	s_and_saveexec_b64 s[22:23], vcc
	s_cbranch_execz .LBB50_178
; %bb.175:
	s_mov_b64 s[26:27], 1
	s_mov_b64 s[24:25], 0
	v_mov_b32_e32 v33, 1.0
	v_mov_b32_e32 v32, v34
.LBB50_176:                             ; =>This Inner Loop Header: Depth=1
	s_flbit_i32_b32 s28, s27
	s_min_u32 s30, s28, 32
	s_lshl_b64 s[28:29], s[26:27], s30
	s_min_u32 s28, s28, 1
	s_or_b32 s28, s29, s28
	v_cvt_f32_u32_e32 v54, s28
	s_sub_i32 s30, 32, s30
	s_add_u32 s26, s26, 1
	s_addc_u32 s27, s27, 0
	v_ldexp_f32 v54, v54, s30
	v_cmp_eq_u64_e32 vcc, s[26:27], v[36:37]
	v_mul_f32_e32 v54, v33, v54
	s_or_b64 s[24:25], vcc, s[24:25]
	v_mov_b32_e32 v33, v32
	v_fma_f32 v32, v34, v32, -v54
	s_andn2_b64 exec, exec, s[24:25]
	s_cbranch_execnz .LBB50_176
; %bb.177:
	s_or_b64 exec, exec, s[24:25]
.LBB50_178:
	s_or_b64 exec, exec, s[22:23]
.LBB50_179:
	s_andn2_saveexec_b64 s[20:21], s[20:21]
; %bb.180:
	v_mov_b32_e32 v32, v34
; %bb.181:
	s_or_b64 exec, exec, s[20:21]
.LBB50_182:
	s_or_b64 exec, exec, s[14:15]
.LBB50_183:
	s_or_b64 exec, exec, s[10:11]
	v_and_b32_e32 v33, 0xffff0000, v53
	v_trunc_f32_e32 v33, v33
	s_mov_b32 s10, 0x2f800000
	v_mul_f32_e64 v34, |v33|, s10
	v_floor_f32_e32 v34, v34
	s_mov_b32 s10, 0xcf800000
	v_fma_f32 v36, v34, s10, |v33|
	v_cvt_u32_f32_e32 v36, v36
	v_cvt_u32_f32_e32 v34, v34
	v_ashrrev_i32_e32 v33, 31, v33
	v_xor_b32_e32 v36, v36, v33
	v_xor_b32_e32 v34, v34, v33
	v_sub_co_u32_e32 v36, vcc, v36, v33
	v_subb_co_u32_e32 v37, vcc, v34, v33, vcc
	v_cmp_lt_i64_e32 vcc, -1, v[36:37]
	v_mov_b32_e32 v33, 0
	s_and_saveexec_b64 s[10:11], vcc
	s_cbranch_execz .LBB50_195
; %bb.184:
	v_cmp_lt_i64_e32 vcc, 0, v[36:37]
	v_mov_b32_e32 v33, 1.0
	s_and_saveexec_b64 s[14:15], vcc
	s_cbranch_execz .LBB50_194
; %bb.185:
	v_cmp_ne_u64_e32 vcc, 1, v[36:37]
	s_and_saveexec_b64 s[20:21], vcc
	s_xor_b64 s[20:21], exec, s[20:21]
	s_cbranch_execz .LBB50_191
; %bb.186:
	s_mov_b64 s[22:23], 0x81
	v_cmp_gt_u64_e32 vcc, s[22:23], v[36:37]
	v_mov_b32_e32 v33, 0x7fc00000
	s_and_saveexec_b64 s[22:23], vcc
	s_cbranch_execz .LBB50_190
; %bb.187:
	s_mov_b64 s[26:27], 1
	s_mov_b64 s[24:25], 0
	v_mov_b32_e32 v34, 1.0
	v_mov_b32_e32 v33, v35
.LBB50_188:                             ; =>This Inner Loop Header: Depth=1
	s_flbit_i32_b32 s28, s27
	s_min_u32 s30, s28, 32
	s_lshl_b64 s[28:29], s[26:27], s30
	s_min_u32 s28, s28, 1
	s_or_b32 s28, s29, s28
	v_cvt_f32_u32_e32 v53, s28
	s_sub_i32 s30, 32, s30
	s_add_u32 s26, s26, 1
	s_addc_u32 s27, s27, 0
	v_ldexp_f32 v53, v53, s30
	v_cmp_eq_u64_e32 vcc, s[26:27], v[36:37]
	v_mul_f32_e32 v53, v34, v53
	s_or_b64 s[24:25], vcc, s[24:25]
	v_mov_b32_e32 v34, v33
	v_fma_f32 v33, v35, v33, -v53
	s_andn2_b64 exec, exec, s[24:25]
	s_cbranch_execnz .LBB50_188
; %bb.189:
	s_or_b64 exec, exec, s[24:25]
.LBB50_190:
	s_or_b64 exec, exec, s[22:23]
                                        ; implicit-def: $vgpr35
.LBB50_191:
	s_andn2_saveexec_b64 s[20:21], s[20:21]
; %bb.192:
	v_mov_b32_e32 v33, v35
; %bb.193:
	s_or_b64 exec, exec, s[20:21]
.LBB50_194:
	s_or_b64 exec, exec, s[14:15]
.LBB50_195:
	s_or_b64 exec, exec, s[10:11]
	s_waitcnt vmcnt(11)
	v_lshlrev_b32_e32 v34, 16, v52
	v_trunc_f32_e32 v34, v34
	s_mov_b32 s10, 0x2f800000
	v_mul_f32_e64 v35, |v34|, s10
	v_floor_f32_e32 v35, v35
	s_mov_b32 s10, 0xcf800000
	v_fma_f32 v36, v35, s10, |v34|
	v_cvt_u32_f32_e32 v36, v36
	v_cvt_u32_f32_e32 v35, v35
	v_ashrrev_i32_e32 v34, 31, v34
	v_xor_b32_e32 v36, v36, v34
	v_xor_b32_e32 v35, v35, v34
	v_sub_co_u32_e32 v36, vcc, v36, v34
	v_subb_co_u32_e32 v37, vcc, v35, v34, vcc
	v_cmp_lt_i64_e32 vcc, -1, v[36:37]
	v_mov_b32_e32 v34, 0
	s_and_saveexec_b64 s[10:11], vcc
	s_cbranch_execz .LBB50_207
; %bb.196:
	v_cmp_lt_i64_e32 vcc, 0, v[36:37]
	v_mov_b32_e32 v34, 1.0
	s_and_saveexec_b64 s[14:15], vcc
	s_cbranch_execz .LBB50_206
; %bb.197:
	v_cmp_ne_u64_e32 vcc, 1, v[36:37]
                                        ; implicit-def: $vgpr34
	s_and_saveexec_b64 s[20:21], vcc
	s_xor_b64 s[20:21], exec, s[20:21]
	s_cbranch_execz .LBB50_203
; %bb.198:
	s_mov_b64 s[22:23], 0x81
	v_cmp_gt_u64_e32 vcc, s[22:23], v[36:37]
	v_mov_b32_e32 v34, 0x7fc00000
	s_and_saveexec_b64 s[22:23], vcc
	s_cbranch_execz .LBB50_202
; %bb.199:
	s_mov_b64 s[26:27], 1
	s_mov_b64 s[24:25], 0
	v_mov_b32_e32 v35, 1.0
	v_mov_b32_e32 v34, v30
.LBB50_200:                             ; =>This Inner Loop Header: Depth=1
	s_flbit_i32_b32 s28, s27
	s_min_u32 s30, s28, 32
	s_lshl_b64 s[28:29], s[26:27], s30
	s_min_u32 s28, s28, 1
	s_or_b32 s28, s29, s28
	v_cvt_f32_u32_e32 v53, s28
	s_sub_i32 s30, 32, s30
	s_add_u32 s26, s26, 1
	s_addc_u32 s27, s27, 0
	v_ldexp_f32 v53, v53, s30
	v_cmp_eq_u64_e32 vcc, s[26:27], v[36:37]
	v_mul_f32_e32 v53, v35, v53
	s_or_b64 s[24:25], vcc, s[24:25]
	v_mov_b32_e32 v35, v34
	v_fma_f32 v34, v30, v34, -v53
	s_andn2_b64 exec, exec, s[24:25]
	s_cbranch_execnz .LBB50_200
; %bb.201:
	s_or_b64 exec, exec, s[24:25]
.LBB50_202:
	s_or_b64 exec, exec, s[22:23]
.LBB50_203:
	s_andn2_saveexec_b64 s[20:21], s[20:21]
; %bb.204:
	v_mov_b32_e32 v34, v30
; %bb.205:
	s_or_b64 exec, exec, s[20:21]
.LBB50_206:
	s_or_b64 exec, exec, s[14:15]
.LBB50_207:
	s_or_b64 exec, exec, s[10:11]
	v_and_b32_e32 v30, 0xffff0000, v52
	v_trunc_f32_e32 v30, v30
	s_mov_b32 s10, 0x2f800000
	v_mul_f32_e64 v35, |v30|, s10
	v_floor_f32_e32 v35, v35
	s_mov_b32 s10, 0xcf800000
	v_fma_f32 v36, v35, s10, |v30|
	v_cvt_u32_f32_e32 v36, v36
	v_cvt_u32_f32_e32 v35, v35
	v_ashrrev_i32_e32 v30, 31, v30
	v_xor_b32_e32 v36, v36, v30
	v_xor_b32_e32 v35, v35, v30
	v_sub_co_u32_e32 v36, vcc, v36, v30
	v_subb_co_u32_e32 v37, vcc, v35, v30, vcc
	v_cmp_lt_i64_e32 vcc, -1, v[36:37]
	v_mov_b32_e32 v35, 0
	s_and_saveexec_b64 s[10:11], vcc
	s_cbranch_execz .LBB50_219
; %bb.208:
	v_cmp_lt_i64_e32 vcc, 0, v[36:37]
	v_mov_b32_e32 v35, 1.0
	s_and_saveexec_b64 s[14:15], vcc
	s_cbranch_execz .LBB50_218
; %bb.209:
	v_cmp_ne_u64_e32 vcc, 1, v[36:37]
	s_and_saveexec_b64 s[20:21], vcc
	s_xor_b64 s[20:21], exec, s[20:21]
	s_cbranch_execz .LBB50_215
; %bb.210:
	s_mov_b64 s[22:23], 0x81
	v_cmp_gt_u64_e32 vcc, s[22:23], v[36:37]
	v_mov_b32_e32 v35, 0x7fc00000
	s_and_saveexec_b64 s[22:23], vcc
	s_cbranch_execz .LBB50_214
; %bb.211:
	s_mov_b64 s[26:27], 1
	s_mov_b64 s[24:25], 0
	v_mov_b32_e32 v30, 1.0
	v_mov_b32_e32 v35, v31
.LBB50_212:                             ; =>This Inner Loop Header: Depth=1
	s_flbit_i32_b32 s28, s27
	s_min_u32 s30, s28, 32
	s_lshl_b64 s[28:29], s[26:27], s30
	s_min_u32 s28, s28, 1
	s_or_b32 s28, s29, s28
	v_cvt_f32_u32_e32 v52, s28
	s_sub_i32 s30, 32, s30
	s_add_u32 s26, s26, 1
	s_addc_u32 s27, s27, 0
	v_ldexp_f32 v52, v52, s30
	v_cmp_eq_u64_e32 vcc, s[26:27], v[36:37]
	v_mul_f32_e32 v52, v30, v52
	s_or_b64 s[24:25], vcc, s[24:25]
	v_mov_b32_e32 v30, v35
	v_fma_f32 v35, v31, v35, -v52
	s_andn2_b64 exec, exec, s[24:25]
	s_cbranch_execnz .LBB50_212
; %bb.213:
	s_or_b64 exec, exec, s[24:25]
.LBB50_214:
	s_or_b64 exec, exec, s[22:23]
                                        ; implicit-def: $vgpr31
.LBB50_215:
	s_andn2_saveexec_b64 s[20:21], s[20:21]
; %bb.216:
	v_mov_b32_e32 v35, v31
; %bb.217:
	s_or_b64 exec, exec, s[20:21]
.LBB50_218:
	s_or_b64 exec, exec, s[14:15]
.LBB50_219:
	s_or_b64 exec, exec, s[10:11]
	s_waitcnt vmcnt(10)
	v_lshlrev_b32_e32 v30, 16, v51
	v_trunc_f32_e32 v30, v30
	s_mov_b32 s10, 0x2f800000
	v_mul_f32_e64 v31, |v30|, s10
	v_floor_f32_e32 v31, v31
	s_mov_b32 s10, 0xcf800000
	v_fma_f32 v36, v31, s10, |v30|
	v_cvt_u32_f32_e32 v36, v36
	v_cvt_u32_f32_e32 v31, v31
	v_ashrrev_i32_e32 v30, 31, v30
	v_xor_b32_e32 v36, v36, v30
	v_xor_b32_e32 v31, v31, v30
	v_sub_co_u32_e32 v36, vcc, v36, v30
	v_subb_co_u32_e32 v37, vcc, v31, v30, vcc
	v_cmp_lt_i64_e32 vcc, -1, v[36:37]
	v_mov_b32_e32 v30, 0
	s_and_saveexec_b64 s[10:11], vcc
	s_cbranch_execz .LBB50_231
; %bb.220:
	v_cmp_lt_i64_e32 vcc, 0, v[36:37]
	v_mov_b32_e32 v30, 1.0
	s_and_saveexec_b64 s[14:15], vcc
	s_cbranch_execz .LBB50_230
; %bb.221:
	v_cmp_ne_u64_e32 vcc, 1, v[36:37]
                                        ; implicit-def: $vgpr30
	s_and_saveexec_b64 s[20:21], vcc
	s_xor_b64 s[20:21], exec, s[20:21]
	s_cbranch_execz .LBB50_227
; %bb.222:
	s_mov_b64 s[22:23], 0x81
	v_cmp_gt_u64_e32 vcc, s[22:23], v[36:37]
	v_mov_b32_e32 v30, 0x7fc00000
	s_and_saveexec_b64 s[22:23], vcc
	s_cbranch_execz .LBB50_226
; %bb.223:
	s_mov_b64 s[26:27], 1
	s_mov_b64 s[24:25], 0
	v_mov_b32_e32 v31, 1.0
	v_mov_b32_e32 v30, v26
.LBB50_224:                             ; =>This Inner Loop Header: Depth=1
	s_flbit_i32_b32 s28, s27
	s_min_u32 s30, s28, 32
	s_lshl_b64 s[28:29], s[26:27], s30
	s_min_u32 s28, s28, 1
	s_or_b32 s28, s29, s28
	v_cvt_f32_u32_e32 v52, s28
	s_sub_i32 s30, 32, s30
	s_add_u32 s26, s26, 1
	s_addc_u32 s27, s27, 0
	v_ldexp_f32 v52, v52, s30
	v_cmp_eq_u64_e32 vcc, s[26:27], v[36:37]
	v_mul_f32_e32 v52, v31, v52
	s_or_b64 s[24:25], vcc, s[24:25]
	v_mov_b32_e32 v31, v30
	v_fma_f32 v30, v26, v30, -v52
	s_andn2_b64 exec, exec, s[24:25]
	s_cbranch_execnz .LBB50_224
; %bb.225:
	s_or_b64 exec, exec, s[24:25]
.LBB50_226:
	s_or_b64 exec, exec, s[22:23]
.LBB50_227:
	s_andn2_saveexec_b64 s[20:21], s[20:21]
; %bb.228:
	v_mov_b32_e32 v30, v26
; %bb.229:
	s_or_b64 exec, exec, s[20:21]
.LBB50_230:
	s_or_b64 exec, exec, s[14:15]
.LBB50_231:
	s_or_b64 exec, exec, s[10:11]
	v_and_b32_e32 v26, 0xffff0000, v51
	v_trunc_f32_e32 v26, v26
	s_mov_b32 s10, 0x2f800000
	v_mul_f32_e64 v31, |v26|, s10
	v_floor_f32_e32 v31, v31
	s_mov_b32 s10, 0xcf800000
	v_fma_f32 v36, v31, s10, |v26|
	v_cvt_u32_f32_e32 v36, v36
	v_cvt_u32_f32_e32 v31, v31
	v_ashrrev_i32_e32 v26, 31, v26
	v_xor_b32_e32 v36, v36, v26
	v_xor_b32_e32 v31, v31, v26
	v_sub_co_u32_e32 v36, vcc, v36, v26
	v_subb_co_u32_e32 v37, vcc, v31, v26, vcc
	v_cmp_lt_i64_e32 vcc, -1, v[36:37]
	v_mov_b32_e32 v31, 0
	s_and_saveexec_b64 s[10:11], vcc
	s_cbranch_execz .LBB50_243
; %bb.232:
	v_cmp_lt_i64_e32 vcc, 0, v[36:37]
	v_mov_b32_e32 v31, 1.0
	s_and_saveexec_b64 s[14:15], vcc
	s_cbranch_execz .LBB50_242
; %bb.233:
	v_cmp_ne_u64_e32 vcc, 1, v[36:37]
	s_and_saveexec_b64 s[20:21], vcc
	s_xor_b64 s[20:21], exec, s[20:21]
	s_cbranch_execz .LBB50_239
; %bb.234:
	s_mov_b64 s[22:23], 0x81
	v_cmp_gt_u64_e32 vcc, s[22:23], v[36:37]
	v_mov_b32_e32 v31, 0x7fc00000
	s_and_saveexec_b64 s[22:23], vcc
	s_cbranch_execz .LBB50_238
; %bb.235:
	s_mov_b64 s[26:27], 1
	s_mov_b64 s[24:25], 0
	v_mov_b32_e32 v26, 1.0
	v_mov_b32_e32 v31, v27
.LBB50_236:                             ; =>This Inner Loop Header: Depth=1
	s_flbit_i32_b32 s28, s27
	s_min_u32 s30, s28, 32
	s_lshl_b64 s[28:29], s[26:27], s30
	s_min_u32 s28, s28, 1
	s_or_b32 s28, s29, s28
	v_cvt_f32_u32_e32 v51, s28
	s_sub_i32 s30, 32, s30
	s_add_u32 s26, s26, 1
	s_addc_u32 s27, s27, 0
	v_ldexp_f32 v51, v51, s30
	v_cmp_eq_u64_e32 vcc, s[26:27], v[36:37]
	v_mul_f32_e32 v51, v26, v51
	s_or_b64 s[24:25], vcc, s[24:25]
	v_mov_b32_e32 v26, v31
	v_fma_f32 v31, v27, v31, -v51
	s_andn2_b64 exec, exec, s[24:25]
	s_cbranch_execnz .LBB50_236
; %bb.237:
	s_or_b64 exec, exec, s[24:25]
.LBB50_238:
	s_or_b64 exec, exec, s[22:23]
                                        ; implicit-def: $vgpr27
.LBB50_239:
	s_andn2_saveexec_b64 s[20:21], s[20:21]
; %bb.240:
	v_mov_b32_e32 v31, v27
; %bb.241:
	s_or_b64 exec, exec, s[20:21]
.LBB50_242:
	s_or_b64 exec, exec, s[14:15]
.LBB50_243:
	s_or_b64 exec, exec, s[10:11]
	s_waitcnt vmcnt(9)
	v_lshlrev_b32_e32 v26, 16, v50
	v_trunc_f32_e32 v26, v26
	s_mov_b32 s10, 0x2f800000
	v_mul_f32_e64 v27, |v26|, s10
	v_floor_f32_e32 v27, v27
	s_mov_b32 s10, 0xcf800000
	v_fma_f32 v36, v27, s10, |v26|
	v_cvt_u32_f32_e32 v36, v36
	v_cvt_u32_f32_e32 v27, v27
	v_ashrrev_i32_e32 v26, 31, v26
	v_xor_b32_e32 v36, v36, v26
	v_xor_b32_e32 v27, v27, v26
	v_sub_co_u32_e32 v36, vcc, v36, v26
	v_subb_co_u32_e32 v37, vcc, v27, v26, vcc
	v_cmp_lt_i64_e32 vcc, -1, v[36:37]
	v_mov_b32_e32 v26, 0
	s_and_saveexec_b64 s[10:11], vcc
	s_cbranch_execz .LBB50_255
; %bb.244:
	v_cmp_lt_i64_e32 vcc, 0, v[36:37]
	v_mov_b32_e32 v26, 1.0
	s_and_saveexec_b64 s[14:15], vcc
	s_cbranch_execz .LBB50_254
; %bb.245:
	v_cmp_ne_u64_e32 vcc, 1, v[36:37]
                                        ; implicit-def: $vgpr26
	s_and_saveexec_b64 s[20:21], vcc
	s_xor_b64 s[20:21], exec, s[20:21]
	s_cbranch_execz .LBB50_251
; %bb.246:
	s_mov_b64 s[22:23], 0x81
	v_cmp_gt_u64_e32 vcc, s[22:23], v[36:37]
	v_mov_b32_e32 v26, 0x7fc00000
	s_and_saveexec_b64 s[22:23], vcc
	s_cbranch_execz .LBB50_250
; %bb.247:
	s_mov_b64 s[26:27], 1
	s_mov_b64 s[24:25], 0
	v_mov_b32_e32 v27, 1.0
	v_mov_b32_e32 v26, v22
.LBB50_248:                             ; =>This Inner Loop Header: Depth=1
	s_flbit_i32_b32 s28, s27
	s_min_u32 s30, s28, 32
	s_lshl_b64 s[28:29], s[26:27], s30
	s_min_u32 s28, s28, 1
	s_or_b32 s28, s29, s28
	v_cvt_f32_u32_e32 v51, s28
	s_sub_i32 s30, 32, s30
	s_add_u32 s26, s26, 1
	s_addc_u32 s27, s27, 0
	v_ldexp_f32 v51, v51, s30
	v_cmp_eq_u64_e32 vcc, s[26:27], v[36:37]
	v_mul_f32_e32 v51, v27, v51
	s_or_b64 s[24:25], vcc, s[24:25]
	v_mov_b32_e32 v27, v26
	v_fma_f32 v26, v22, v26, -v51
	s_andn2_b64 exec, exec, s[24:25]
	s_cbranch_execnz .LBB50_248
; %bb.249:
	s_or_b64 exec, exec, s[24:25]
.LBB50_250:
	s_or_b64 exec, exec, s[22:23]
.LBB50_251:
	s_andn2_saveexec_b64 s[20:21], s[20:21]
; %bb.252:
	v_mov_b32_e32 v26, v22
; %bb.253:
	s_or_b64 exec, exec, s[20:21]
.LBB50_254:
	s_or_b64 exec, exec, s[14:15]
.LBB50_255:
	s_or_b64 exec, exec, s[10:11]
	v_and_b32_e32 v22, 0xffff0000, v50
	v_trunc_f32_e32 v22, v22
	s_mov_b32 s10, 0x2f800000
	v_mul_f32_e64 v27, |v22|, s10
	v_floor_f32_e32 v27, v27
	s_mov_b32 s10, 0xcf800000
	v_fma_f32 v36, v27, s10, |v22|
	v_cvt_u32_f32_e32 v36, v36
	v_cvt_u32_f32_e32 v27, v27
	v_ashrrev_i32_e32 v22, 31, v22
	v_xor_b32_e32 v36, v36, v22
	v_xor_b32_e32 v27, v27, v22
	v_sub_co_u32_e32 v36, vcc, v36, v22
	v_subb_co_u32_e32 v37, vcc, v27, v22, vcc
	v_cmp_lt_i64_e32 vcc, -1, v[36:37]
	v_mov_b32_e32 v27, 0
	s_and_saveexec_b64 s[10:11], vcc
	s_cbranch_execz .LBB50_267
; %bb.256:
	v_cmp_lt_i64_e32 vcc, 0, v[36:37]
	v_mov_b32_e32 v27, 1.0
	s_and_saveexec_b64 s[14:15], vcc
	s_cbranch_execz .LBB50_266
; %bb.257:
	v_cmp_ne_u64_e32 vcc, 1, v[36:37]
	s_and_saveexec_b64 s[20:21], vcc
	s_xor_b64 s[20:21], exec, s[20:21]
	s_cbranch_execz .LBB50_263
; %bb.258:
	s_mov_b64 s[22:23], 0x81
	v_cmp_gt_u64_e32 vcc, s[22:23], v[36:37]
	v_mov_b32_e32 v27, 0x7fc00000
	s_and_saveexec_b64 s[22:23], vcc
	s_cbranch_execz .LBB50_262
; %bb.259:
	s_mov_b64 s[26:27], 1
	s_mov_b64 s[24:25], 0
	v_mov_b32_e32 v22, 1.0
	v_mov_b32_e32 v27, v23
.LBB50_260:                             ; =>This Inner Loop Header: Depth=1
	s_flbit_i32_b32 s28, s27
	s_min_u32 s30, s28, 32
	s_lshl_b64 s[28:29], s[26:27], s30
	s_min_u32 s28, s28, 1
	s_or_b32 s28, s29, s28
	v_cvt_f32_u32_e32 v50, s28
	s_sub_i32 s30, 32, s30
	s_add_u32 s26, s26, 1
	s_addc_u32 s27, s27, 0
	v_ldexp_f32 v50, v50, s30
	v_cmp_eq_u64_e32 vcc, s[26:27], v[36:37]
	v_mul_f32_e32 v50, v22, v50
	s_or_b64 s[24:25], vcc, s[24:25]
	v_mov_b32_e32 v22, v27
	v_fma_f32 v27, v23, v27, -v50
	s_andn2_b64 exec, exec, s[24:25]
	s_cbranch_execnz .LBB50_260
; %bb.261:
	s_or_b64 exec, exec, s[24:25]
.LBB50_262:
	s_or_b64 exec, exec, s[22:23]
                                        ; implicit-def: $vgpr23
.LBB50_263:
	s_andn2_saveexec_b64 s[20:21], s[20:21]
; %bb.264:
	v_mov_b32_e32 v27, v23
; %bb.265:
	s_or_b64 exec, exec, s[20:21]
.LBB50_266:
	s_or_b64 exec, exec, s[14:15]
.LBB50_267:
	s_or_b64 exec, exec, s[10:11]
	s_waitcnt vmcnt(8)
	v_lshlrev_b32_e32 v22, 16, v49
	v_trunc_f32_e32 v22, v22
	s_mov_b32 s10, 0x2f800000
	v_mul_f32_e64 v23, |v22|, s10
	v_floor_f32_e32 v23, v23
	s_mov_b32 s10, 0xcf800000
	v_fma_f32 v36, v23, s10, |v22|
	v_cvt_u32_f32_e32 v36, v36
	v_cvt_u32_f32_e32 v23, v23
	v_ashrrev_i32_e32 v22, 31, v22
	v_xor_b32_e32 v36, v36, v22
	v_xor_b32_e32 v23, v23, v22
	v_sub_co_u32_e32 v36, vcc, v36, v22
	v_subb_co_u32_e32 v37, vcc, v23, v22, vcc
	v_cmp_lt_i64_e32 vcc, -1, v[36:37]
	v_mov_b32_e32 v22, 0
	s_and_saveexec_b64 s[10:11], vcc
	s_cbranch_execz .LBB50_279
; %bb.268:
	v_cmp_lt_i64_e32 vcc, 0, v[36:37]
	v_mov_b32_e32 v22, 1.0
	s_and_saveexec_b64 s[14:15], vcc
	s_cbranch_execz .LBB50_278
; %bb.269:
	v_cmp_ne_u64_e32 vcc, 1, v[36:37]
                                        ; implicit-def: $vgpr22
	s_and_saveexec_b64 s[20:21], vcc
	s_xor_b64 s[20:21], exec, s[20:21]
	s_cbranch_execz .LBB50_275
; %bb.270:
	s_mov_b64 s[22:23], 0x81
	v_cmp_gt_u64_e32 vcc, s[22:23], v[36:37]
	v_mov_b32_e32 v22, 0x7fc00000
	s_and_saveexec_b64 s[22:23], vcc
	s_cbranch_execz .LBB50_274
; %bb.271:
	s_mov_b64 s[26:27], 1
	s_mov_b64 s[24:25], 0
	v_mov_b32_e32 v23, 1.0
	v_mov_b32_e32 v22, v18
.LBB50_272:                             ; =>This Inner Loop Header: Depth=1
	s_flbit_i32_b32 s28, s27
	s_min_u32 s30, s28, 32
	s_lshl_b64 s[28:29], s[26:27], s30
	s_min_u32 s28, s28, 1
	s_or_b32 s28, s29, s28
	v_cvt_f32_u32_e32 v50, s28
	s_sub_i32 s30, 32, s30
	s_add_u32 s26, s26, 1
	s_addc_u32 s27, s27, 0
	v_ldexp_f32 v50, v50, s30
	v_cmp_eq_u64_e32 vcc, s[26:27], v[36:37]
	v_mul_f32_e32 v50, v23, v50
	s_or_b64 s[24:25], vcc, s[24:25]
	v_mov_b32_e32 v23, v22
	v_fma_f32 v22, v18, v22, -v50
	s_andn2_b64 exec, exec, s[24:25]
	s_cbranch_execnz .LBB50_272
; %bb.273:
	s_or_b64 exec, exec, s[24:25]
.LBB50_274:
	s_or_b64 exec, exec, s[22:23]
.LBB50_275:
	s_andn2_saveexec_b64 s[20:21], s[20:21]
; %bb.276:
	v_mov_b32_e32 v22, v18
; %bb.277:
	s_or_b64 exec, exec, s[20:21]
.LBB50_278:
	s_or_b64 exec, exec, s[14:15]
.LBB50_279:
	s_or_b64 exec, exec, s[10:11]
	v_and_b32_e32 v18, 0xffff0000, v49
	v_trunc_f32_e32 v18, v18
	s_mov_b32 s10, 0x2f800000
	v_mul_f32_e64 v23, |v18|, s10
	v_floor_f32_e32 v23, v23
	s_mov_b32 s10, 0xcf800000
	v_fma_f32 v36, v23, s10, |v18|
	v_cvt_u32_f32_e32 v36, v36
	v_cvt_u32_f32_e32 v23, v23
	v_ashrrev_i32_e32 v18, 31, v18
	v_xor_b32_e32 v36, v36, v18
	v_xor_b32_e32 v23, v23, v18
	v_sub_co_u32_e32 v36, vcc, v36, v18
	v_subb_co_u32_e32 v37, vcc, v23, v18, vcc
	v_cmp_lt_i64_e32 vcc, -1, v[36:37]
	v_mov_b32_e32 v23, 0
	s_and_saveexec_b64 s[10:11], vcc
	s_cbranch_execz .LBB50_291
; %bb.280:
	v_cmp_lt_i64_e32 vcc, 0, v[36:37]
	v_mov_b32_e32 v23, 1.0
	s_and_saveexec_b64 s[14:15], vcc
	s_cbranch_execz .LBB50_290
; %bb.281:
	v_cmp_ne_u64_e32 vcc, 1, v[36:37]
	s_and_saveexec_b64 s[20:21], vcc
	s_xor_b64 s[20:21], exec, s[20:21]
	s_cbranch_execz .LBB50_287
; %bb.282:
	s_mov_b64 s[22:23], 0x81
	v_cmp_gt_u64_e32 vcc, s[22:23], v[36:37]
	v_mov_b32_e32 v23, 0x7fc00000
	s_and_saveexec_b64 s[22:23], vcc
	s_cbranch_execz .LBB50_286
; %bb.283:
	s_mov_b64 s[26:27], 1
	s_mov_b64 s[24:25], 0
	v_mov_b32_e32 v18, 1.0
	v_mov_b32_e32 v23, v19
.LBB50_284:                             ; =>This Inner Loop Header: Depth=1
	s_flbit_i32_b32 s28, s27
	s_min_u32 s30, s28, 32
	s_lshl_b64 s[28:29], s[26:27], s30
	s_min_u32 s28, s28, 1
	s_or_b32 s28, s29, s28
	v_cvt_f32_u32_e32 v49, s28
	s_sub_i32 s30, 32, s30
	s_add_u32 s26, s26, 1
	s_addc_u32 s27, s27, 0
	v_ldexp_f32 v49, v49, s30
	v_cmp_eq_u64_e32 vcc, s[26:27], v[36:37]
	v_mul_f32_e32 v49, v18, v49
	s_or_b64 s[24:25], vcc, s[24:25]
	v_mov_b32_e32 v18, v23
	v_fma_f32 v23, v19, v23, -v49
	s_andn2_b64 exec, exec, s[24:25]
	s_cbranch_execnz .LBB50_284
; %bb.285:
	s_or_b64 exec, exec, s[24:25]
.LBB50_286:
	s_or_b64 exec, exec, s[22:23]
                                        ; implicit-def: $vgpr19
.LBB50_287:
	s_andn2_saveexec_b64 s[20:21], s[20:21]
; %bb.288:
	v_mov_b32_e32 v23, v19
; %bb.289:
	s_or_b64 exec, exec, s[20:21]
.LBB50_290:
	s_or_b64 exec, exec, s[14:15]
.LBB50_291:
	s_or_b64 exec, exec, s[10:11]
	s_waitcnt vmcnt(7)
	v_lshlrev_b32_e32 v18, 16, v48
	v_trunc_f32_e32 v18, v18
	s_mov_b32 s10, 0x2f800000
	v_mul_f32_e64 v19, |v18|, s10
	v_floor_f32_e32 v19, v19
	s_mov_b32 s10, 0xcf800000
	v_fma_f32 v36, v19, s10, |v18|
	v_cvt_u32_f32_e32 v36, v36
	v_cvt_u32_f32_e32 v19, v19
	v_ashrrev_i32_e32 v18, 31, v18
	v_xor_b32_e32 v36, v36, v18
	v_xor_b32_e32 v19, v19, v18
	v_sub_co_u32_e32 v36, vcc, v36, v18
	v_subb_co_u32_e32 v37, vcc, v19, v18, vcc
	v_cmp_lt_i64_e32 vcc, -1, v[36:37]
	v_mov_b32_e32 v18, 0
	s_and_saveexec_b64 s[10:11], vcc
	s_cbranch_execz .LBB50_303
; %bb.292:
	v_cmp_lt_i64_e32 vcc, 0, v[36:37]
	v_mov_b32_e32 v18, 1.0
	s_and_saveexec_b64 s[14:15], vcc
	s_cbranch_execz .LBB50_302
; %bb.293:
	v_cmp_ne_u64_e32 vcc, 1, v[36:37]
                                        ; implicit-def: $vgpr18
	s_and_saveexec_b64 s[20:21], vcc
	s_xor_b64 s[20:21], exec, s[20:21]
	s_cbranch_execz .LBB50_299
; %bb.294:
	s_mov_b64 s[22:23], 0x81
	v_cmp_gt_u64_e32 vcc, s[22:23], v[36:37]
	v_mov_b32_e32 v18, 0x7fc00000
	s_and_saveexec_b64 s[22:23], vcc
	s_cbranch_execz .LBB50_298
; %bb.295:
	s_mov_b64 s[26:27], 1
	s_mov_b64 s[24:25], 0
	v_mov_b32_e32 v19, 1.0
	s_waitcnt vmcnt(5)
	v_mov_b32_e32 v18, v14
.LBB50_296:                             ; =>This Inner Loop Header: Depth=1
	s_flbit_i32_b32 s28, s27
	s_min_u32 s30, s28, 32
	s_lshl_b64 s[28:29], s[26:27], s30
	s_min_u32 s28, s28, 1
	s_or_b32 s28, s29, s28
	v_cvt_f32_u32_e32 v49, s28
	s_sub_i32 s30, 32, s30
	s_add_u32 s26, s26, 1
	s_addc_u32 s27, s27, 0
	v_ldexp_f32 v49, v49, s30
	v_cmp_eq_u64_e32 vcc, s[26:27], v[36:37]
	v_mul_f32_e32 v49, v19, v49
	s_or_b64 s[24:25], vcc, s[24:25]
	v_mov_b32_e32 v19, v18
	v_fma_f32 v18, v14, v18, -v49
	s_andn2_b64 exec, exec, s[24:25]
	s_cbranch_execnz .LBB50_296
; %bb.297:
	s_or_b64 exec, exec, s[24:25]
.LBB50_298:
	s_or_b64 exec, exec, s[22:23]
.LBB50_299:
	s_andn2_saveexec_b64 s[20:21], s[20:21]
	s_cbranch_execz .LBB50_301
; %bb.300:
	s_waitcnt vmcnt(5)
	v_mov_b32_e32 v18, v14
.LBB50_301:
	s_or_b64 exec, exec, s[20:21]
.LBB50_302:
	s_or_b64 exec, exec, s[14:15]
.LBB50_303:
	s_or_b64 exec, exec, s[10:11]
	s_waitcnt vmcnt(5)
	v_and_b32_e32 v14, 0xffff0000, v48
	v_trunc_f32_e32 v14, v14
	s_mov_b32 s10, 0x2f800000
	v_mul_f32_e64 v19, |v14|, s10
	v_floor_f32_e32 v19, v19
	s_mov_b32 s10, 0xcf800000
	v_fma_f32 v36, v19, s10, |v14|
	v_cvt_u32_f32_e32 v36, v36
	v_cvt_u32_f32_e32 v19, v19
	v_ashrrev_i32_e32 v14, 31, v14
	v_xor_b32_e32 v36, v36, v14
	v_xor_b32_e32 v19, v19, v14
	v_sub_co_u32_e32 v36, vcc, v36, v14
	v_subb_co_u32_e32 v37, vcc, v19, v14, vcc
	v_cmp_lt_i64_e32 vcc, -1, v[36:37]
	v_mov_b32_e32 v19, 0
	s_and_saveexec_b64 s[10:11], vcc
	s_cbranch_execz .LBB50_315
; %bb.304:
	v_cmp_lt_i64_e32 vcc, 0, v[36:37]
	v_mov_b32_e32 v19, 1.0
	s_and_saveexec_b64 s[14:15], vcc
	s_cbranch_execz .LBB50_314
; %bb.305:
	v_cmp_ne_u64_e32 vcc, 1, v[36:37]
	s_and_saveexec_b64 s[20:21], vcc
	s_xor_b64 s[20:21], exec, s[20:21]
	s_cbranch_execz .LBB50_311
; %bb.306:
	s_mov_b64 s[22:23], 0x81
	v_cmp_gt_u64_e32 vcc, s[22:23], v[36:37]
	v_mov_b32_e32 v19, 0x7fc00000
	s_and_saveexec_b64 s[22:23], vcc
	s_cbranch_execz .LBB50_310
; %bb.307:
	s_mov_b64 s[26:27], 1
	s_mov_b64 s[24:25], 0
	v_mov_b32_e32 v14, 1.0
	v_mov_b32_e32 v19, v15
.LBB50_308:                             ; =>This Inner Loop Header: Depth=1
	s_flbit_i32_b32 s28, s27
	s_min_u32 s30, s28, 32
	s_lshl_b64 s[28:29], s[26:27], s30
	s_min_u32 s28, s28, 1
	s_or_b32 s28, s29, s28
	v_cvt_f32_u32_e32 v48, s28
	s_sub_i32 s30, 32, s30
	s_add_u32 s26, s26, 1
	s_addc_u32 s27, s27, 0
	v_ldexp_f32 v48, v48, s30
	v_cmp_eq_u64_e32 vcc, s[26:27], v[36:37]
	v_mul_f32_e32 v48, v14, v48
	s_or_b64 s[24:25], vcc, s[24:25]
	v_mov_b32_e32 v14, v19
	v_fma_f32 v19, v15, v19, -v48
	s_andn2_b64 exec, exec, s[24:25]
	s_cbranch_execnz .LBB50_308
; %bb.309:
	s_or_b64 exec, exec, s[24:25]
.LBB50_310:
	s_or_b64 exec, exec, s[22:23]
                                        ; implicit-def: $vgpr15
.LBB50_311:
	s_andn2_saveexec_b64 s[20:21], s[20:21]
; %bb.312:
	v_mov_b32_e32 v19, v15
; %bb.313:
	s_or_b64 exec, exec, s[20:21]
.LBB50_314:
	s_or_b64 exec, exec, s[14:15]
.LBB50_315:
	s_or_b64 exec, exec, s[10:11]
	v_lshlrev_b32_e32 v14, 16, v47
	v_trunc_f32_e32 v14, v14
	s_mov_b32 s10, 0x2f800000
	v_mul_f32_e64 v15, |v14|, s10
	v_floor_f32_e32 v15, v15
	s_mov_b32 s10, 0xcf800000
	v_fma_f32 v36, v15, s10, |v14|
	v_cvt_u32_f32_e32 v36, v36
	v_cvt_u32_f32_e32 v15, v15
	v_ashrrev_i32_e32 v14, 31, v14
	v_xor_b32_e32 v36, v36, v14
	v_xor_b32_e32 v15, v15, v14
	v_sub_co_u32_e32 v36, vcc, v36, v14
	v_subb_co_u32_e32 v37, vcc, v15, v14, vcc
	v_cmp_lt_i64_e32 vcc, -1, v[36:37]
	v_mov_b32_e32 v14, 0
	s_and_saveexec_b64 s[10:11], vcc
	s_cbranch_execz .LBB50_327
; %bb.316:
	v_cmp_lt_i64_e32 vcc, 0, v[36:37]
	v_mov_b32_e32 v14, 1.0
	s_and_saveexec_b64 s[14:15], vcc
	s_cbranch_execz .LBB50_326
; %bb.317:
	v_cmp_ne_u64_e32 vcc, 1, v[36:37]
                                        ; implicit-def: $vgpr14
	s_and_saveexec_b64 s[20:21], vcc
	s_xor_b64 s[20:21], exec, s[20:21]
	s_cbranch_execz .LBB50_323
; %bb.318:
	s_mov_b64 s[22:23], 0x81
	v_cmp_gt_u64_e32 vcc, s[22:23], v[36:37]
	v_mov_b32_e32 v14, 0x7fc00000
	s_and_saveexec_b64 s[22:23], vcc
	s_cbranch_execz .LBB50_322
; %bb.319:
	s_mov_b64 s[26:27], 1
	s_mov_b64 s[24:25], 0
	v_mov_b32_e32 v15, 1.0
	s_waitcnt vmcnt(4)
	v_mov_b32_e32 v14, v10
.LBB50_320:                             ; =>This Inner Loop Header: Depth=1
	s_flbit_i32_b32 s28, s27
	s_min_u32 s30, s28, 32
	s_lshl_b64 s[28:29], s[26:27], s30
	s_min_u32 s28, s28, 1
	s_or_b32 s28, s29, s28
	v_cvt_f32_u32_e32 v48, s28
	s_sub_i32 s30, 32, s30
	s_add_u32 s26, s26, 1
	s_addc_u32 s27, s27, 0
	v_ldexp_f32 v48, v48, s30
	v_cmp_eq_u64_e32 vcc, s[26:27], v[36:37]
	v_mul_f32_e32 v48, v15, v48
	s_or_b64 s[24:25], vcc, s[24:25]
	v_mov_b32_e32 v15, v14
	v_fma_f32 v14, v10, v14, -v48
	s_andn2_b64 exec, exec, s[24:25]
	s_cbranch_execnz .LBB50_320
; %bb.321:
	s_or_b64 exec, exec, s[24:25]
.LBB50_322:
	s_or_b64 exec, exec, s[22:23]
.LBB50_323:
	s_andn2_saveexec_b64 s[20:21], s[20:21]
	s_cbranch_execz .LBB50_325
; %bb.324:
	s_waitcnt vmcnt(4)
	v_mov_b32_e32 v14, v10
.LBB50_325:
	s_or_b64 exec, exec, s[20:21]
.LBB50_326:
	s_or_b64 exec, exec, s[14:15]
.LBB50_327:
	s_or_b64 exec, exec, s[10:11]
	s_waitcnt vmcnt(4)
	v_and_b32_e32 v10, 0xffff0000, v47
	v_trunc_f32_e32 v10, v10
	s_mov_b32 s10, 0x2f800000
	v_mul_f32_e64 v15, |v10|, s10
	v_floor_f32_e32 v15, v15
	s_mov_b32 s10, 0xcf800000
	v_fma_f32 v36, v15, s10, |v10|
	v_cvt_u32_f32_e32 v36, v36
	v_cvt_u32_f32_e32 v15, v15
	v_ashrrev_i32_e32 v10, 31, v10
	v_xor_b32_e32 v36, v36, v10
	v_xor_b32_e32 v15, v15, v10
	v_sub_co_u32_e32 v36, vcc, v36, v10
	v_subb_co_u32_e32 v37, vcc, v15, v10, vcc
	v_cmp_lt_i64_e32 vcc, -1, v[36:37]
	v_mov_b32_e32 v15, 0
	s_and_saveexec_b64 s[10:11], vcc
	s_cbranch_execz .LBB50_339
; %bb.328:
	v_cmp_lt_i64_e32 vcc, 0, v[36:37]
	v_mov_b32_e32 v15, 1.0
	s_and_saveexec_b64 s[14:15], vcc
	s_cbranch_execz .LBB50_338
; %bb.329:
	v_cmp_ne_u64_e32 vcc, 1, v[36:37]
	s_and_saveexec_b64 s[20:21], vcc
	s_xor_b64 s[20:21], exec, s[20:21]
	s_cbranch_execz .LBB50_335
; %bb.330:
	s_mov_b64 s[22:23], 0x81
	v_cmp_gt_u64_e32 vcc, s[22:23], v[36:37]
	v_mov_b32_e32 v15, 0x7fc00000
	s_and_saveexec_b64 s[22:23], vcc
	s_cbranch_execz .LBB50_334
; %bb.331:
	s_mov_b64 s[26:27], 1
	s_mov_b64 s[24:25], 0
	v_mov_b32_e32 v10, 1.0
	v_mov_b32_e32 v15, v11
.LBB50_332:                             ; =>This Inner Loop Header: Depth=1
	s_flbit_i32_b32 s28, s27
	s_min_u32 s30, s28, 32
	s_lshl_b64 s[28:29], s[26:27], s30
	s_min_u32 s28, s28, 1
	s_or_b32 s28, s29, s28
	v_cvt_f32_u32_e32 v47, s28
	s_sub_i32 s30, 32, s30
	s_add_u32 s26, s26, 1
	s_addc_u32 s27, s27, 0
	v_ldexp_f32 v47, v47, s30
	v_cmp_eq_u64_e32 vcc, s[26:27], v[36:37]
	v_mul_f32_e32 v47, v10, v47
	s_or_b64 s[24:25], vcc, s[24:25]
	v_mov_b32_e32 v10, v15
	v_fma_f32 v15, v11, v15, -v47
	s_andn2_b64 exec, exec, s[24:25]
	s_cbranch_execnz .LBB50_332
; %bb.333:
	s_or_b64 exec, exec, s[24:25]
.LBB50_334:
	s_or_b64 exec, exec, s[22:23]
                                        ; implicit-def: $vgpr11
.LBB50_335:
	s_andn2_saveexec_b64 s[20:21], s[20:21]
; %bb.336:
	v_mov_b32_e32 v15, v11
; %bb.337:
	s_or_b64 exec, exec, s[20:21]
.LBB50_338:
	s_or_b64 exec, exec, s[14:15]
.LBB50_339:
	s_or_b64 exec, exec, s[10:11]
	s_waitcnt vmcnt(1)
	v_lshlrev_b32_e32 v10, 16, v46
	v_trunc_f32_e32 v10, v10
	s_mov_b32 s10, 0x2f800000
	v_mul_f32_e64 v11, |v10|, s10
	v_floor_f32_e32 v11, v11
	s_mov_b32 s10, 0xcf800000
	v_fma_f32 v36, v11, s10, |v10|
	v_cvt_u32_f32_e32 v36, v36
	v_cvt_u32_f32_e32 v11, v11
	v_ashrrev_i32_e32 v10, 31, v10
	v_xor_b32_e32 v36, v36, v10
	v_xor_b32_e32 v11, v11, v10
	v_sub_co_u32_e32 v36, vcc, v36, v10
	v_subb_co_u32_e32 v37, vcc, v11, v10, vcc
	v_cmp_lt_i64_e32 vcc, -1, v[36:37]
	v_mov_b32_e32 v10, 0
	s_and_saveexec_b64 s[10:11], vcc
	s_cbranch_execz .LBB50_351
; %bb.340:
	v_cmp_lt_i64_e32 vcc, 0, v[36:37]
	v_mov_b32_e32 v10, 1.0
	s_and_saveexec_b64 s[14:15], vcc
	s_cbranch_execz .LBB50_350
; %bb.341:
	v_cmp_ne_u64_e32 vcc, 1, v[36:37]
                                        ; implicit-def: $vgpr10
	s_and_saveexec_b64 s[20:21], vcc
	s_xor_b64 s[20:21], exec, s[20:21]
	s_cbranch_execz .LBB50_347
; %bb.342:
	s_mov_b64 s[22:23], 0x81
	v_cmp_gt_u64_e32 vcc, s[22:23], v[36:37]
	v_mov_b32_e32 v10, 0x7fc00000
	s_and_saveexec_b64 s[22:23], vcc
	s_cbranch_execz .LBB50_346
; %bb.343:
	s_mov_b64 s[26:27], 1
	s_mov_b64 s[24:25], 0
	v_mov_b32_e32 v11, 1.0
	v_mov_b32_e32 v10, v6
.LBB50_344:                             ; =>This Inner Loop Header: Depth=1
	s_flbit_i32_b32 s28, s27
	s_min_u32 s30, s28, 32
	s_lshl_b64 s[28:29], s[26:27], s30
	s_min_u32 s28, s28, 1
	s_or_b32 s28, s29, s28
	v_cvt_f32_u32_e32 v47, s28
	s_sub_i32 s30, 32, s30
	s_add_u32 s26, s26, 1
	s_addc_u32 s27, s27, 0
	v_ldexp_f32 v47, v47, s30
	v_cmp_eq_u64_e32 vcc, s[26:27], v[36:37]
	v_mul_f32_e32 v47, v11, v47
	s_or_b64 s[24:25], vcc, s[24:25]
	v_mov_b32_e32 v11, v10
	v_fma_f32 v10, v6, v10, -v47
	s_andn2_b64 exec, exec, s[24:25]
	s_cbranch_execnz .LBB50_344
; %bb.345:
	s_or_b64 exec, exec, s[24:25]
.LBB50_346:
	s_or_b64 exec, exec, s[22:23]
.LBB50_347:
	s_andn2_saveexec_b64 s[20:21], s[20:21]
; %bb.348:
	v_mov_b32_e32 v10, v6
; %bb.349:
	s_or_b64 exec, exec, s[20:21]
.LBB50_350:
	s_or_b64 exec, exec, s[14:15]
.LBB50_351:
	s_or_b64 exec, exec, s[10:11]
	v_and_b32_e32 v6, 0xffff0000, v46
	v_trunc_f32_e32 v6, v6
	s_mov_b32 s10, 0x2f800000
	v_mul_f32_e64 v11, |v6|, s10
	v_floor_f32_e32 v11, v11
	s_mov_b32 s10, 0xcf800000
	v_fma_f32 v36, v11, s10, |v6|
	v_cvt_u32_f32_e32 v36, v36
	v_cvt_u32_f32_e32 v11, v11
	v_ashrrev_i32_e32 v6, 31, v6
	v_xor_b32_e32 v36, v36, v6
	v_xor_b32_e32 v11, v11, v6
	v_sub_co_u32_e32 v36, vcc, v36, v6
	v_subb_co_u32_e32 v37, vcc, v11, v6, vcc
	v_cmp_lt_i64_e32 vcc, -1, v[36:37]
	v_mov_b32_e32 v11, 0
	s_and_saveexec_b64 s[10:11], vcc
	s_cbranch_execz .LBB50_363
; %bb.352:
	v_cmp_lt_i64_e32 vcc, 0, v[36:37]
	v_mov_b32_e32 v11, 1.0
	s_and_saveexec_b64 s[14:15], vcc
	s_cbranch_execz .LBB50_362
; %bb.353:
	v_cmp_ne_u64_e32 vcc, 1, v[36:37]
	s_and_saveexec_b64 s[20:21], vcc
	s_xor_b64 s[20:21], exec, s[20:21]
	s_cbranch_execz .LBB50_359
; %bb.354:
	s_mov_b64 s[22:23], 0x81
	v_cmp_gt_u64_e32 vcc, s[22:23], v[36:37]
	v_mov_b32_e32 v11, 0x7fc00000
	s_and_saveexec_b64 s[22:23], vcc
	s_cbranch_execz .LBB50_358
; %bb.355:
	s_mov_b64 s[26:27], 1
	s_mov_b64 s[24:25], 0
	v_mov_b32_e32 v6, 1.0
	v_mov_b32_e32 v11, v7
.LBB50_356:                             ; =>This Inner Loop Header: Depth=1
	s_flbit_i32_b32 s28, s27
	s_min_u32 s30, s28, 32
	s_lshl_b64 s[28:29], s[26:27], s30
	s_min_u32 s28, s28, 1
	s_or_b32 s28, s29, s28
	v_cvt_f32_u32_e32 v46, s28
	s_sub_i32 s30, 32, s30
	s_add_u32 s26, s26, 1
	s_addc_u32 s27, s27, 0
	v_ldexp_f32 v46, v46, s30
	v_cmp_eq_u64_e32 vcc, s[26:27], v[36:37]
	v_mul_f32_e32 v46, v6, v46
	s_or_b64 s[24:25], vcc, s[24:25]
	v_mov_b32_e32 v6, v11
	v_fma_f32 v11, v7, v11, -v46
	s_andn2_b64 exec, exec, s[24:25]
	s_cbranch_execnz .LBB50_356
; %bb.357:
	s_or_b64 exec, exec, s[24:25]
.LBB50_358:
	s_or_b64 exec, exec, s[22:23]
                                        ; implicit-def: $vgpr7
.LBB50_359:
	s_andn2_saveexec_b64 s[20:21], s[20:21]
; %bb.360:
	v_mov_b32_e32 v11, v7
; %bb.361:
	s_or_b64 exec, exec, s[20:21]
.LBB50_362:
	s_or_b64 exec, exec, s[14:15]
.LBB50_363:
	s_or_b64 exec, exec, s[10:11]
	s_waitcnt vmcnt(0)
	v_lshlrev_b32_e32 v6, 16, v45
	v_trunc_f32_e32 v6, v6
	s_mov_b32 s10, 0x2f800000
	v_mul_f32_e64 v7, |v6|, s10
	v_floor_f32_e32 v7, v7
	s_mov_b32 s10, 0xcf800000
	v_fma_f32 v36, v7, s10, |v6|
	v_cvt_u32_f32_e32 v36, v36
	v_cvt_u32_f32_e32 v7, v7
	v_ashrrev_i32_e32 v6, 31, v6
	v_xor_b32_e32 v36, v36, v6
	v_xor_b32_e32 v7, v7, v6
	v_sub_co_u32_e32 v36, vcc, v36, v6
	v_subb_co_u32_e32 v37, vcc, v7, v6, vcc
	v_cmp_lt_i64_e32 vcc, -1, v[36:37]
	v_mov_b32_e32 v6, 0
	s_and_saveexec_b64 s[10:11], vcc
	s_cbranch_execz .LBB50_375
; %bb.364:
	v_cmp_lt_i64_e32 vcc, 0, v[36:37]
	v_mov_b32_e32 v6, 1.0
	s_and_saveexec_b64 s[14:15], vcc
	s_cbranch_execz .LBB50_374
; %bb.365:
	v_cmp_ne_u64_e32 vcc, 1, v[36:37]
                                        ; implicit-def: $vgpr6
	s_and_saveexec_b64 s[20:21], vcc
	s_xor_b64 s[20:21], exec, s[20:21]
	s_cbranch_execz .LBB50_371
; %bb.366:
	s_mov_b64 s[22:23], 0x81
	v_cmp_gt_u64_e32 vcc, s[22:23], v[36:37]
	v_mov_b32_e32 v6, 0x7fc00000
	s_and_saveexec_b64 s[22:23], vcc
	s_cbranch_execz .LBB50_370
; %bb.367:
	s_mov_b64 s[26:27], 1
	s_mov_b64 s[24:25], 0
	v_mov_b32_e32 v7, 1.0
	v_mov_b32_e32 v6, v2
.LBB50_368:                             ; =>This Inner Loop Header: Depth=1
	s_flbit_i32_b32 s28, s27
	s_min_u32 s30, s28, 32
	s_lshl_b64 s[28:29], s[26:27], s30
	s_min_u32 s28, s28, 1
	s_or_b32 s28, s29, s28
	v_cvt_f32_u32_e32 v46, s28
	s_sub_i32 s30, 32, s30
	s_add_u32 s26, s26, 1
	s_addc_u32 s27, s27, 0
	v_ldexp_f32 v46, v46, s30
	v_cmp_eq_u64_e32 vcc, s[26:27], v[36:37]
	v_mul_f32_e32 v46, v7, v46
	s_or_b64 s[24:25], vcc, s[24:25]
	v_mov_b32_e32 v7, v6
	v_fma_f32 v6, v2, v6, -v46
	s_andn2_b64 exec, exec, s[24:25]
	s_cbranch_execnz .LBB50_368
; %bb.369:
	s_or_b64 exec, exec, s[24:25]
.LBB50_370:
	s_or_b64 exec, exec, s[22:23]
.LBB50_371:
	s_andn2_saveexec_b64 s[20:21], s[20:21]
; %bb.372:
	v_mov_b32_e32 v6, v2
; %bb.373:
	s_or_b64 exec, exec, s[20:21]
.LBB50_374:
	s_or_b64 exec, exec, s[14:15]
.LBB50_375:
	s_or_b64 exec, exec, s[10:11]
	v_and_b32_e32 v2, 0xffff0000, v45
	v_trunc_f32_e32 v2, v2
	s_mov_b32 s10, 0x2f800000
	v_mul_f32_e64 v7, |v2|, s10
	v_floor_f32_e32 v7, v7
	s_mov_b32 s10, 0xcf800000
	v_fma_f32 v36, v7, s10, |v2|
	v_cvt_u32_f32_e32 v36, v36
	v_cvt_u32_f32_e32 v7, v7
	v_ashrrev_i32_e32 v2, 31, v2
	v_xor_b32_e32 v36, v36, v2
	v_xor_b32_e32 v7, v7, v2
	v_sub_co_u32_e32 v36, vcc, v36, v2
	v_subb_co_u32_e32 v37, vcc, v7, v2, vcc
	v_cmp_lt_i64_e32 vcc, -1, v[36:37]
	v_mov_b32_e32 v7, 0
	s_and_saveexec_b64 s[10:11], vcc
	s_cbranch_execz .LBB50_387
; %bb.376:
	v_cmp_lt_i64_e32 vcc, 0, v[36:37]
	v_mov_b32_e32 v7, 1.0
	s_and_saveexec_b64 s[14:15], vcc
	s_cbranch_execz .LBB50_386
; %bb.377:
	v_cmp_ne_u64_e32 vcc, 1, v[36:37]
	s_and_saveexec_b64 s[20:21], vcc
	s_xor_b64 s[20:21], exec, s[20:21]
	s_cbranch_execz .LBB50_383
; %bb.378:
	s_mov_b64 s[22:23], 0x81
	v_cmp_gt_u64_e32 vcc, s[22:23], v[36:37]
	v_mov_b32_e32 v7, 0x7fc00000
	s_and_saveexec_b64 s[22:23], vcc
	s_cbranch_execz .LBB50_382
; %bb.379:
	s_mov_b64 s[26:27], 1
	s_mov_b64 s[24:25], 0
	v_mov_b32_e32 v2, 1.0
	v_mov_b32_e32 v7, v3
.LBB50_380:                             ; =>This Inner Loop Header: Depth=1
	s_flbit_i32_b32 s28, s27
	s_min_u32 s30, s28, 32
	s_lshl_b64 s[28:29], s[26:27], s30
	s_min_u32 s28, s28, 1
	s_or_b32 s28, s29, s28
	v_cvt_f32_u32_e32 v45, s28
	s_sub_i32 s30, 32, s30
	s_add_u32 s26, s26, 1
	s_addc_u32 s27, s27, 0
	v_ldexp_f32 v45, v45, s30
	v_cmp_eq_u64_e32 vcc, s[26:27], v[36:37]
	v_mul_f32_e32 v45, v2, v45
	s_or_b64 s[24:25], vcc, s[24:25]
	v_mov_b32_e32 v2, v7
	v_fma_f32 v7, v3, v7, -v45
	s_andn2_b64 exec, exec, s[24:25]
	s_cbranch_execnz .LBB50_380
; %bb.381:
	s_or_b64 exec, exec, s[24:25]
.LBB50_382:
	s_or_b64 exec, exec, s[22:23]
                                        ; implicit-def: $vgpr3
.LBB50_383:
	s_andn2_saveexec_b64 s[20:21], s[20:21]
; %bb.384:
	v_mov_b32_e32 v7, v3
; %bb.385:
	s_or_b64 exec, exec, s[20:21]
.LBB50_386:
	s_or_b64 exec, exec, s[14:15]
.LBB50_387:
	s_or_b64 exec, exec, s[10:11]
	s_add_u32 s8, s16, s8
	s_addc_u32 s9, s17, s9
	v_mov_b32_e32 v2, s9
	v_add_co_u32_e32 v36, vcc, s8, v1
	v_addc_co_u32_e32 v37, vcc, 0, v2, vcc
	v_add_co_u32_e32 v2, vcc, 0x1000, v36
	v_addc_co_u32_e32 v3, vcc, 0, v37, vcc
	global_store_dwordx2 v1, v[4:5], s[8:9]
	global_store_dwordx2 v[2:3], v[8:9], off
	global_store_dwordx2 v38, v[12:13], s[8:9]
	v_add_co_u32_e32 v2, vcc, 0x3000, v36
	v_addc_co_u32_e32 v3, vcc, 0, v37, vcc
	global_store_dwordx2 v[2:3], v[16:17], off
	global_store_dwordx2 v44, v[20:21], s[8:9]
	v_add_co_u32_e32 v2, vcc, 0x5000, v36
	v_addc_co_u32_e32 v3, vcc, 0, v37, vcc
	;; [unrolled: 4-line block ×7, first 2 shown]
	global_store_dwordx2 v[2:3], v[6:7], off
	s_branch .LBB50_2
.LBB50_388:
	s_load_dword s10, s[4:5], 0x24
	s_load_dwordx4 s[20:23], s[4:5], 0x28
	s_add_u32 s8, s4, 56
	s_addc_u32 s9, s5, 0
	v_mov_b32_e32 v31, v0
	s_waitcnt lgkmcnt(0)
	v_lshrrev_b16_e64 v8, 8, s10
	v_mov_b32_e32 v0, s16
	v_mov_b32_e32 v1, s17
	;; [unrolled: 1-line block ×12, first 2 shown]
	s_getpc_b64 s[4:5]
	s_add_u32 s4, s4, _ZN2at6native25elementwise_kernel_helperILb1ENS0_13BinaryFunctorIfffZZZNS0_12_GLOBAL__N_133hermite_polynomial_he_kernel_cudaERNS_18TensorIteratorBaseEENKUlvE_clEvENKUlvE0_clEvEUlffE_EENS0_6memory8policies11unroll_baseILi512ESt5arrayIPcLm3EE23TrivialOffsetCalculatorILi2EjESG_ILi1EjENSA_12LoadWithCastILi2EEENSA_13StoreWithCastILi1EEELi32ELi1EEEEEvT0_T1_@rel32@lo+4
	s_addc_u32 s5, s5, _ZN2at6native25elementwise_kernel_helperILb1ENS0_13BinaryFunctorIfffZZZNS0_12_GLOBAL__N_133hermite_polynomial_he_kernel_cudaERNS_18TensorIteratorBaseEENKUlvE_clEvENKUlvE0_clEvEUlffE_EENS0_6memory8policies11unroll_baseILi512ESt5arrayIPcLm3EE23TrivialOffsetCalculatorILi2EjESG_ILi1EjENSA_12LoadWithCastILi2EEENSA_13StoreWithCastILi1EEELi32ELi1EEEEEvT0_T1_@rel32@hi+12
	s_swappc_b64 s[30:31], s[4:5]
	s_endpgm
	.section	.rodata,"a",@progbits
	.p2align	6, 0x0
	.amdhsa_kernel _ZN2at6native39vectorized_templated_elementwise_kernelILi2ENS0_13BinaryFunctorIfffZZZNS0_12_GLOBAL__N_133hermite_polynomial_he_kernel_cudaERNS_18TensorIteratorBaseEENKUlvE_clEvENKUlvE0_clEvEUlffE_EESt5arrayIPcLm3EE23TrivialOffsetCalculatorILi2EjESD_ILi1EjENS0_6memory12LoadWithCastILi2EEENSG_13StoreWithCastILi1EEEfJfN3c108BFloat16EEEEviT0_T1_T2_T3_T4_T5_
		.amdhsa_group_segment_fixed_size 0
		.amdhsa_private_segment_fixed_size 288
		.amdhsa_kernarg_size 312
		.amdhsa_user_sgpr_count 8
		.amdhsa_user_sgpr_private_segment_buffer 1
		.amdhsa_user_sgpr_dispatch_ptr 0
		.amdhsa_user_sgpr_queue_ptr 0
		.amdhsa_user_sgpr_kernarg_segment_ptr 1
		.amdhsa_user_sgpr_dispatch_id 0
		.amdhsa_user_sgpr_flat_scratch_init 1
		.amdhsa_user_sgpr_kernarg_preload_length 0
		.amdhsa_user_sgpr_kernarg_preload_offset 0
		.amdhsa_user_sgpr_private_segment_size 0
		.amdhsa_uses_dynamic_stack 0
		.amdhsa_system_sgpr_private_segment_wavefront_offset 1
		.amdhsa_system_sgpr_workgroup_id_x 1
		.amdhsa_system_sgpr_workgroup_id_y 0
		.amdhsa_system_sgpr_workgroup_id_z 0
		.amdhsa_system_sgpr_workgroup_info 0
		.amdhsa_system_vgpr_workitem_id 0
		.amdhsa_next_free_vgpr 120
		.amdhsa_next_free_sgpr 98
		.amdhsa_accum_offset 120
		.amdhsa_reserve_vcc 1
		.amdhsa_reserve_flat_scratch 1
		.amdhsa_float_round_mode_32 0
		.amdhsa_float_round_mode_16_64 0
		.amdhsa_float_denorm_mode_32 3
		.amdhsa_float_denorm_mode_16_64 3
		.amdhsa_dx10_clamp 1
		.amdhsa_ieee_mode 1
		.amdhsa_fp16_overflow 0
		.amdhsa_tg_split 0
		.amdhsa_exception_fp_ieee_invalid_op 0
		.amdhsa_exception_fp_denorm_src 0
		.amdhsa_exception_fp_ieee_div_zero 0
		.amdhsa_exception_fp_ieee_overflow 0
		.amdhsa_exception_fp_ieee_underflow 0
		.amdhsa_exception_fp_ieee_inexact 0
		.amdhsa_exception_int_div_zero 0
	.end_amdhsa_kernel
	.section	.text._ZN2at6native39vectorized_templated_elementwise_kernelILi2ENS0_13BinaryFunctorIfffZZZNS0_12_GLOBAL__N_133hermite_polynomial_he_kernel_cudaERNS_18TensorIteratorBaseEENKUlvE_clEvENKUlvE0_clEvEUlffE_EESt5arrayIPcLm3EE23TrivialOffsetCalculatorILi2EjESD_ILi1EjENS0_6memory12LoadWithCastILi2EEENSG_13StoreWithCastILi1EEEfJfN3c108BFloat16EEEEviT0_T1_T2_T3_T4_T5_,"axG",@progbits,_ZN2at6native39vectorized_templated_elementwise_kernelILi2ENS0_13BinaryFunctorIfffZZZNS0_12_GLOBAL__N_133hermite_polynomial_he_kernel_cudaERNS_18TensorIteratorBaseEENKUlvE_clEvENKUlvE0_clEvEUlffE_EESt5arrayIPcLm3EE23TrivialOffsetCalculatorILi2EjESD_ILi1EjENS0_6memory12LoadWithCastILi2EEENSG_13StoreWithCastILi1EEEfJfN3c108BFloat16EEEEviT0_T1_T2_T3_T4_T5_,comdat
.Lfunc_end50:
	.size	_ZN2at6native39vectorized_templated_elementwise_kernelILi2ENS0_13BinaryFunctorIfffZZZNS0_12_GLOBAL__N_133hermite_polynomial_he_kernel_cudaERNS_18TensorIteratorBaseEENKUlvE_clEvENKUlvE0_clEvEUlffE_EESt5arrayIPcLm3EE23TrivialOffsetCalculatorILi2EjESD_ILi1EjENS0_6memory12LoadWithCastILi2EEENSG_13StoreWithCastILi1EEEfJfN3c108BFloat16EEEEviT0_T1_T2_T3_T4_T5_, .Lfunc_end50-_ZN2at6native39vectorized_templated_elementwise_kernelILi2ENS0_13BinaryFunctorIfffZZZNS0_12_GLOBAL__N_133hermite_polynomial_he_kernel_cudaERNS_18TensorIteratorBaseEENKUlvE_clEvENKUlvE0_clEvEUlffE_EESt5arrayIPcLm3EE23TrivialOffsetCalculatorILi2EjESD_ILi1EjENS0_6memory12LoadWithCastILi2EEENSG_13StoreWithCastILi1EEEfJfN3c108BFloat16EEEEviT0_T1_T2_T3_T4_T5_
                                        ; -- End function
	.section	.AMDGPU.csdata,"",@progbits
; Kernel info:
; codeLenInByte = 9804
; NumSgprs: 104
; NumVgprs: 120
; NumAgprs: 0
; TotalNumVgprs: 120
; ScratchSize: 288
; MemoryBound: 0
; FloatMode: 240
; IeeeMode: 1
; LDSByteSize: 0 bytes/workgroup (compile time only)
; SGPRBlocks: 12
; VGPRBlocks: 14
; NumSGPRsForWavesPerEU: 104
; NumVGPRsForWavesPerEU: 120
; AccumOffset: 120
; Occupancy: 4
; WaveLimiterHint : 0
; COMPUTE_PGM_RSRC2:SCRATCH_EN: 1
; COMPUTE_PGM_RSRC2:USER_SGPR: 8
; COMPUTE_PGM_RSRC2:TRAP_HANDLER: 0
; COMPUTE_PGM_RSRC2:TGID_X_EN: 1
; COMPUTE_PGM_RSRC2:TGID_Y_EN: 0
; COMPUTE_PGM_RSRC2:TGID_Z_EN: 0
; COMPUTE_PGM_RSRC2:TIDIG_COMP_CNT: 0
; COMPUTE_PGM_RSRC3_GFX90A:ACCUM_OFFSET: 29
; COMPUTE_PGM_RSRC3_GFX90A:TG_SPLIT: 0
	.section	.text._ZN2at6native39vectorized_templated_elementwise_kernelILi8ENS0_13BinaryFunctorIfffZZZNS0_12_GLOBAL__N_133hermite_polynomial_he_kernel_cudaERNS_18TensorIteratorBaseEENKUlvE_clEvENKUlvE0_clEvEUlffE_EESt5arrayIPcLm3EE23TrivialOffsetCalculatorILi2EjESD_ILi1EjENS0_6memory12LoadWithCastILi2EEENSG_13StoreWithCastILi1EEEfJN3c108BFloat16EfEEEviT0_T1_T2_T3_T4_T5_,"axG",@progbits,_ZN2at6native39vectorized_templated_elementwise_kernelILi8ENS0_13BinaryFunctorIfffZZZNS0_12_GLOBAL__N_133hermite_polynomial_he_kernel_cudaERNS_18TensorIteratorBaseEENKUlvE_clEvENKUlvE0_clEvEUlffE_EESt5arrayIPcLm3EE23TrivialOffsetCalculatorILi2EjESD_ILi1EjENS0_6memory12LoadWithCastILi2EEENSG_13StoreWithCastILi1EEEfJN3c108BFloat16EfEEEviT0_T1_T2_T3_T4_T5_,comdat
	.globl	_ZN2at6native39vectorized_templated_elementwise_kernelILi8ENS0_13BinaryFunctorIfffZZZNS0_12_GLOBAL__N_133hermite_polynomial_he_kernel_cudaERNS_18TensorIteratorBaseEENKUlvE_clEvENKUlvE0_clEvEUlffE_EESt5arrayIPcLm3EE23TrivialOffsetCalculatorILi2EjESD_ILi1EjENS0_6memory12LoadWithCastILi2EEENSG_13StoreWithCastILi1EEEfJN3c108BFloat16EfEEEviT0_T1_T2_T3_T4_T5_ ; -- Begin function _ZN2at6native39vectorized_templated_elementwise_kernelILi8ENS0_13BinaryFunctorIfffZZZNS0_12_GLOBAL__N_133hermite_polynomial_he_kernel_cudaERNS_18TensorIteratorBaseEENKUlvE_clEvENKUlvE0_clEvEUlffE_EESt5arrayIPcLm3EE23TrivialOffsetCalculatorILi2EjESD_ILi1EjENS0_6memory12LoadWithCastILi2EEENSG_13StoreWithCastILi1EEEfJN3c108BFloat16EfEEEviT0_T1_T2_T3_T4_T5_
	.p2align	8
	.type	_ZN2at6native39vectorized_templated_elementwise_kernelILi8ENS0_13BinaryFunctorIfffZZZNS0_12_GLOBAL__N_133hermite_polynomial_he_kernel_cudaERNS_18TensorIteratorBaseEENKUlvE_clEvENKUlvE0_clEvEUlffE_EESt5arrayIPcLm3EE23TrivialOffsetCalculatorILi2EjESD_ILi1EjENS0_6memory12LoadWithCastILi2EEENSG_13StoreWithCastILi1EEEfJN3c108BFloat16EfEEEviT0_T1_T2_T3_T4_T5_,@function
_ZN2at6native39vectorized_templated_elementwise_kernelILi8ENS0_13BinaryFunctorIfffZZZNS0_12_GLOBAL__N_133hermite_polynomial_he_kernel_cudaERNS_18TensorIteratorBaseEENKUlvE_clEvENKUlvE0_clEvEUlffE_EESt5arrayIPcLm3EE23TrivialOffsetCalculatorILi2EjESD_ILi1EjENS0_6memory12LoadWithCastILi2EEENSG_13StoreWithCastILi1EEEfJN3c108BFloat16EfEEEviT0_T1_T2_T3_T4_T5_: ; @_ZN2at6native39vectorized_templated_elementwise_kernelILi8ENS0_13BinaryFunctorIfffZZZNS0_12_GLOBAL__N_133hermite_polynomial_he_kernel_cudaERNS_18TensorIteratorBaseEENKUlvE_clEvENKUlvE0_clEvEUlffE_EESt5arrayIPcLm3EE23TrivialOffsetCalculatorILi2EjESD_ILi1EjENS0_6memory12LoadWithCastILi2EEENSG_13StoreWithCastILi1EEEfJN3c108BFloat16EfEEEviT0_T1_T2_T3_T4_T5_
; %bb.0:
	s_add_u32 flat_scratch_lo, s6, s9
	s_addc_u32 flat_scratch_hi, s7, 0
	s_add_u32 s0, s0, s9
	s_mov_b32 s12, s8
	s_load_dword s8, s[4:5], 0x38
	s_load_dwordx2 s[6:7], s[4:5], 0x18
	s_load_dword s9, s[4:5], 0x0
	s_load_dwordx4 s[16:19], s[4:5], 0x8
	s_addc_u32 s1, s1, 0
	s_not_b32 s10, s12
	s_waitcnt lgkmcnt(0)
	s_add_i32 s8, s8, s10
	s_lshl_b32 s8, s8, 14
	s_sub_i32 s13, s9, s8
	s_cmpk_gt_i32 s13, 0x3fff
	s_mov_b64 s[10:11], -1
	s_mov_b32 s32, 0
	s_cbranch_scc1 .LBB51_3
; %bb.1:
	s_and_b64 vcc, exec, s[10:11]
	s_cbranch_vccnz .LBB51_388
.LBB51_2:
	s_endpgm
.LBB51_3:
	s_ashr_i32 s9, s8, 31
	s_lshl_b64 s[10:11], s[8:9], 1
	s_add_u32 s10, s18, s10
	s_addc_u32 s11, s19, s11
	v_lshlrev_b32_e32 v1, 4, v0
	v_mov_b32_e32 v2, s11
	v_add_co_u32_e32 v4, vcc, s10, v1
	v_addc_co_u32_e32 v5, vcc, 0, v2, vcc
	v_add_co_u32_e32 v2, vcc, 0x2000, v4
	v_addc_co_u32_e32 v3, vcc, 0, v5, vcc
	global_load_dwordx4 v[46:49], v1, s[10:11]
	global_load_dwordx4 v[42:45], v[2:3], off
	v_or_b32_e32 v1, 0x400, v0
	v_lshlrev_b32_e32 v10, 4, v1
	v_add_co_u32_e32 v2, vcc, 0x6000, v4
	s_lshl_b64 s[8:9], s[8:9], 2
	v_addc_co_u32_e32 v3, vcc, 0, v5, vcc
	global_load_dwordx4 v[26:29], v10, s[10:11]
	global_load_dwordx4 v[6:9], v[2:3], off
	s_add_u32 s10, s6, s8
	s_addc_u32 s11, s7, s9
	v_lshlrev_b32_e32 v52, 5, v0
	v_mov_b32_e32 v2, s11
	v_add_co_u32_e32 v12, vcc, s10, v52
	v_addc_co_u32_e32 v13, vcc, 0, v2, vcc
	global_load_dwordx4 v[14:17], v52, s[10:11] offset:16
	global_load_dwordx4 v[2:5], v52, s[10:11]
	s_movk_i32 s14, 0x4000
	v_add_co_u32_e32 v10, vcc, s14, v12
	v_addc_co_u32_e32 v11, vcc, 0, v13, vcc
	v_lshlrev_b32_e32 v1, 5, v1
	global_load_dwordx4 v[22:25], v[10:11], off
	global_load_dwordx4 v[34:37], v[10:11], off offset:16
	global_load_dwordx4 v[30:33], v1, s[10:11] offset:16
	global_load_dwordx4 v[38:41], v1, s[10:11]
	s_mov_b32 s10, 0xc000
	v_add_co_u32_e32 v50, vcc, s10, v12
	v_addc_co_u32_e32 v51, vcc, 0, v13, vcc
	global_load_dwordx4 v[18:21], v[50:51], off
	global_load_dwordx4 v[10:13], v[50:51], off offset:16
	s_mov_b32 s10, 0x2f800000
	s_mov_b32 s11, 0xcf800000
	s_waitcnt vmcnt(6)
	v_trunc_f32_e32 v2, v2
	v_mul_f32_e64 v50, |v2|, s10
	v_floor_f32_e32 v50, v50
	v_fma_f32 v51, v50, s11, |v2|
	v_cvt_u32_f32_e32 v50, v50
	v_cvt_u32_f32_e32 v51, v51
	v_ashrrev_i32_e32 v2, 31, v2
	v_xor_b32_e32 v53, v50, v2
	v_xor_b32_e32 v50, v51, v2
	v_sub_co_u32_e32 v50, vcc, v50, v2
	v_subb_co_u32_e32 v51, vcc, v53, v2, vcc
	v_cmp_lt_i64_e32 vcc, -1, v[50:51]
	v_mov_b32_e32 v2, 0
	s_and_saveexec_b64 s[10:11], vcc
	s_cbranch_execz .LBB51_15
; %bb.4:
	v_cmp_lt_i64_e32 vcc, 0, v[50:51]
	v_mov_b32_e32 v2, 1.0
	s_and_saveexec_b64 s[14:15], vcc
	s_cbranch_execz .LBB51_14
; %bb.5:
	v_lshlrev_b32_e32 v53, 16, v46
	v_cmp_ne_u64_e32 vcc, 1, v[50:51]
                                        ; implicit-def: $vgpr2
	s_and_saveexec_b64 s[20:21], vcc
	s_xor_b64 s[20:21], exec, s[20:21]
	s_cbranch_execz .LBB51_11
; %bb.6:
	s_mov_b64 s[22:23], 0x81
	v_cmp_gt_u64_e32 vcc, s[22:23], v[50:51]
	v_mov_b32_e32 v2, 0x7fc00000
	s_and_saveexec_b64 s[22:23], vcc
	s_cbranch_execz .LBB51_10
; %bb.7:
	s_mov_b64 s[26:27], 1
	s_mov_b64 s[24:25], 0
	v_mov_b32_e32 v54, 1.0
	v_mov_b32_e32 v2, v53
.LBB51_8:                               ; =>This Inner Loop Header: Depth=1
	s_flbit_i32_b32 s28, s27
	s_min_u32 s30, s28, 32
	s_lshl_b64 s[28:29], s[26:27], s30
	s_min_u32 s28, s28, 1
	s_or_b32 s28, s29, s28
	v_cvt_f32_u32_e32 v55, s28
	s_sub_i32 s30, 32, s30
	s_add_u32 s26, s26, 1
	s_addc_u32 s27, s27, 0
	v_ldexp_f32 v55, v55, s30
	v_cmp_eq_u64_e32 vcc, s[26:27], v[50:51]
	v_mul_f32_e32 v55, v54, v55
	s_or_b64 s[24:25], vcc, s[24:25]
	v_mov_b32_e32 v54, v2
	v_fma_f32 v2, v2, v53, -v55
	s_andn2_b64 exec, exec, s[24:25]
	s_cbranch_execnz .LBB51_8
; %bb.9:
	s_or_b64 exec, exec, s[24:25]
.LBB51_10:
	s_or_b64 exec, exec, s[22:23]
                                        ; implicit-def: $vgpr53
.LBB51_11:
	s_andn2_saveexec_b64 s[20:21], s[20:21]
; %bb.12:
	v_mov_b32_e32 v2, v53
; %bb.13:
	s_or_b64 exec, exec, s[20:21]
.LBB51_14:
	s_or_b64 exec, exec, s[14:15]
.LBB51_15:
	s_or_b64 exec, exec, s[10:11]
	v_trunc_f32_e32 v3, v3
	s_mov_b32 s10, 0x2f800000
	v_mul_f32_e64 v50, |v3|, s10
	v_floor_f32_e32 v50, v50
	s_mov_b32 s10, 0xcf800000
	v_cvt_u32_f32_e32 v51, v50
	v_fma_f32 v50, v50, s10, |v3|
	v_cvt_u32_f32_e32 v50, v50
	v_ashrrev_i32_e32 v3, 31, v3
	v_xor_b32_e32 v51, v51, v3
	v_xor_b32_e32 v50, v50, v3
	v_sub_co_u32_e32 v50, vcc, v50, v3
	v_subb_co_u32_e32 v51, vcc, v51, v3, vcc
	v_cmp_lt_i64_e32 vcc, -1, v[50:51]
	v_mov_b32_e32 v3, 0
	s_and_saveexec_b64 s[10:11], vcc
	s_cbranch_execz .LBB51_27
; %bb.16:
	v_cmp_lt_i64_e32 vcc, 0, v[50:51]
	v_mov_b32_e32 v3, 1.0
	s_and_saveexec_b64 s[14:15], vcc
	s_cbranch_execz .LBB51_26
; %bb.17:
	v_and_b32_e32 v46, 0xffff0000, v46
	v_cmp_ne_u64_e32 vcc, 1, v[50:51]
	s_and_saveexec_b64 s[20:21], vcc
	s_xor_b64 s[20:21], exec, s[20:21]
	s_cbranch_execz .LBB51_23
; %bb.18:
	s_mov_b64 s[22:23], 0x81
	v_cmp_gt_u64_e32 vcc, s[22:23], v[50:51]
	v_mov_b32_e32 v3, 0x7fc00000
	s_and_saveexec_b64 s[22:23], vcc
	s_cbranch_execz .LBB51_22
; %bb.19:
	s_mov_b64 s[26:27], 1
	s_mov_b64 s[24:25], 0
	v_mov_b32_e32 v53, 1.0
	v_mov_b32_e32 v3, v46
.LBB51_20:                              ; =>This Inner Loop Header: Depth=1
	s_flbit_i32_b32 s28, s27
	s_min_u32 s30, s28, 32
	s_lshl_b64 s[28:29], s[26:27], s30
	s_min_u32 s28, s28, 1
	s_or_b32 s28, s29, s28
	v_cvt_f32_u32_e32 v54, s28
	s_sub_i32 s30, 32, s30
	s_add_u32 s26, s26, 1
	s_addc_u32 s27, s27, 0
	v_ldexp_f32 v54, v54, s30
	v_cmp_eq_u64_e32 vcc, s[26:27], v[50:51]
	v_mul_f32_e32 v54, v53, v54
	s_or_b64 s[24:25], vcc, s[24:25]
	v_mov_b32_e32 v53, v3
	v_fma_f32 v3, v3, v46, -v54
	s_andn2_b64 exec, exec, s[24:25]
	s_cbranch_execnz .LBB51_20
; %bb.21:
	s_or_b64 exec, exec, s[24:25]
.LBB51_22:
	s_or_b64 exec, exec, s[22:23]
                                        ; implicit-def: $vgpr46
.LBB51_23:
	s_andn2_saveexec_b64 s[20:21], s[20:21]
; %bb.24:
	v_mov_b32_e32 v3, v46
; %bb.25:
	s_or_b64 exec, exec, s[20:21]
.LBB51_26:
	s_or_b64 exec, exec, s[14:15]
.LBB51_27:
	s_or_b64 exec, exec, s[10:11]
	v_trunc_f32_e32 v4, v4
	s_mov_b32 s10, 0x2f800000
	v_mul_f32_e64 v46, |v4|, s10
	v_floor_f32_e32 v46, v46
	s_mov_b32 s10, 0xcf800000
	v_cvt_u32_f32_e32 v50, v46
	v_fma_f32 v46, v46, s10, |v4|
	v_cvt_u32_f32_e32 v46, v46
	v_ashrrev_i32_e32 v4, 31, v4
	v_xor_b32_e32 v51, v50, v4
	v_xor_b32_e32 v46, v46, v4
	v_sub_co_u32_e32 v50, vcc, v46, v4
	v_subb_co_u32_e32 v51, vcc, v51, v4, vcc
	v_cmp_lt_i64_e32 vcc, -1, v[50:51]
	v_mov_b32_e32 v4, 0
	s_and_saveexec_b64 s[10:11], vcc
	s_cbranch_execz .LBB51_39
; %bb.28:
	v_cmp_lt_i64_e32 vcc, 0, v[50:51]
	v_mov_b32_e32 v4, 1.0
	s_and_saveexec_b64 s[14:15], vcc
	s_cbranch_execz .LBB51_38
; %bb.29:
	v_lshlrev_b32_e32 v46, 16, v47
	v_cmp_ne_u64_e32 vcc, 1, v[50:51]
	s_and_saveexec_b64 s[20:21], vcc
	s_xor_b64 s[20:21], exec, s[20:21]
	s_cbranch_execz .LBB51_35
; %bb.30:
	s_mov_b64 s[22:23], 0x81
	v_cmp_gt_u64_e32 vcc, s[22:23], v[50:51]
	v_mov_b32_e32 v4, 0x7fc00000
	s_and_saveexec_b64 s[22:23], vcc
	s_cbranch_execz .LBB51_34
; %bb.31:
	s_mov_b64 s[26:27], 1
	s_mov_b64 s[24:25], 0
	v_mov_b32_e32 v53, 1.0
	v_mov_b32_e32 v4, v46
.LBB51_32:                              ; =>This Inner Loop Header: Depth=1
	s_flbit_i32_b32 s28, s27
	s_min_u32 s30, s28, 32
	s_lshl_b64 s[28:29], s[26:27], s30
	s_min_u32 s28, s28, 1
	s_or_b32 s28, s29, s28
	v_cvt_f32_u32_e32 v54, s28
	s_sub_i32 s30, 32, s30
	s_add_u32 s26, s26, 1
	s_addc_u32 s27, s27, 0
	v_ldexp_f32 v54, v54, s30
	v_cmp_eq_u64_e32 vcc, s[26:27], v[50:51]
	v_mul_f32_e32 v54, v53, v54
	s_or_b64 s[24:25], vcc, s[24:25]
	v_mov_b32_e32 v53, v4
	v_fma_f32 v4, v4, v46, -v54
	s_andn2_b64 exec, exec, s[24:25]
	s_cbranch_execnz .LBB51_32
; %bb.33:
	s_or_b64 exec, exec, s[24:25]
.LBB51_34:
	s_or_b64 exec, exec, s[22:23]
                                        ; implicit-def: $vgpr46
.LBB51_35:
	s_andn2_saveexec_b64 s[20:21], s[20:21]
; %bb.36:
	v_mov_b32_e32 v4, v46
; %bb.37:
	s_or_b64 exec, exec, s[20:21]
.LBB51_38:
	s_or_b64 exec, exec, s[14:15]
.LBB51_39:
	s_or_b64 exec, exec, s[10:11]
	v_trunc_f32_e32 v5, v5
	s_mov_b32 s10, 0x2f800000
	v_mul_f32_e64 v46, |v5|, s10
	v_floor_f32_e32 v46, v46
	s_mov_b32 s10, 0xcf800000
	v_cvt_u32_f32_e32 v50, v46
	v_fma_f32 v46, v46, s10, |v5|
	v_cvt_u32_f32_e32 v46, v46
	v_ashrrev_i32_e32 v5, 31, v5
	v_xor_b32_e32 v51, v50, v5
	v_xor_b32_e32 v46, v46, v5
	v_sub_co_u32_e32 v50, vcc, v46, v5
	v_subb_co_u32_e32 v51, vcc, v51, v5, vcc
	v_cmp_lt_i64_e32 vcc, -1, v[50:51]
	v_mov_b32_e32 v5, 0
	s_and_saveexec_b64 s[10:11], vcc
	s_cbranch_execz .LBB51_51
; %bb.40:
	v_cmp_lt_i64_e32 vcc, 0, v[50:51]
	v_mov_b32_e32 v5, 1.0
	s_and_saveexec_b64 s[14:15], vcc
	s_cbranch_execz .LBB51_50
; %bb.41:
	v_and_b32_e32 v46, 0xffff0000, v47
	v_cmp_ne_u64_e32 vcc, 1, v[50:51]
	s_and_saveexec_b64 s[20:21], vcc
	s_xor_b64 s[20:21], exec, s[20:21]
	s_cbranch_execz .LBB51_47
; %bb.42:
	s_mov_b64 s[22:23], 0x81
	v_cmp_gt_u64_e32 vcc, s[22:23], v[50:51]
	v_mov_b32_e32 v5, 0x7fc00000
	s_and_saveexec_b64 s[22:23], vcc
	s_cbranch_execz .LBB51_46
; %bb.43:
	s_mov_b64 s[26:27], 1
	s_mov_b64 s[24:25], 0
	v_mov_b32_e32 v47, 1.0
	v_mov_b32_e32 v5, v46
.LBB51_44:                              ; =>This Inner Loop Header: Depth=1
	s_flbit_i32_b32 s28, s27
	s_min_u32 s30, s28, 32
	s_lshl_b64 s[28:29], s[26:27], s30
	s_min_u32 s28, s28, 1
	s_or_b32 s28, s29, s28
	v_cvt_f32_u32_e32 v53, s28
	s_sub_i32 s30, 32, s30
	s_add_u32 s26, s26, 1
	s_addc_u32 s27, s27, 0
	v_ldexp_f32 v53, v53, s30
	v_cmp_eq_u64_e32 vcc, s[26:27], v[50:51]
	v_mul_f32_e32 v53, v47, v53
	s_or_b64 s[24:25], vcc, s[24:25]
	v_mov_b32_e32 v47, v5
	v_fma_f32 v5, v5, v46, -v53
	s_andn2_b64 exec, exec, s[24:25]
	s_cbranch_execnz .LBB51_44
; %bb.45:
	s_or_b64 exec, exec, s[24:25]
.LBB51_46:
	s_or_b64 exec, exec, s[22:23]
                                        ; implicit-def: $vgpr46
.LBB51_47:
	s_andn2_saveexec_b64 s[20:21], s[20:21]
; %bb.48:
	v_mov_b32_e32 v5, v46
; %bb.49:
	s_or_b64 exec, exec, s[20:21]
.LBB51_50:
	s_or_b64 exec, exec, s[14:15]
.LBB51_51:
	s_or_b64 exec, exec, s[10:11]
	v_trunc_f32_e32 v14, v14
	s_mov_b32 s10, 0x2f800000
	v_mul_f32_e64 v46, |v14|, s10
	v_floor_f32_e32 v46, v46
	s_mov_b32 s10, 0xcf800000
	v_cvt_u32_f32_e32 v47, v46
	v_fma_f32 v46, v46, s10, |v14|
	v_cvt_u32_f32_e32 v46, v46
	v_ashrrev_i32_e32 v14, 31, v14
	v_xor_b32_e32 v47, v47, v14
	v_xor_b32_e32 v46, v46, v14
	v_sub_co_u32_e32 v46, vcc, v46, v14
	v_subb_co_u32_e32 v47, vcc, v47, v14, vcc
	v_cmp_lt_i64_e32 vcc, -1, v[46:47]
	v_mov_b32_e32 v14, 0
	s_and_saveexec_b64 s[10:11], vcc
	s_cbranch_execz .LBB51_63
; %bb.52:
	v_cmp_lt_i64_e32 vcc, 0, v[46:47]
	v_mov_b32_e32 v14, 1.0
	s_and_saveexec_b64 s[14:15], vcc
	s_cbranch_execz .LBB51_62
; %bb.53:
	v_lshlrev_b32_e32 v50, 16, v48
	v_cmp_ne_u64_e32 vcc, 1, v[46:47]
                                        ; implicit-def: $vgpr14
	s_and_saveexec_b64 s[20:21], vcc
	s_xor_b64 s[20:21], exec, s[20:21]
	s_cbranch_execz .LBB51_59
; %bb.54:
	s_mov_b64 s[22:23], 0x81
	v_cmp_gt_u64_e32 vcc, s[22:23], v[46:47]
	v_mov_b32_e32 v14, 0x7fc00000
	s_and_saveexec_b64 s[22:23], vcc
	s_cbranch_execz .LBB51_58
; %bb.55:
	s_mov_b64 s[26:27], 1
	s_mov_b64 s[24:25], 0
	v_mov_b32_e32 v51, 1.0
	v_mov_b32_e32 v14, v50
.LBB51_56:                              ; =>This Inner Loop Header: Depth=1
	s_flbit_i32_b32 s28, s27
	s_min_u32 s30, s28, 32
	s_lshl_b64 s[28:29], s[26:27], s30
	s_min_u32 s28, s28, 1
	s_or_b32 s28, s29, s28
	v_cvt_f32_u32_e32 v53, s28
	s_sub_i32 s30, 32, s30
	s_add_u32 s26, s26, 1
	s_addc_u32 s27, s27, 0
	v_ldexp_f32 v53, v53, s30
	v_cmp_eq_u64_e32 vcc, s[26:27], v[46:47]
	v_mul_f32_e32 v53, v51, v53
	s_or_b64 s[24:25], vcc, s[24:25]
	v_mov_b32_e32 v51, v14
	v_fma_f32 v14, v14, v50, -v53
	s_andn2_b64 exec, exec, s[24:25]
	s_cbranch_execnz .LBB51_56
; %bb.57:
	s_or_b64 exec, exec, s[24:25]
.LBB51_58:
	s_or_b64 exec, exec, s[22:23]
                                        ; implicit-def: $vgpr50
.LBB51_59:
	s_andn2_saveexec_b64 s[20:21], s[20:21]
; %bb.60:
	v_mov_b32_e32 v14, v50
; %bb.61:
	s_or_b64 exec, exec, s[20:21]
.LBB51_62:
	s_or_b64 exec, exec, s[14:15]
.LBB51_63:
	s_or_b64 exec, exec, s[10:11]
	v_trunc_f32_e32 v15, v15
	s_mov_b32 s10, 0x2f800000
	v_mul_f32_e64 v46, |v15|, s10
	v_floor_f32_e32 v46, v46
	s_mov_b32 s10, 0xcf800000
	v_cvt_u32_f32_e32 v47, v46
	v_fma_f32 v46, v46, s10, |v15|
	v_cvt_u32_f32_e32 v46, v46
	v_ashrrev_i32_e32 v15, 31, v15
	v_xor_b32_e32 v47, v47, v15
	v_xor_b32_e32 v46, v46, v15
	v_sub_co_u32_e32 v46, vcc, v46, v15
	v_subb_co_u32_e32 v47, vcc, v47, v15, vcc
	v_cmp_lt_i64_e32 vcc, -1, v[46:47]
	v_mov_b32_e32 v15, 0
	s_and_saveexec_b64 s[10:11], vcc
	s_cbranch_execz .LBB51_75
; %bb.64:
	v_cmp_lt_i64_e32 vcc, 0, v[46:47]
	v_mov_b32_e32 v15, 1.0
	s_and_saveexec_b64 s[14:15], vcc
	s_cbranch_execz .LBB51_74
; %bb.65:
	v_and_b32_e32 v48, 0xffff0000, v48
	v_cmp_ne_u64_e32 vcc, 1, v[46:47]
	s_and_saveexec_b64 s[20:21], vcc
	s_xor_b64 s[20:21], exec, s[20:21]
	s_cbranch_execz .LBB51_71
; %bb.66:
	s_mov_b64 s[22:23], 0x81
	v_cmp_gt_u64_e32 vcc, s[22:23], v[46:47]
	v_mov_b32_e32 v15, 0x7fc00000
	s_and_saveexec_b64 s[22:23], vcc
	s_cbranch_execz .LBB51_70
; %bb.67:
	s_mov_b64 s[26:27], 1
	s_mov_b64 s[24:25], 0
	v_mov_b32_e32 v50, 1.0
	v_mov_b32_e32 v15, v48
.LBB51_68:                              ; =>This Inner Loop Header: Depth=1
	s_flbit_i32_b32 s28, s27
	s_min_u32 s30, s28, 32
	s_lshl_b64 s[28:29], s[26:27], s30
	s_min_u32 s28, s28, 1
	s_or_b32 s28, s29, s28
	v_cvt_f32_u32_e32 v51, s28
	s_sub_i32 s30, 32, s30
	s_add_u32 s26, s26, 1
	s_addc_u32 s27, s27, 0
	v_ldexp_f32 v51, v51, s30
	v_cmp_eq_u64_e32 vcc, s[26:27], v[46:47]
	v_mul_f32_e32 v51, v50, v51
	s_or_b64 s[24:25], vcc, s[24:25]
	v_mov_b32_e32 v50, v15
	v_fma_f32 v15, v15, v48, -v51
	s_andn2_b64 exec, exec, s[24:25]
	s_cbranch_execnz .LBB51_68
; %bb.69:
	s_or_b64 exec, exec, s[24:25]
.LBB51_70:
	s_or_b64 exec, exec, s[22:23]
                                        ; implicit-def: $vgpr48
.LBB51_71:
	s_andn2_saveexec_b64 s[20:21], s[20:21]
; %bb.72:
	v_mov_b32_e32 v15, v48
; %bb.73:
	s_or_b64 exec, exec, s[20:21]
.LBB51_74:
	s_or_b64 exec, exec, s[14:15]
.LBB51_75:
	s_or_b64 exec, exec, s[10:11]
	v_trunc_f32_e32 v16, v16
	s_mov_b32 s10, 0x2f800000
	v_mul_f32_e64 v46, |v16|, s10
	v_floor_f32_e32 v46, v46
	s_mov_b32 s10, 0xcf800000
	v_cvt_u32_f32_e32 v47, v46
	v_fma_f32 v46, v46, s10, |v16|
	v_cvt_u32_f32_e32 v46, v46
	v_ashrrev_i32_e32 v16, 31, v16
	v_xor_b32_e32 v47, v47, v16
	v_xor_b32_e32 v46, v46, v16
	v_sub_co_u32_e32 v46, vcc, v46, v16
	v_subb_co_u32_e32 v47, vcc, v47, v16, vcc
	v_cmp_lt_i64_e32 vcc, -1, v[46:47]
	v_mov_b32_e32 v16, 0
	s_and_saveexec_b64 s[10:11], vcc
	s_cbranch_execz .LBB51_87
; %bb.76:
	v_cmp_lt_i64_e32 vcc, 0, v[46:47]
	v_mov_b32_e32 v16, 1.0
	s_and_saveexec_b64 s[14:15], vcc
	s_cbranch_execz .LBB51_86
; %bb.77:
	v_lshlrev_b32_e32 v48, 16, v49
	v_cmp_ne_u64_e32 vcc, 1, v[46:47]
	s_and_saveexec_b64 s[20:21], vcc
	s_xor_b64 s[20:21], exec, s[20:21]
	s_cbranch_execz .LBB51_83
; %bb.78:
	s_mov_b64 s[22:23], 0x81
	v_cmp_gt_u64_e32 vcc, s[22:23], v[46:47]
	v_mov_b32_e32 v16, 0x7fc00000
	s_and_saveexec_b64 s[22:23], vcc
	s_cbranch_execz .LBB51_82
; %bb.79:
	s_mov_b64 s[26:27], 1
	s_mov_b64 s[24:25], 0
	v_mov_b32_e32 v50, 1.0
	v_mov_b32_e32 v16, v48
.LBB51_80:                              ; =>This Inner Loop Header: Depth=1
	s_flbit_i32_b32 s28, s27
	s_min_u32 s30, s28, 32
	s_lshl_b64 s[28:29], s[26:27], s30
	s_min_u32 s28, s28, 1
	s_or_b32 s28, s29, s28
	v_cvt_f32_u32_e32 v51, s28
	s_sub_i32 s30, 32, s30
	s_add_u32 s26, s26, 1
	s_addc_u32 s27, s27, 0
	v_ldexp_f32 v51, v51, s30
	v_cmp_eq_u64_e32 vcc, s[26:27], v[46:47]
	v_mul_f32_e32 v51, v50, v51
	s_or_b64 s[24:25], vcc, s[24:25]
	v_mov_b32_e32 v50, v16
	v_fma_f32 v16, v16, v48, -v51
	s_andn2_b64 exec, exec, s[24:25]
	s_cbranch_execnz .LBB51_80
; %bb.81:
	s_or_b64 exec, exec, s[24:25]
.LBB51_82:
	s_or_b64 exec, exec, s[22:23]
                                        ; implicit-def: $vgpr48
.LBB51_83:
	s_andn2_saveexec_b64 s[20:21], s[20:21]
; %bb.84:
	v_mov_b32_e32 v16, v48
; %bb.85:
	s_or_b64 exec, exec, s[20:21]
.LBB51_86:
	s_or_b64 exec, exec, s[14:15]
.LBB51_87:
	s_or_b64 exec, exec, s[10:11]
	v_trunc_f32_e32 v17, v17
	s_mov_b32 s10, 0x2f800000
	v_mul_f32_e64 v46, |v17|, s10
	v_floor_f32_e32 v46, v46
	s_mov_b32 s10, 0xcf800000
	v_cvt_u32_f32_e32 v47, v46
	v_fma_f32 v46, v46, s10, |v17|
	v_cvt_u32_f32_e32 v46, v46
	v_ashrrev_i32_e32 v17, 31, v17
	v_xor_b32_e32 v47, v47, v17
	v_xor_b32_e32 v46, v46, v17
	v_sub_co_u32_e32 v46, vcc, v46, v17
	v_subb_co_u32_e32 v47, vcc, v47, v17, vcc
	v_cmp_lt_i64_e32 vcc, -1, v[46:47]
	v_mov_b32_e32 v17, 0
	s_and_saveexec_b64 s[10:11], vcc
	s_cbranch_execz .LBB51_99
; %bb.88:
	v_cmp_lt_i64_e32 vcc, 0, v[46:47]
	v_mov_b32_e32 v17, 1.0
	s_and_saveexec_b64 s[14:15], vcc
	s_cbranch_execz .LBB51_98
; %bb.89:
	v_and_b32_e32 v48, 0xffff0000, v49
	v_cmp_ne_u64_e32 vcc, 1, v[46:47]
	s_and_saveexec_b64 s[20:21], vcc
	s_xor_b64 s[20:21], exec, s[20:21]
	s_cbranch_execz .LBB51_95
; %bb.90:
	s_mov_b64 s[22:23], 0x81
	v_cmp_gt_u64_e32 vcc, s[22:23], v[46:47]
	v_mov_b32_e32 v17, 0x7fc00000
	s_and_saveexec_b64 s[22:23], vcc
	s_cbranch_execz .LBB51_94
; %bb.91:
	s_mov_b64 s[26:27], 1
	s_mov_b64 s[24:25], 0
	v_mov_b32_e32 v49, 1.0
	v_mov_b32_e32 v17, v48
.LBB51_92:                              ; =>This Inner Loop Header: Depth=1
	s_flbit_i32_b32 s28, s27
	s_min_u32 s30, s28, 32
	s_lshl_b64 s[28:29], s[26:27], s30
	s_min_u32 s28, s28, 1
	s_or_b32 s28, s29, s28
	v_cvt_f32_u32_e32 v50, s28
	s_sub_i32 s30, 32, s30
	s_add_u32 s26, s26, 1
	s_addc_u32 s27, s27, 0
	v_ldexp_f32 v50, v50, s30
	v_cmp_eq_u64_e32 vcc, s[26:27], v[46:47]
	v_mul_f32_e32 v50, v49, v50
	s_or_b64 s[24:25], vcc, s[24:25]
	v_mov_b32_e32 v49, v17
	v_fma_f32 v17, v17, v48, -v50
	s_andn2_b64 exec, exec, s[24:25]
	s_cbranch_execnz .LBB51_92
; %bb.93:
	s_or_b64 exec, exec, s[24:25]
.LBB51_94:
	s_or_b64 exec, exec, s[22:23]
                                        ; implicit-def: $vgpr48
.LBB51_95:
	s_andn2_saveexec_b64 s[20:21], s[20:21]
; %bb.96:
	v_mov_b32_e32 v17, v48
; %bb.97:
	s_or_b64 exec, exec, s[20:21]
.LBB51_98:
	s_or_b64 exec, exec, s[14:15]
.LBB51_99:
	s_or_b64 exec, exec, s[10:11]
	s_waitcnt vmcnt(5)
	v_trunc_f32_e32 v22, v22
	s_mov_b32 s10, 0x2f800000
	v_mul_f32_e64 v46, |v22|, s10
	v_floor_f32_e32 v46, v46
	s_mov_b32 s10, 0xcf800000
	v_cvt_u32_f32_e32 v47, v46
	v_fma_f32 v46, v46, s10, |v22|
	v_cvt_u32_f32_e32 v46, v46
	v_ashrrev_i32_e32 v22, 31, v22
	v_xor_b32_e32 v47, v47, v22
	v_xor_b32_e32 v46, v46, v22
	v_sub_co_u32_e32 v46, vcc, v46, v22
	v_subb_co_u32_e32 v47, vcc, v47, v22, vcc
	v_cmp_lt_i64_e32 vcc, -1, v[46:47]
	v_mov_b32_e32 v22, 0
	s_and_saveexec_b64 s[10:11], vcc
	s_cbranch_execz .LBB51_111
; %bb.100:
	v_cmp_lt_i64_e32 vcc, 0, v[46:47]
	v_mov_b32_e32 v22, 1.0
	s_and_saveexec_b64 s[14:15], vcc
	s_cbranch_execz .LBB51_110
; %bb.101:
	v_lshlrev_b32_e32 v48, 16, v42
	v_cmp_ne_u64_e32 vcc, 1, v[46:47]
                                        ; implicit-def: $vgpr22
	s_and_saveexec_b64 s[20:21], vcc
	s_xor_b64 s[20:21], exec, s[20:21]
	s_cbranch_execz .LBB51_107
; %bb.102:
	s_mov_b64 s[22:23], 0x81
	v_cmp_gt_u64_e32 vcc, s[22:23], v[46:47]
	v_mov_b32_e32 v22, 0x7fc00000
	s_and_saveexec_b64 s[22:23], vcc
	s_cbranch_execz .LBB51_106
; %bb.103:
	s_mov_b64 s[26:27], 1
	s_mov_b64 s[24:25], 0
	v_mov_b32_e32 v49, 1.0
	v_mov_b32_e32 v22, v48
.LBB51_104:                             ; =>This Inner Loop Header: Depth=1
	s_flbit_i32_b32 s28, s27
	s_min_u32 s30, s28, 32
	s_lshl_b64 s[28:29], s[26:27], s30
	s_min_u32 s28, s28, 1
	s_or_b32 s28, s29, s28
	v_cvt_f32_u32_e32 v50, s28
	s_sub_i32 s30, 32, s30
	s_add_u32 s26, s26, 1
	s_addc_u32 s27, s27, 0
	v_ldexp_f32 v50, v50, s30
	v_cmp_eq_u64_e32 vcc, s[26:27], v[46:47]
	v_mul_f32_e32 v50, v49, v50
	s_or_b64 s[24:25], vcc, s[24:25]
	v_mov_b32_e32 v49, v22
	v_fma_f32 v22, v22, v48, -v50
	s_andn2_b64 exec, exec, s[24:25]
	s_cbranch_execnz .LBB51_104
; %bb.105:
	s_or_b64 exec, exec, s[24:25]
.LBB51_106:
	s_or_b64 exec, exec, s[22:23]
                                        ; implicit-def: $vgpr48
.LBB51_107:
	s_andn2_saveexec_b64 s[20:21], s[20:21]
; %bb.108:
	v_mov_b32_e32 v22, v48
; %bb.109:
	s_or_b64 exec, exec, s[20:21]
.LBB51_110:
	s_or_b64 exec, exec, s[14:15]
.LBB51_111:
	s_or_b64 exec, exec, s[10:11]
	v_trunc_f32_e32 v23, v23
	s_mov_b32 s10, 0x2f800000
	v_mul_f32_e64 v46, |v23|, s10
	v_floor_f32_e32 v46, v46
	s_mov_b32 s10, 0xcf800000
	v_cvt_u32_f32_e32 v47, v46
	v_fma_f32 v46, v46, s10, |v23|
	v_cvt_u32_f32_e32 v46, v46
	v_ashrrev_i32_e32 v23, 31, v23
	v_xor_b32_e32 v47, v47, v23
	v_xor_b32_e32 v46, v46, v23
	v_sub_co_u32_e32 v46, vcc, v46, v23
	v_subb_co_u32_e32 v47, vcc, v47, v23, vcc
	v_cmp_lt_i64_e32 vcc, -1, v[46:47]
	v_mov_b32_e32 v23, 0
	s_and_saveexec_b64 s[10:11], vcc
	s_cbranch_execz .LBB51_123
; %bb.112:
	v_cmp_lt_i64_e32 vcc, 0, v[46:47]
	v_mov_b32_e32 v23, 1.0
	s_and_saveexec_b64 s[14:15], vcc
	s_cbranch_execz .LBB51_122
; %bb.113:
	v_and_b32_e32 v42, 0xffff0000, v42
	v_cmp_ne_u64_e32 vcc, 1, v[46:47]
	s_and_saveexec_b64 s[20:21], vcc
	s_xor_b64 s[20:21], exec, s[20:21]
	s_cbranch_execz .LBB51_119
; %bb.114:
	s_mov_b64 s[22:23], 0x81
	v_cmp_gt_u64_e32 vcc, s[22:23], v[46:47]
	v_mov_b32_e32 v23, 0x7fc00000
	s_and_saveexec_b64 s[22:23], vcc
	s_cbranch_execz .LBB51_118
; %bb.115:
	s_mov_b64 s[26:27], 1
	s_mov_b64 s[24:25], 0
	v_mov_b32_e32 v48, 1.0
	v_mov_b32_e32 v23, v42
.LBB51_116:                             ; =>This Inner Loop Header: Depth=1
	s_flbit_i32_b32 s28, s27
	s_min_u32 s30, s28, 32
	s_lshl_b64 s[28:29], s[26:27], s30
	s_min_u32 s28, s28, 1
	s_or_b32 s28, s29, s28
	v_cvt_f32_u32_e32 v49, s28
	s_sub_i32 s30, 32, s30
	s_add_u32 s26, s26, 1
	s_addc_u32 s27, s27, 0
	v_ldexp_f32 v49, v49, s30
	v_cmp_eq_u64_e32 vcc, s[26:27], v[46:47]
	v_mul_f32_e32 v49, v48, v49
	s_or_b64 s[24:25], vcc, s[24:25]
	v_mov_b32_e32 v48, v23
	v_fma_f32 v23, v23, v42, -v49
	s_andn2_b64 exec, exec, s[24:25]
	s_cbranch_execnz .LBB51_116
; %bb.117:
	s_or_b64 exec, exec, s[24:25]
.LBB51_118:
	s_or_b64 exec, exec, s[22:23]
                                        ; implicit-def: $vgpr42
.LBB51_119:
	s_andn2_saveexec_b64 s[20:21], s[20:21]
; %bb.120:
	v_mov_b32_e32 v23, v42
; %bb.121:
	s_or_b64 exec, exec, s[20:21]
.LBB51_122:
	s_or_b64 exec, exec, s[14:15]
.LBB51_123:
	s_or_b64 exec, exec, s[10:11]
	v_trunc_f32_e32 v24, v24
	s_mov_b32 s10, 0x2f800000
	v_mul_f32_e64 v42, |v24|, s10
	v_floor_f32_e32 v42, v42
	s_mov_b32 s10, 0xcf800000
	v_cvt_u32_f32_e32 v46, v42
	v_fma_f32 v42, v42, s10, |v24|
	v_cvt_u32_f32_e32 v42, v42
	v_ashrrev_i32_e32 v24, 31, v24
	v_xor_b32_e32 v47, v46, v24
	v_xor_b32_e32 v42, v42, v24
	v_sub_co_u32_e32 v46, vcc, v42, v24
	v_subb_co_u32_e32 v47, vcc, v47, v24, vcc
	v_cmp_lt_i64_e32 vcc, -1, v[46:47]
	v_mov_b32_e32 v24, 0
	s_and_saveexec_b64 s[10:11], vcc
	s_cbranch_execz .LBB51_135
; %bb.124:
	v_cmp_lt_i64_e32 vcc, 0, v[46:47]
	v_mov_b32_e32 v24, 1.0
	s_and_saveexec_b64 s[14:15], vcc
	s_cbranch_execz .LBB51_134
; %bb.125:
	v_lshlrev_b32_e32 v42, 16, v43
	v_cmp_ne_u64_e32 vcc, 1, v[46:47]
	s_and_saveexec_b64 s[20:21], vcc
	s_xor_b64 s[20:21], exec, s[20:21]
	s_cbranch_execz .LBB51_131
; %bb.126:
	s_mov_b64 s[22:23], 0x81
	v_cmp_gt_u64_e32 vcc, s[22:23], v[46:47]
	v_mov_b32_e32 v24, 0x7fc00000
	s_and_saveexec_b64 s[22:23], vcc
	s_cbranch_execz .LBB51_130
; %bb.127:
	s_mov_b64 s[26:27], 1
	s_mov_b64 s[24:25], 0
	v_mov_b32_e32 v48, 1.0
	v_mov_b32_e32 v24, v42
.LBB51_128:                             ; =>This Inner Loop Header: Depth=1
	s_flbit_i32_b32 s28, s27
	s_min_u32 s30, s28, 32
	s_lshl_b64 s[28:29], s[26:27], s30
	s_min_u32 s28, s28, 1
	s_or_b32 s28, s29, s28
	v_cvt_f32_u32_e32 v49, s28
	s_sub_i32 s30, 32, s30
	s_add_u32 s26, s26, 1
	s_addc_u32 s27, s27, 0
	v_ldexp_f32 v49, v49, s30
	v_cmp_eq_u64_e32 vcc, s[26:27], v[46:47]
	v_mul_f32_e32 v49, v48, v49
	s_or_b64 s[24:25], vcc, s[24:25]
	v_mov_b32_e32 v48, v24
	v_fma_f32 v24, v24, v42, -v49
	s_andn2_b64 exec, exec, s[24:25]
	s_cbranch_execnz .LBB51_128
; %bb.129:
	s_or_b64 exec, exec, s[24:25]
.LBB51_130:
	s_or_b64 exec, exec, s[22:23]
                                        ; implicit-def: $vgpr42
.LBB51_131:
	s_andn2_saveexec_b64 s[20:21], s[20:21]
; %bb.132:
	v_mov_b32_e32 v24, v42
; %bb.133:
	s_or_b64 exec, exec, s[20:21]
.LBB51_134:
	s_or_b64 exec, exec, s[14:15]
.LBB51_135:
	s_or_b64 exec, exec, s[10:11]
	v_trunc_f32_e32 v25, v25
	s_mov_b32 s10, 0x2f800000
	v_mul_f32_e64 v42, |v25|, s10
	v_floor_f32_e32 v42, v42
	s_mov_b32 s10, 0xcf800000
	v_cvt_u32_f32_e32 v46, v42
	v_fma_f32 v42, v42, s10, |v25|
	v_cvt_u32_f32_e32 v42, v42
	v_ashrrev_i32_e32 v25, 31, v25
	v_xor_b32_e32 v47, v46, v25
	v_xor_b32_e32 v42, v42, v25
	v_sub_co_u32_e32 v46, vcc, v42, v25
	v_subb_co_u32_e32 v47, vcc, v47, v25, vcc
	v_cmp_lt_i64_e32 vcc, -1, v[46:47]
	v_mov_b32_e32 v25, 0
	s_and_saveexec_b64 s[10:11], vcc
	s_cbranch_execz .LBB51_147
; %bb.136:
	v_cmp_lt_i64_e32 vcc, 0, v[46:47]
	v_mov_b32_e32 v25, 1.0
	s_and_saveexec_b64 s[14:15], vcc
	s_cbranch_execz .LBB51_146
; %bb.137:
	v_and_b32_e32 v42, 0xffff0000, v43
	v_cmp_ne_u64_e32 vcc, 1, v[46:47]
	s_and_saveexec_b64 s[20:21], vcc
	s_xor_b64 s[20:21], exec, s[20:21]
	s_cbranch_execz .LBB51_143
; %bb.138:
	s_mov_b64 s[22:23], 0x81
	v_cmp_gt_u64_e32 vcc, s[22:23], v[46:47]
	v_mov_b32_e32 v25, 0x7fc00000
	s_and_saveexec_b64 s[22:23], vcc
	s_cbranch_execz .LBB51_142
; %bb.139:
	s_mov_b64 s[26:27], 1
	s_mov_b64 s[24:25], 0
	v_mov_b32_e32 v43, 1.0
	v_mov_b32_e32 v25, v42
.LBB51_140:                             ; =>This Inner Loop Header: Depth=1
	s_flbit_i32_b32 s28, s27
	s_min_u32 s30, s28, 32
	s_lshl_b64 s[28:29], s[26:27], s30
	s_min_u32 s28, s28, 1
	s_or_b32 s28, s29, s28
	v_cvt_f32_u32_e32 v48, s28
	s_sub_i32 s30, 32, s30
	s_add_u32 s26, s26, 1
	s_addc_u32 s27, s27, 0
	v_ldexp_f32 v48, v48, s30
	v_cmp_eq_u64_e32 vcc, s[26:27], v[46:47]
	v_mul_f32_e32 v48, v43, v48
	s_or_b64 s[24:25], vcc, s[24:25]
	v_mov_b32_e32 v43, v25
	v_fma_f32 v25, v25, v42, -v48
	s_andn2_b64 exec, exec, s[24:25]
	s_cbranch_execnz .LBB51_140
; %bb.141:
	s_or_b64 exec, exec, s[24:25]
.LBB51_142:
	s_or_b64 exec, exec, s[22:23]
                                        ; implicit-def: $vgpr42
.LBB51_143:
	s_andn2_saveexec_b64 s[20:21], s[20:21]
; %bb.144:
	v_mov_b32_e32 v25, v42
; %bb.145:
	s_or_b64 exec, exec, s[20:21]
.LBB51_146:
	s_or_b64 exec, exec, s[14:15]
.LBB51_147:
	s_or_b64 exec, exec, s[10:11]
	s_waitcnt vmcnt(4)
	v_trunc_f32_e32 v34, v34
	s_mov_b32 s10, 0x2f800000
	v_mul_f32_e64 v42, |v34|, s10
	v_floor_f32_e32 v42, v42
	s_mov_b32 s10, 0xcf800000
	v_cvt_u32_f32_e32 v43, v42
	v_fma_f32 v42, v42, s10, |v34|
	v_cvt_u32_f32_e32 v42, v42
	v_ashrrev_i32_e32 v34, 31, v34
	v_xor_b32_e32 v43, v43, v34
	v_xor_b32_e32 v42, v42, v34
	v_sub_co_u32_e32 v42, vcc, v42, v34
	v_subb_co_u32_e32 v43, vcc, v43, v34, vcc
	v_cmp_lt_i64_e32 vcc, -1, v[42:43]
	v_mov_b32_e32 v34, 0
	s_and_saveexec_b64 s[10:11], vcc
	s_cbranch_execz .LBB51_159
; %bb.148:
	v_cmp_lt_i64_e32 vcc, 0, v[42:43]
	v_mov_b32_e32 v34, 1.0
	s_and_saveexec_b64 s[14:15], vcc
	s_cbranch_execz .LBB51_158
; %bb.149:
	v_lshlrev_b32_e32 v46, 16, v44
	v_cmp_ne_u64_e32 vcc, 1, v[42:43]
                                        ; implicit-def: $vgpr34
	s_and_saveexec_b64 s[20:21], vcc
	s_xor_b64 s[20:21], exec, s[20:21]
	s_cbranch_execz .LBB51_155
; %bb.150:
	s_mov_b64 s[22:23], 0x81
	v_cmp_gt_u64_e32 vcc, s[22:23], v[42:43]
	v_mov_b32_e32 v34, 0x7fc00000
	s_and_saveexec_b64 s[22:23], vcc
	s_cbranch_execz .LBB51_154
; %bb.151:
	s_mov_b64 s[26:27], 1
	s_mov_b64 s[24:25], 0
	v_mov_b32_e32 v47, 1.0
	v_mov_b32_e32 v34, v46
.LBB51_152:                             ; =>This Inner Loop Header: Depth=1
	s_flbit_i32_b32 s28, s27
	s_min_u32 s30, s28, 32
	s_lshl_b64 s[28:29], s[26:27], s30
	s_min_u32 s28, s28, 1
	s_or_b32 s28, s29, s28
	v_cvt_f32_u32_e32 v48, s28
	s_sub_i32 s30, 32, s30
	s_add_u32 s26, s26, 1
	s_addc_u32 s27, s27, 0
	v_ldexp_f32 v48, v48, s30
	v_cmp_eq_u64_e32 vcc, s[26:27], v[42:43]
	v_mul_f32_e32 v48, v47, v48
	s_or_b64 s[24:25], vcc, s[24:25]
	v_mov_b32_e32 v47, v34
	v_fma_f32 v34, v34, v46, -v48
	s_andn2_b64 exec, exec, s[24:25]
	s_cbranch_execnz .LBB51_152
; %bb.153:
	s_or_b64 exec, exec, s[24:25]
.LBB51_154:
	s_or_b64 exec, exec, s[22:23]
                                        ; implicit-def: $vgpr46
.LBB51_155:
	s_andn2_saveexec_b64 s[20:21], s[20:21]
; %bb.156:
	v_mov_b32_e32 v34, v46
; %bb.157:
	s_or_b64 exec, exec, s[20:21]
.LBB51_158:
	s_or_b64 exec, exec, s[14:15]
.LBB51_159:
	s_or_b64 exec, exec, s[10:11]
	v_trunc_f32_e32 v35, v35
	s_mov_b32 s10, 0x2f800000
	v_mul_f32_e64 v42, |v35|, s10
	v_floor_f32_e32 v42, v42
	s_mov_b32 s10, 0xcf800000
	v_cvt_u32_f32_e32 v43, v42
	v_fma_f32 v42, v42, s10, |v35|
	v_cvt_u32_f32_e32 v42, v42
	v_ashrrev_i32_e32 v35, 31, v35
	v_xor_b32_e32 v43, v43, v35
	v_xor_b32_e32 v42, v42, v35
	v_sub_co_u32_e32 v42, vcc, v42, v35
	v_subb_co_u32_e32 v43, vcc, v43, v35, vcc
	v_cmp_lt_i64_e32 vcc, -1, v[42:43]
	v_mov_b32_e32 v35, 0
	s_and_saveexec_b64 s[10:11], vcc
	s_cbranch_execz .LBB51_171
; %bb.160:
	v_cmp_lt_i64_e32 vcc, 0, v[42:43]
	v_mov_b32_e32 v35, 1.0
	s_and_saveexec_b64 s[14:15], vcc
	s_cbranch_execz .LBB51_170
; %bb.161:
	v_and_b32_e32 v44, 0xffff0000, v44
	v_cmp_ne_u64_e32 vcc, 1, v[42:43]
	s_and_saveexec_b64 s[20:21], vcc
	s_xor_b64 s[20:21], exec, s[20:21]
	s_cbranch_execz .LBB51_167
; %bb.162:
	s_mov_b64 s[22:23], 0x81
	v_cmp_gt_u64_e32 vcc, s[22:23], v[42:43]
	v_mov_b32_e32 v35, 0x7fc00000
	s_and_saveexec_b64 s[22:23], vcc
	s_cbranch_execz .LBB51_166
; %bb.163:
	s_mov_b64 s[26:27], 1
	s_mov_b64 s[24:25], 0
	v_mov_b32_e32 v46, 1.0
	v_mov_b32_e32 v35, v44
.LBB51_164:                             ; =>This Inner Loop Header: Depth=1
	s_flbit_i32_b32 s28, s27
	s_min_u32 s30, s28, 32
	s_lshl_b64 s[28:29], s[26:27], s30
	s_min_u32 s28, s28, 1
	s_or_b32 s28, s29, s28
	v_cvt_f32_u32_e32 v47, s28
	s_sub_i32 s30, 32, s30
	s_add_u32 s26, s26, 1
	s_addc_u32 s27, s27, 0
	v_ldexp_f32 v47, v47, s30
	v_cmp_eq_u64_e32 vcc, s[26:27], v[42:43]
	v_mul_f32_e32 v47, v46, v47
	s_or_b64 s[24:25], vcc, s[24:25]
	v_mov_b32_e32 v46, v35
	v_fma_f32 v35, v35, v44, -v47
	s_andn2_b64 exec, exec, s[24:25]
	s_cbranch_execnz .LBB51_164
; %bb.165:
	s_or_b64 exec, exec, s[24:25]
.LBB51_166:
	s_or_b64 exec, exec, s[22:23]
                                        ; implicit-def: $vgpr44
.LBB51_167:
	s_andn2_saveexec_b64 s[20:21], s[20:21]
; %bb.168:
	v_mov_b32_e32 v35, v44
; %bb.169:
	s_or_b64 exec, exec, s[20:21]
.LBB51_170:
	s_or_b64 exec, exec, s[14:15]
.LBB51_171:
	s_or_b64 exec, exec, s[10:11]
	v_trunc_f32_e32 v36, v36
	s_mov_b32 s10, 0x2f800000
	v_mul_f32_e64 v42, |v36|, s10
	v_floor_f32_e32 v42, v42
	s_mov_b32 s10, 0xcf800000
	v_cvt_u32_f32_e32 v43, v42
	v_fma_f32 v42, v42, s10, |v36|
	v_cvt_u32_f32_e32 v42, v42
	v_ashrrev_i32_e32 v36, 31, v36
	v_xor_b32_e32 v43, v43, v36
	v_xor_b32_e32 v42, v42, v36
	v_sub_co_u32_e32 v42, vcc, v42, v36
	v_subb_co_u32_e32 v43, vcc, v43, v36, vcc
	v_cmp_lt_i64_e32 vcc, -1, v[42:43]
	v_mov_b32_e32 v36, 0
	s_and_saveexec_b64 s[10:11], vcc
	s_cbranch_execz .LBB51_183
; %bb.172:
	v_cmp_lt_i64_e32 vcc, 0, v[42:43]
	v_mov_b32_e32 v36, 1.0
	s_and_saveexec_b64 s[14:15], vcc
	s_cbranch_execz .LBB51_182
; %bb.173:
	v_lshlrev_b32_e32 v44, 16, v45
	v_cmp_ne_u64_e32 vcc, 1, v[42:43]
	s_and_saveexec_b64 s[20:21], vcc
	s_xor_b64 s[20:21], exec, s[20:21]
	s_cbranch_execz .LBB51_179
; %bb.174:
	s_mov_b64 s[22:23], 0x81
	v_cmp_gt_u64_e32 vcc, s[22:23], v[42:43]
	v_mov_b32_e32 v36, 0x7fc00000
	s_and_saveexec_b64 s[22:23], vcc
	s_cbranch_execz .LBB51_178
; %bb.175:
	s_mov_b64 s[26:27], 1
	s_mov_b64 s[24:25], 0
	v_mov_b32_e32 v46, 1.0
	v_mov_b32_e32 v36, v44
.LBB51_176:                             ; =>This Inner Loop Header: Depth=1
	s_flbit_i32_b32 s28, s27
	s_min_u32 s30, s28, 32
	s_lshl_b64 s[28:29], s[26:27], s30
	s_min_u32 s28, s28, 1
	s_or_b32 s28, s29, s28
	v_cvt_f32_u32_e32 v47, s28
	s_sub_i32 s30, 32, s30
	s_add_u32 s26, s26, 1
	s_addc_u32 s27, s27, 0
	v_ldexp_f32 v47, v47, s30
	v_cmp_eq_u64_e32 vcc, s[26:27], v[42:43]
	v_mul_f32_e32 v47, v46, v47
	s_or_b64 s[24:25], vcc, s[24:25]
	v_mov_b32_e32 v46, v36
	v_fma_f32 v36, v36, v44, -v47
	s_andn2_b64 exec, exec, s[24:25]
	s_cbranch_execnz .LBB51_176
; %bb.177:
	s_or_b64 exec, exec, s[24:25]
.LBB51_178:
	s_or_b64 exec, exec, s[22:23]
                                        ; implicit-def: $vgpr44
.LBB51_179:
	s_andn2_saveexec_b64 s[20:21], s[20:21]
; %bb.180:
	v_mov_b32_e32 v36, v44
; %bb.181:
	s_or_b64 exec, exec, s[20:21]
.LBB51_182:
	s_or_b64 exec, exec, s[14:15]
.LBB51_183:
	s_or_b64 exec, exec, s[10:11]
	v_trunc_f32_e32 v37, v37
	s_mov_b32 s10, 0x2f800000
	v_mul_f32_e64 v42, |v37|, s10
	v_floor_f32_e32 v42, v42
	s_mov_b32 s10, 0xcf800000
	v_cvt_u32_f32_e32 v43, v42
	v_fma_f32 v42, v42, s10, |v37|
	v_cvt_u32_f32_e32 v42, v42
	v_ashrrev_i32_e32 v37, 31, v37
	v_xor_b32_e32 v43, v43, v37
	v_xor_b32_e32 v42, v42, v37
	v_sub_co_u32_e32 v42, vcc, v42, v37
	v_subb_co_u32_e32 v43, vcc, v43, v37, vcc
	v_cmp_lt_i64_e32 vcc, -1, v[42:43]
	v_mov_b32_e32 v37, 0
	s_and_saveexec_b64 s[10:11], vcc
	s_cbranch_execz .LBB51_195
; %bb.184:
	v_cmp_lt_i64_e32 vcc, 0, v[42:43]
	v_mov_b32_e32 v37, 1.0
	s_and_saveexec_b64 s[14:15], vcc
	s_cbranch_execz .LBB51_194
; %bb.185:
	v_and_b32_e32 v44, 0xffff0000, v45
	v_cmp_ne_u64_e32 vcc, 1, v[42:43]
	s_and_saveexec_b64 s[20:21], vcc
	s_xor_b64 s[20:21], exec, s[20:21]
	s_cbranch_execz .LBB51_191
; %bb.186:
	s_mov_b64 s[22:23], 0x81
	v_cmp_gt_u64_e32 vcc, s[22:23], v[42:43]
	v_mov_b32_e32 v37, 0x7fc00000
	s_and_saveexec_b64 s[22:23], vcc
	s_cbranch_execz .LBB51_190
; %bb.187:
	s_mov_b64 s[26:27], 1
	s_mov_b64 s[24:25], 0
	v_mov_b32_e32 v45, 1.0
	v_mov_b32_e32 v37, v44
.LBB51_188:                             ; =>This Inner Loop Header: Depth=1
	s_flbit_i32_b32 s28, s27
	s_min_u32 s30, s28, 32
	s_lshl_b64 s[28:29], s[26:27], s30
	s_min_u32 s28, s28, 1
	s_or_b32 s28, s29, s28
	v_cvt_f32_u32_e32 v46, s28
	s_sub_i32 s30, 32, s30
	s_add_u32 s26, s26, 1
	s_addc_u32 s27, s27, 0
	v_ldexp_f32 v46, v46, s30
	v_cmp_eq_u64_e32 vcc, s[26:27], v[42:43]
	v_mul_f32_e32 v46, v45, v46
	s_or_b64 s[24:25], vcc, s[24:25]
	v_mov_b32_e32 v45, v37
	v_fma_f32 v37, v37, v44, -v46
	s_andn2_b64 exec, exec, s[24:25]
	s_cbranch_execnz .LBB51_188
; %bb.189:
	s_or_b64 exec, exec, s[24:25]
.LBB51_190:
	s_or_b64 exec, exec, s[22:23]
                                        ; implicit-def: $vgpr44
.LBB51_191:
	s_andn2_saveexec_b64 s[20:21], s[20:21]
; %bb.192:
	v_mov_b32_e32 v37, v44
; %bb.193:
	s_or_b64 exec, exec, s[20:21]
.LBB51_194:
	s_or_b64 exec, exec, s[14:15]
.LBB51_195:
	s_or_b64 exec, exec, s[10:11]
	s_waitcnt vmcnt(2)
	v_trunc_f32_e32 v38, v38
	s_mov_b32 s10, 0x2f800000
	v_mul_f32_e64 v42, |v38|, s10
	v_floor_f32_e32 v42, v42
	s_mov_b32 s10, 0xcf800000
	v_cvt_u32_f32_e32 v43, v42
	v_fma_f32 v42, v42, s10, |v38|
	v_cvt_u32_f32_e32 v42, v42
	v_ashrrev_i32_e32 v38, 31, v38
	v_xor_b32_e32 v43, v43, v38
	v_xor_b32_e32 v42, v42, v38
	v_sub_co_u32_e32 v42, vcc, v42, v38
	v_subb_co_u32_e32 v43, vcc, v43, v38, vcc
	v_cmp_lt_i64_e32 vcc, -1, v[42:43]
	v_mov_b32_e32 v38, 0
	s_and_saveexec_b64 s[10:11], vcc
	s_cbranch_execz .LBB51_207
; %bb.196:
	v_cmp_lt_i64_e32 vcc, 0, v[42:43]
	v_mov_b32_e32 v38, 1.0
	s_and_saveexec_b64 s[14:15], vcc
	s_cbranch_execz .LBB51_206
; %bb.197:
	v_lshlrev_b32_e32 v44, 16, v26
	v_cmp_ne_u64_e32 vcc, 1, v[42:43]
                                        ; implicit-def: $vgpr38
	s_and_saveexec_b64 s[20:21], vcc
	s_xor_b64 s[20:21], exec, s[20:21]
	s_cbranch_execz .LBB51_203
; %bb.198:
	s_mov_b64 s[22:23], 0x81
	v_cmp_gt_u64_e32 vcc, s[22:23], v[42:43]
	v_mov_b32_e32 v38, 0x7fc00000
	s_and_saveexec_b64 s[22:23], vcc
	s_cbranch_execz .LBB51_202
; %bb.199:
	s_mov_b64 s[26:27], 1
	s_mov_b64 s[24:25], 0
	v_mov_b32_e32 v45, 1.0
	v_mov_b32_e32 v38, v44
.LBB51_200:                             ; =>This Inner Loop Header: Depth=1
	s_flbit_i32_b32 s28, s27
	s_min_u32 s30, s28, 32
	s_lshl_b64 s[28:29], s[26:27], s30
	s_min_u32 s28, s28, 1
	s_or_b32 s28, s29, s28
	v_cvt_f32_u32_e32 v46, s28
	s_sub_i32 s30, 32, s30
	s_add_u32 s26, s26, 1
	s_addc_u32 s27, s27, 0
	v_ldexp_f32 v46, v46, s30
	v_cmp_eq_u64_e32 vcc, s[26:27], v[42:43]
	v_mul_f32_e32 v46, v45, v46
	s_or_b64 s[24:25], vcc, s[24:25]
	v_mov_b32_e32 v45, v38
	v_fma_f32 v38, v38, v44, -v46
	s_andn2_b64 exec, exec, s[24:25]
	s_cbranch_execnz .LBB51_200
; %bb.201:
	s_or_b64 exec, exec, s[24:25]
.LBB51_202:
	s_or_b64 exec, exec, s[22:23]
                                        ; implicit-def: $vgpr44
.LBB51_203:
	s_andn2_saveexec_b64 s[20:21], s[20:21]
; %bb.204:
	v_mov_b32_e32 v38, v44
; %bb.205:
	s_or_b64 exec, exec, s[20:21]
.LBB51_206:
	s_or_b64 exec, exec, s[14:15]
.LBB51_207:
	s_or_b64 exec, exec, s[10:11]
	v_trunc_f32_e32 v39, v39
	s_mov_b32 s10, 0x2f800000
	v_mul_f32_e64 v42, |v39|, s10
	v_floor_f32_e32 v42, v42
	s_mov_b32 s10, 0xcf800000
	v_cvt_u32_f32_e32 v43, v42
	v_fma_f32 v42, v42, s10, |v39|
	v_cvt_u32_f32_e32 v42, v42
	v_ashrrev_i32_e32 v39, 31, v39
	v_xor_b32_e32 v43, v43, v39
	v_xor_b32_e32 v42, v42, v39
	v_sub_co_u32_e32 v42, vcc, v42, v39
	v_subb_co_u32_e32 v43, vcc, v43, v39, vcc
	v_cmp_lt_i64_e32 vcc, -1, v[42:43]
	v_mov_b32_e32 v39, 0
	s_and_saveexec_b64 s[10:11], vcc
	s_cbranch_execz .LBB51_219
; %bb.208:
	v_cmp_lt_i64_e32 vcc, 0, v[42:43]
	v_mov_b32_e32 v39, 1.0
	s_and_saveexec_b64 s[14:15], vcc
	s_cbranch_execz .LBB51_218
; %bb.209:
	v_and_b32_e32 v26, 0xffff0000, v26
	v_cmp_ne_u64_e32 vcc, 1, v[42:43]
	s_and_saveexec_b64 s[20:21], vcc
	s_xor_b64 s[20:21], exec, s[20:21]
	s_cbranch_execz .LBB51_215
; %bb.210:
	s_mov_b64 s[22:23], 0x81
	v_cmp_gt_u64_e32 vcc, s[22:23], v[42:43]
	v_mov_b32_e32 v39, 0x7fc00000
	s_and_saveexec_b64 s[22:23], vcc
	s_cbranch_execz .LBB51_214
; %bb.211:
	s_mov_b64 s[26:27], 1
	s_mov_b64 s[24:25], 0
	v_mov_b32_e32 v44, 1.0
	v_mov_b32_e32 v39, v26
.LBB51_212:                             ; =>This Inner Loop Header: Depth=1
	s_flbit_i32_b32 s28, s27
	s_min_u32 s30, s28, 32
	s_lshl_b64 s[28:29], s[26:27], s30
	s_min_u32 s28, s28, 1
	s_or_b32 s28, s29, s28
	v_cvt_f32_u32_e32 v45, s28
	s_sub_i32 s30, 32, s30
	s_add_u32 s26, s26, 1
	s_addc_u32 s27, s27, 0
	v_ldexp_f32 v45, v45, s30
	v_cmp_eq_u64_e32 vcc, s[26:27], v[42:43]
	v_mul_f32_e32 v45, v44, v45
	s_or_b64 s[24:25], vcc, s[24:25]
	v_mov_b32_e32 v44, v39
	v_fma_f32 v39, v39, v26, -v45
	s_andn2_b64 exec, exec, s[24:25]
	s_cbranch_execnz .LBB51_212
; %bb.213:
	s_or_b64 exec, exec, s[24:25]
.LBB51_214:
	s_or_b64 exec, exec, s[22:23]
                                        ; implicit-def: $vgpr26
.LBB51_215:
	s_andn2_saveexec_b64 s[20:21], s[20:21]
; %bb.216:
	v_mov_b32_e32 v39, v26
; %bb.217:
	s_or_b64 exec, exec, s[20:21]
.LBB51_218:
	s_or_b64 exec, exec, s[14:15]
.LBB51_219:
	s_or_b64 exec, exec, s[10:11]
	v_trunc_f32_e32 v26, v40
	s_mov_b32 s10, 0x2f800000
	v_mul_f32_e64 v40, |v26|, s10
	v_floor_f32_e32 v40, v40
	s_mov_b32 s10, 0xcf800000
	v_cvt_u32_f32_e32 v42, v40
	v_fma_f32 v40, v40, s10, |v26|
	v_cvt_u32_f32_e32 v40, v40
	v_ashrrev_i32_e32 v26, 31, v26
	v_xor_b32_e32 v43, v42, v26
	v_xor_b32_e32 v40, v40, v26
	v_sub_co_u32_e32 v42, vcc, v40, v26
	v_subb_co_u32_e32 v43, vcc, v43, v26, vcc
	v_cmp_lt_i64_e32 vcc, -1, v[42:43]
	v_mov_b32_e32 v40, 0
	s_and_saveexec_b64 s[10:11], vcc
	s_cbranch_execz .LBB51_231
; %bb.220:
	v_cmp_lt_i64_e32 vcc, 0, v[42:43]
	v_mov_b32_e32 v40, 1.0
	s_and_saveexec_b64 s[14:15], vcc
	s_cbranch_execz .LBB51_230
; %bb.221:
	v_lshlrev_b32_e32 v26, 16, v27
	v_cmp_ne_u64_e32 vcc, 1, v[42:43]
	s_and_saveexec_b64 s[20:21], vcc
	s_xor_b64 s[20:21], exec, s[20:21]
	s_cbranch_execz .LBB51_227
; %bb.222:
	s_mov_b64 s[22:23], 0x81
	v_cmp_gt_u64_e32 vcc, s[22:23], v[42:43]
	v_mov_b32_e32 v40, 0x7fc00000
	s_and_saveexec_b64 s[22:23], vcc
	s_cbranch_execz .LBB51_226
; %bb.223:
	s_mov_b64 s[26:27], 1
	s_mov_b64 s[24:25], 0
	v_mov_b32_e32 v44, 1.0
	v_mov_b32_e32 v40, v26
.LBB51_224:                             ; =>This Inner Loop Header: Depth=1
	s_flbit_i32_b32 s28, s27
	s_min_u32 s30, s28, 32
	s_lshl_b64 s[28:29], s[26:27], s30
	s_min_u32 s28, s28, 1
	s_or_b32 s28, s29, s28
	v_cvt_f32_u32_e32 v45, s28
	s_sub_i32 s30, 32, s30
	s_add_u32 s26, s26, 1
	s_addc_u32 s27, s27, 0
	v_ldexp_f32 v45, v45, s30
	v_cmp_eq_u64_e32 vcc, s[26:27], v[42:43]
	v_mul_f32_e32 v45, v44, v45
	s_or_b64 s[24:25], vcc, s[24:25]
	v_mov_b32_e32 v44, v40
	v_fma_f32 v40, v40, v26, -v45
	s_andn2_b64 exec, exec, s[24:25]
	s_cbranch_execnz .LBB51_224
; %bb.225:
	s_or_b64 exec, exec, s[24:25]
.LBB51_226:
	s_or_b64 exec, exec, s[22:23]
                                        ; implicit-def: $vgpr26
.LBB51_227:
	s_andn2_saveexec_b64 s[20:21], s[20:21]
; %bb.228:
	v_mov_b32_e32 v40, v26
; %bb.229:
	s_or_b64 exec, exec, s[20:21]
.LBB51_230:
	s_or_b64 exec, exec, s[14:15]
.LBB51_231:
	s_or_b64 exec, exec, s[10:11]
	v_trunc_f32_e32 v26, v41
	s_mov_b32 s10, 0x2f800000
	v_mul_f32_e64 v41, |v26|, s10
	v_floor_f32_e32 v41, v41
	s_mov_b32 s10, 0xcf800000
	v_cvt_u32_f32_e32 v42, v41
	v_fma_f32 v41, v41, s10, |v26|
	v_cvt_u32_f32_e32 v41, v41
	v_ashrrev_i32_e32 v26, 31, v26
	v_xor_b32_e32 v43, v42, v26
	v_xor_b32_e32 v41, v41, v26
	v_sub_co_u32_e32 v42, vcc, v41, v26
	v_subb_co_u32_e32 v43, vcc, v43, v26, vcc
	v_cmp_lt_i64_e32 vcc, -1, v[42:43]
	v_mov_b32_e32 v41, 0
	s_and_saveexec_b64 s[10:11], vcc
	s_cbranch_execz .LBB51_243
; %bb.232:
	v_cmp_lt_i64_e32 vcc, 0, v[42:43]
	v_mov_b32_e32 v41, 1.0
	s_and_saveexec_b64 s[14:15], vcc
	s_cbranch_execz .LBB51_242
; %bb.233:
	v_and_b32_e32 v26, 0xffff0000, v27
	v_cmp_ne_u64_e32 vcc, 1, v[42:43]
	s_and_saveexec_b64 s[20:21], vcc
	s_xor_b64 s[20:21], exec, s[20:21]
	s_cbranch_execz .LBB51_239
; %bb.234:
	s_mov_b64 s[22:23], 0x81
	v_cmp_gt_u64_e32 vcc, s[22:23], v[42:43]
	v_mov_b32_e32 v41, 0x7fc00000
	s_and_saveexec_b64 s[22:23], vcc
	s_cbranch_execz .LBB51_238
; %bb.235:
	s_mov_b64 s[26:27], 1
	s_mov_b64 s[24:25], 0
	v_mov_b32_e32 v27, 1.0
	v_mov_b32_e32 v41, v26
.LBB51_236:                             ; =>This Inner Loop Header: Depth=1
	s_flbit_i32_b32 s28, s27
	s_min_u32 s30, s28, 32
	s_lshl_b64 s[28:29], s[26:27], s30
	s_min_u32 s28, s28, 1
	s_or_b32 s28, s29, s28
	v_cvt_f32_u32_e32 v44, s28
	s_sub_i32 s30, 32, s30
	s_add_u32 s26, s26, 1
	s_addc_u32 s27, s27, 0
	v_ldexp_f32 v44, v44, s30
	v_cmp_eq_u64_e32 vcc, s[26:27], v[42:43]
	v_mul_f32_e32 v44, v27, v44
	s_or_b64 s[24:25], vcc, s[24:25]
	v_mov_b32_e32 v27, v41
	v_fma_f32 v41, v41, v26, -v44
	s_andn2_b64 exec, exec, s[24:25]
	s_cbranch_execnz .LBB51_236
; %bb.237:
	s_or_b64 exec, exec, s[24:25]
.LBB51_238:
	s_or_b64 exec, exec, s[22:23]
                                        ; implicit-def: $vgpr26
.LBB51_239:
	s_andn2_saveexec_b64 s[20:21], s[20:21]
; %bb.240:
	v_mov_b32_e32 v41, v26
; %bb.241:
	s_or_b64 exec, exec, s[20:21]
.LBB51_242:
	s_or_b64 exec, exec, s[14:15]
.LBB51_243:
	s_or_b64 exec, exec, s[10:11]
	v_trunc_f32_e32 v26, v30
	s_mov_b32 s10, 0x2f800000
	v_mul_f32_e64 v27, |v26|, s10
	v_floor_f32_e32 v27, v27
	s_mov_b32 s10, 0xcf800000
	v_cvt_u32_f32_e32 v30, v27
	v_fma_f32 v27, v27, s10, |v26|
	v_cvt_u32_f32_e32 v27, v27
	v_ashrrev_i32_e32 v42, 31, v26
	v_xor_b32_e32 v30, v30, v42
	v_xor_b32_e32 v26, v27, v42
	v_sub_co_u32_e32 v26, vcc, v26, v42
	v_subb_co_u32_e32 v27, vcc, v30, v42, vcc
	v_cmp_lt_i64_e32 vcc, -1, v[26:27]
	v_mov_b32_e32 v30, 0
	s_and_saveexec_b64 s[10:11], vcc
	s_cbranch_execz .LBB51_255
; %bb.244:
	v_cmp_lt_i64_e32 vcc, 0, v[26:27]
	v_mov_b32_e32 v30, 1.0
	s_and_saveexec_b64 s[14:15], vcc
	s_cbranch_execz .LBB51_254
; %bb.245:
	v_lshlrev_b32_e32 v42, 16, v28
	v_cmp_ne_u64_e32 vcc, 1, v[26:27]
                                        ; implicit-def: $vgpr30
	s_and_saveexec_b64 s[20:21], vcc
	s_xor_b64 s[20:21], exec, s[20:21]
	s_cbranch_execz .LBB51_251
; %bb.246:
	s_mov_b64 s[22:23], 0x81
	v_cmp_gt_u64_e32 vcc, s[22:23], v[26:27]
	v_mov_b32_e32 v30, 0x7fc00000
	s_and_saveexec_b64 s[22:23], vcc
	s_cbranch_execz .LBB51_250
; %bb.247:
	s_mov_b64 s[26:27], 1
	s_mov_b64 s[24:25], 0
	v_mov_b32_e32 v43, 1.0
	v_mov_b32_e32 v30, v42
.LBB51_248:                             ; =>This Inner Loop Header: Depth=1
	s_flbit_i32_b32 s28, s27
	s_min_u32 s30, s28, 32
	s_lshl_b64 s[28:29], s[26:27], s30
	s_min_u32 s28, s28, 1
	s_or_b32 s28, s29, s28
	v_cvt_f32_u32_e32 v44, s28
	s_sub_i32 s30, 32, s30
	s_add_u32 s26, s26, 1
	s_addc_u32 s27, s27, 0
	v_ldexp_f32 v44, v44, s30
	v_cmp_eq_u64_e32 vcc, s[26:27], v[26:27]
	v_mul_f32_e32 v44, v43, v44
	s_or_b64 s[24:25], vcc, s[24:25]
	v_mov_b32_e32 v43, v30
	v_fma_f32 v30, v30, v42, -v44
	s_andn2_b64 exec, exec, s[24:25]
	s_cbranch_execnz .LBB51_248
; %bb.249:
	s_or_b64 exec, exec, s[24:25]
.LBB51_250:
	s_or_b64 exec, exec, s[22:23]
                                        ; implicit-def: $vgpr42
.LBB51_251:
	s_andn2_saveexec_b64 s[20:21], s[20:21]
; %bb.252:
	v_mov_b32_e32 v30, v42
; %bb.253:
	s_or_b64 exec, exec, s[20:21]
.LBB51_254:
	s_or_b64 exec, exec, s[14:15]
.LBB51_255:
	s_or_b64 exec, exec, s[10:11]
	v_trunc_f32_e32 v26, v31
	s_mov_b32 s10, 0x2f800000
	v_mul_f32_e64 v27, |v26|, s10
	v_floor_f32_e32 v27, v27
	s_mov_b32 s10, 0xcf800000
	v_cvt_u32_f32_e32 v31, v27
	v_fma_f32 v27, v27, s10, |v26|
	v_cvt_u32_f32_e32 v27, v27
	v_ashrrev_i32_e32 v42, 31, v26
	v_xor_b32_e32 v31, v31, v42
	v_xor_b32_e32 v26, v27, v42
	v_sub_co_u32_e32 v26, vcc, v26, v42
	v_subb_co_u32_e32 v27, vcc, v31, v42, vcc
	v_cmp_lt_i64_e32 vcc, -1, v[26:27]
	v_mov_b32_e32 v31, 0
	s_and_saveexec_b64 s[10:11], vcc
	s_cbranch_execz .LBB51_267
; %bb.256:
	v_cmp_lt_i64_e32 vcc, 0, v[26:27]
	v_mov_b32_e32 v31, 1.0
	s_and_saveexec_b64 s[14:15], vcc
	s_cbranch_execz .LBB51_266
; %bb.257:
	v_and_b32_e32 v28, 0xffff0000, v28
	v_cmp_ne_u64_e32 vcc, 1, v[26:27]
	s_and_saveexec_b64 s[20:21], vcc
	s_xor_b64 s[20:21], exec, s[20:21]
	s_cbranch_execz .LBB51_263
; %bb.258:
	s_mov_b64 s[22:23], 0x81
	v_cmp_gt_u64_e32 vcc, s[22:23], v[26:27]
	v_mov_b32_e32 v31, 0x7fc00000
	s_and_saveexec_b64 s[22:23], vcc
	s_cbranch_execz .LBB51_262
; %bb.259:
	s_mov_b64 s[26:27], 1
	s_mov_b64 s[24:25], 0
	v_mov_b32_e32 v42, 1.0
	v_mov_b32_e32 v31, v28
.LBB51_260:                             ; =>This Inner Loop Header: Depth=1
	s_flbit_i32_b32 s28, s27
	s_min_u32 s30, s28, 32
	s_lshl_b64 s[28:29], s[26:27], s30
	s_min_u32 s28, s28, 1
	s_or_b32 s28, s29, s28
	v_cvt_f32_u32_e32 v43, s28
	s_sub_i32 s30, 32, s30
	s_add_u32 s26, s26, 1
	s_addc_u32 s27, s27, 0
	v_ldexp_f32 v43, v43, s30
	v_cmp_eq_u64_e32 vcc, s[26:27], v[26:27]
	v_mul_f32_e32 v43, v42, v43
	s_or_b64 s[24:25], vcc, s[24:25]
	v_mov_b32_e32 v42, v31
	v_fma_f32 v31, v31, v28, -v43
	s_andn2_b64 exec, exec, s[24:25]
	s_cbranch_execnz .LBB51_260
; %bb.261:
	s_or_b64 exec, exec, s[24:25]
.LBB51_262:
	s_or_b64 exec, exec, s[22:23]
                                        ; implicit-def: $vgpr28
.LBB51_263:
	s_andn2_saveexec_b64 s[20:21], s[20:21]
; %bb.264:
	v_mov_b32_e32 v31, v28
; %bb.265:
	s_or_b64 exec, exec, s[20:21]
.LBB51_266:
	s_or_b64 exec, exec, s[14:15]
.LBB51_267:
	s_or_b64 exec, exec, s[10:11]
	v_trunc_f32_e32 v26, v32
	s_mov_b32 s10, 0x2f800000
	v_mul_f32_e64 v27, |v26|, s10
	v_floor_f32_e32 v27, v27
	s_mov_b32 s10, 0xcf800000
	v_cvt_u32_f32_e32 v28, v27
	v_fma_f32 v27, v27, s10, |v26|
	v_cvt_u32_f32_e32 v27, v27
	v_ashrrev_i32_e32 v32, 31, v26
	v_xor_b32_e32 v28, v28, v32
	v_xor_b32_e32 v26, v27, v32
	v_sub_co_u32_e32 v26, vcc, v26, v32
	v_subb_co_u32_e32 v27, vcc, v28, v32, vcc
	v_cmp_lt_i64_e32 vcc, -1, v[26:27]
	v_mov_b32_e32 v32, 0
	s_and_saveexec_b64 s[10:11], vcc
	s_cbranch_execz .LBB51_279
; %bb.268:
	v_cmp_lt_i64_e32 vcc, 0, v[26:27]
	v_mov_b32_e32 v32, 1.0
	s_and_saveexec_b64 s[14:15], vcc
	s_cbranch_execz .LBB51_278
; %bb.269:
	v_lshlrev_b32_e32 v28, 16, v29
	v_cmp_ne_u64_e32 vcc, 1, v[26:27]
	s_and_saveexec_b64 s[20:21], vcc
	s_xor_b64 s[20:21], exec, s[20:21]
	s_cbranch_execz .LBB51_275
; %bb.270:
	s_mov_b64 s[22:23], 0x81
	v_cmp_gt_u64_e32 vcc, s[22:23], v[26:27]
	v_mov_b32_e32 v32, 0x7fc00000
	s_and_saveexec_b64 s[22:23], vcc
	s_cbranch_execz .LBB51_274
; %bb.271:
	s_mov_b64 s[26:27], 1
	s_mov_b64 s[24:25], 0
	v_mov_b32_e32 v42, 1.0
	v_mov_b32_e32 v32, v28
.LBB51_272:                             ; =>This Inner Loop Header: Depth=1
	s_flbit_i32_b32 s28, s27
	s_min_u32 s30, s28, 32
	s_lshl_b64 s[28:29], s[26:27], s30
	s_min_u32 s28, s28, 1
	s_or_b32 s28, s29, s28
	v_cvt_f32_u32_e32 v43, s28
	s_sub_i32 s30, 32, s30
	s_add_u32 s26, s26, 1
	s_addc_u32 s27, s27, 0
	v_ldexp_f32 v43, v43, s30
	v_cmp_eq_u64_e32 vcc, s[26:27], v[26:27]
	v_mul_f32_e32 v43, v42, v43
	s_or_b64 s[24:25], vcc, s[24:25]
	v_mov_b32_e32 v42, v32
	v_fma_f32 v32, v32, v28, -v43
	s_andn2_b64 exec, exec, s[24:25]
	s_cbranch_execnz .LBB51_272
; %bb.273:
	s_or_b64 exec, exec, s[24:25]
.LBB51_274:
	s_or_b64 exec, exec, s[22:23]
                                        ; implicit-def: $vgpr28
.LBB51_275:
	s_andn2_saveexec_b64 s[20:21], s[20:21]
; %bb.276:
	v_mov_b32_e32 v32, v28
; %bb.277:
	s_or_b64 exec, exec, s[20:21]
.LBB51_278:
	s_or_b64 exec, exec, s[14:15]
.LBB51_279:
	s_or_b64 exec, exec, s[10:11]
	v_trunc_f32_e32 v26, v33
	s_mov_b32 s10, 0x2f800000
	v_mul_f32_e64 v27, |v26|, s10
	v_floor_f32_e32 v27, v27
	s_mov_b32 s10, 0xcf800000
	v_cvt_u32_f32_e32 v28, v27
	v_fma_f32 v27, v27, s10, |v26|
	v_cvt_u32_f32_e32 v27, v27
	v_ashrrev_i32_e32 v33, 31, v26
	v_xor_b32_e32 v28, v28, v33
	v_xor_b32_e32 v26, v27, v33
	v_sub_co_u32_e32 v26, vcc, v26, v33
	v_subb_co_u32_e32 v27, vcc, v28, v33, vcc
	v_cmp_lt_i64_e32 vcc, -1, v[26:27]
	v_mov_b32_e32 v33, 0
	s_and_saveexec_b64 s[10:11], vcc
	s_cbranch_execz .LBB51_291
; %bb.280:
	v_cmp_lt_i64_e32 vcc, 0, v[26:27]
	v_mov_b32_e32 v33, 1.0
	s_and_saveexec_b64 s[14:15], vcc
	s_cbranch_execz .LBB51_290
; %bb.281:
	v_and_b32_e32 v28, 0xffff0000, v29
	v_cmp_ne_u64_e32 vcc, 1, v[26:27]
	s_and_saveexec_b64 s[20:21], vcc
	s_xor_b64 s[20:21], exec, s[20:21]
	s_cbranch_execz .LBB51_287
; %bb.282:
	s_mov_b64 s[22:23], 0x81
	v_cmp_gt_u64_e32 vcc, s[22:23], v[26:27]
	v_mov_b32_e32 v33, 0x7fc00000
	s_and_saveexec_b64 s[22:23], vcc
	s_cbranch_execz .LBB51_286
; %bb.283:
	s_mov_b64 s[26:27], 1
	s_mov_b64 s[24:25], 0
	v_mov_b32_e32 v29, 1.0
	v_mov_b32_e32 v33, v28
.LBB51_284:                             ; =>This Inner Loop Header: Depth=1
	s_flbit_i32_b32 s28, s27
	s_min_u32 s30, s28, 32
	s_lshl_b64 s[28:29], s[26:27], s30
	s_min_u32 s28, s28, 1
	s_or_b32 s28, s29, s28
	v_cvt_f32_u32_e32 v42, s28
	s_sub_i32 s30, 32, s30
	s_add_u32 s26, s26, 1
	s_addc_u32 s27, s27, 0
	v_ldexp_f32 v42, v42, s30
	v_cmp_eq_u64_e32 vcc, s[26:27], v[26:27]
	v_mul_f32_e32 v42, v29, v42
	s_or_b64 s[24:25], vcc, s[24:25]
	v_mov_b32_e32 v29, v33
	v_fma_f32 v33, v33, v28, -v42
	s_andn2_b64 exec, exec, s[24:25]
	s_cbranch_execnz .LBB51_284
; %bb.285:
	s_or_b64 exec, exec, s[24:25]
.LBB51_286:
	s_or_b64 exec, exec, s[22:23]
                                        ; implicit-def: $vgpr28
.LBB51_287:
	s_andn2_saveexec_b64 s[20:21], s[20:21]
; %bb.288:
	v_mov_b32_e32 v33, v28
; %bb.289:
	s_or_b64 exec, exec, s[20:21]
.LBB51_290:
	s_or_b64 exec, exec, s[14:15]
.LBB51_291:
	s_or_b64 exec, exec, s[10:11]
	s_waitcnt vmcnt(1)
	v_trunc_f32_e32 v18, v18
	s_mov_b32 s10, 0x2f800000
	v_mul_f32_e64 v26, |v18|, s10
	v_floor_f32_e32 v26, v26
	s_mov_b32 s10, 0xcf800000
	v_cvt_u32_f32_e32 v27, v26
	v_fma_f32 v26, v26, s10, |v18|
	v_cvt_u32_f32_e32 v26, v26
	v_ashrrev_i32_e32 v18, 31, v18
	v_xor_b32_e32 v27, v27, v18
	v_xor_b32_e32 v26, v26, v18
	v_sub_co_u32_e32 v26, vcc, v26, v18
	v_subb_co_u32_e32 v27, vcc, v27, v18, vcc
	v_cmp_lt_i64_e32 vcc, -1, v[26:27]
	v_mov_b32_e32 v18, 0
	s_and_saveexec_b64 s[10:11], vcc
	s_cbranch_execz .LBB51_303
; %bb.292:
	v_cmp_lt_i64_e32 vcc, 0, v[26:27]
	v_mov_b32_e32 v18, 1.0
	s_and_saveexec_b64 s[14:15], vcc
	s_cbranch_execz .LBB51_302
; %bb.293:
	v_lshlrev_b32_e32 v28, 16, v6
	v_cmp_ne_u64_e32 vcc, 1, v[26:27]
                                        ; implicit-def: $vgpr18
	s_and_saveexec_b64 s[20:21], vcc
	s_xor_b64 s[20:21], exec, s[20:21]
	s_cbranch_execz .LBB51_299
; %bb.294:
	s_mov_b64 s[22:23], 0x81
	v_cmp_gt_u64_e32 vcc, s[22:23], v[26:27]
	v_mov_b32_e32 v18, 0x7fc00000
	s_and_saveexec_b64 s[22:23], vcc
	s_cbranch_execz .LBB51_298
; %bb.295:
	s_mov_b64 s[26:27], 1
	s_mov_b64 s[24:25], 0
	v_mov_b32_e32 v29, 1.0
	v_mov_b32_e32 v18, v28
.LBB51_296:                             ; =>This Inner Loop Header: Depth=1
	s_flbit_i32_b32 s28, s27
	s_min_u32 s30, s28, 32
	s_lshl_b64 s[28:29], s[26:27], s30
	s_min_u32 s28, s28, 1
	s_or_b32 s28, s29, s28
	v_cvt_f32_u32_e32 v42, s28
	s_sub_i32 s30, 32, s30
	s_add_u32 s26, s26, 1
	s_addc_u32 s27, s27, 0
	v_ldexp_f32 v42, v42, s30
	v_cmp_eq_u64_e32 vcc, s[26:27], v[26:27]
	v_mul_f32_e32 v42, v29, v42
	s_or_b64 s[24:25], vcc, s[24:25]
	v_mov_b32_e32 v29, v18
	v_fma_f32 v18, v18, v28, -v42
	s_andn2_b64 exec, exec, s[24:25]
	s_cbranch_execnz .LBB51_296
; %bb.297:
	s_or_b64 exec, exec, s[24:25]
.LBB51_298:
	s_or_b64 exec, exec, s[22:23]
                                        ; implicit-def: $vgpr28
.LBB51_299:
	s_andn2_saveexec_b64 s[20:21], s[20:21]
; %bb.300:
	v_mov_b32_e32 v18, v28
; %bb.301:
	s_or_b64 exec, exec, s[20:21]
.LBB51_302:
	s_or_b64 exec, exec, s[14:15]
.LBB51_303:
	s_or_b64 exec, exec, s[10:11]
	v_trunc_f32_e32 v19, v19
	s_mov_b32 s10, 0x2f800000
	v_mul_f32_e64 v26, |v19|, s10
	v_floor_f32_e32 v26, v26
	s_mov_b32 s10, 0xcf800000
	v_cvt_u32_f32_e32 v27, v26
	v_fma_f32 v26, v26, s10, |v19|
	v_cvt_u32_f32_e32 v26, v26
	v_ashrrev_i32_e32 v19, 31, v19
	v_xor_b32_e32 v27, v27, v19
	v_xor_b32_e32 v26, v26, v19
	v_sub_co_u32_e32 v26, vcc, v26, v19
	v_subb_co_u32_e32 v27, vcc, v27, v19, vcc
	v_cmp_lt_i64_e32 vcc, -1, v[26:27]
	v_mov_b32_e32 v19, 0
	s_and_saveexec_b64 s[10:11], vcc
	s_cbranch_execz .LBB51_315
; %bb.304:
	v_cmp_lt_i64_e32 vcc, 0, v[26:27]
	v_mov_b32_e32 v19, 1.0
	s_and_saveexec_b64 s[14:15], vcc
	s_cbranch_execz .LBB51_314
; %bb.305:
	v_and_b32_e32 v6, 0xffff0000, v6
	v_cmp_ne_u64_e32 vcc, 1, v[26:27]
	s_and_saveexec_b64 s[20:21], vcc
	s_xor_b64 s[20:21], exec, s[20:21]
	s_cbranch_execz .LBB51_311
; %bb.306:
	s_mov_b64 s[22:23], 0x81
	v_cmp_gt_u64_e32 vcc, s[22:23], v[26:27]
	v_mov_b32_e32 v19, 0x7fc00000
	s_and_saveexec_b64 s[22:23], vcc
	s_cbranch_execz .LBB51_310
; %bb.307:
	s_mov_b64 s[26:27], 1
	s_mov_b64 s[24:25], 0
	v_mov_b32_e32 v28, 1.0
	v_mov_b32_e32 v19, v6
.LBB51_308:                             ; =>This Inner Loop Header: Depth=1
	s_flbit_i32_b32 s28, s27
	s_min_u32 s30, s28, 32
	s_lshl_b64 s[28:29], s[26:27], s30
	s_min_u32 s28, s28, 1
	s_or_b32 s28, s29, s28
	v_cvt_f32_u32_e32 v29, s28
	s_sub_i32 s30, 32, s30
	s_add_u32 s26, s26, 1
	s_addc_u32 s27, s27, 0
	v_ldexp_f32 v29, v29, s30
	v_cmp_eq_u64_e32 vcc, s[26:27], v[26:27]
	v_mul_f32_e32 v29, v28, v29
	s_or_b64 s[24:25], vcc, s[24:25]
	v_mov_b32_e32 v28, v19
	v_fma_f32 v19, v19, v6, -v29
	s_andn2_b64 exec, exec, s[24:25]
	s_cbranch_execnz .LBB51_308
; %bb.309:
	s_or_b64 exec, exec, s[24:25]
.LBB51_310:
	s_or_b64 exec, exec, s[22:23]
                                        ; implicit-def: $vgpr6
.LBB51_311:
	s_andn2_saveexec_b64 s[20:21], s[20:21]
; %bb.312:
	v_mov_b32_e32 v19, v6
; %bb.313:
	s_or_b64 exec, exec, s[20:21]
.LBB51_314:
	s_or_b64 exec, exec, s[14:15]
.LBB51_315:
	s_or_b64 exec, exec, s[10:11]
	v_trunc_f32_e32 v6, v20
	s_mov_b32 s10, 0x2f800000
	v_mul_f32_e64 v20, |v6|, s10
	v_floor_f32_e32 v20, v20
	s_mov_b32 s10, 0xcf800000
	v_cvt_u32_f32_e32 v26, v20
	v_fma_f32 v20, v20, s10, |v6|
	v_cvt_u32_f32_e32 v20, v20
	v_ashrrev_i32_e32 v6, 31, v6
	v_xor_b32_e32 v27, v26, v6
	v_xor_b32_e32 v20, v20, v6
	v_sub_co_u32_e32 v26, vcc, v20, v6
	v_subb_co_u32_e32 v27, vcc, v27, v6, vcc
	v_cmp_lt_i64_e32 vcc, -1, v[26:27]
	v_mov_b32_e32 v20, 0
	s_and_saveexec_b64 s[10:11], vcc
	s_cbranch_execz .LBB51_327
; %bb.316:
	v_cmp_lt_i64_e32 vcc, 0, v[26:27]
	v_mov_b32_e32 v20, 1.0
	s_and_saveexec_b64 s[14:15], vcc
	s_cbranch_execz .LBB51_326
; %bb.317:
	v_lshlrev_b32_e32 v6, 16, v7
	v_cmp_ne_u64_e32 vcc, 1, v[26:27]
	s_and_saveexec_b64 s[20:21], vcc
	s_xor_b64 s[20:21], exec, s[20:21]
	s_cbranch_execz .LBB51_323
; %bb.318:
	s_mov_b64 s[22:23], 0x81
	v_cmp_gt_u64_e32 vcc, s[22:23], v[26:27]
	v_mov_b32_e32 v20, 0x7fc00000
	s_and_saveexec_b64 s[22:23], vcc
	s_cbranch_execz .LBB51_322
; %bb.319:
	s_mov_b64 s[26:27], 1
	s_mov_b64 s[24:25], 0
	v_mov_b32_e32 v28, 1.0
	v_mov_b32_e32 v20, v6
.LBB51_320:                             ; =>This Inner Loop Header: Depth=1
	s_flbit_i32_b32 s28, s27
	s_min_u32 s30, s28, 32
	s_lshl_b64 s[28:29], s[26:27], s30
	s_min_u32 s28, s28, 1
	s_or_b32 s28, s29, s28
	v_cvt_f32_u32_e32 v29, s28
	s_sub_i32 s30, 32, s30
	s_add_u32 s26, s26, 1
	s_addc_u32 s27, s27, 0
	v_ldexp_f32 v29, v29, s30
	v_cmp_eq_u64_e32 vcc, s[26:27], v[26:27]
	v_mul_f32_e32 v29, v28, v29
	s_or_b64 s[24:25], vcc, s[24:25]
	v_mov_b32_e32 v28, v20
	v_fma_f32 v20, v20, v6, -v29
	s_andn2_b64 exec, exec, s[24:25]
	s_cbranch_execnz .LBB51_320
; %bb.321:
	s_or_b64 exec, exec, s[24:25]
.LBB51_322:
	s_or_b64 exec, exec, s[22:23]
                                        ; implicit-def: $vgpr6
.LBB51_323:
	s_andn2_saveexec_b64 s[20:21], s[20:21]
; %bb.324:
	v_mov_b32_e32 v20, v6
; %bb.325:
	s_or_b64 exec, exec, s[20:21]
.LBB51_326:
	s_or_b64 exec, exec, s[14:15]
.LBB51_327:
	s_or_b64 exec, exec, s[10:11]
	v_trunc_f32_e32 v6, v21
	s_mov_b32 s10, 0x2f800000
	v_mul_f32_e64 v21, |v6|, s10
	v_floor_f32_e32 v21, v21
	s_mov_b32 s10, 0xcf800000
	v_cvt_u32_f32_e32 v26, v21
	v_fma_f32 v21, v21, s10, |v6|
	v_cvt_u32_f32_e32 v21, v21
	v_ashrrev_i32_e32 v6, 31, v6
	v_xor_b32_e32 v27, v26, v6
	v_xor_b32_e32 v21, v21, v6
	v_sub_co_u32_e32 v26, vcc, v21, v6
	v_subb_co_u32_e32 v27, vcc, v27, v6, vcc
	v_cmp_lt_i64_e32 vcc, -1, v[26:27]
	v_mov_b32_e32 v21, 0
	s_and_saveexec_b64 s[10:11], vcc
	s_cbranch_execz .LBB51_339
; %bb.328:
	v_cmp_lt_i64_e32 vcc, 0, v[26:27]
	v_mov_b32_e32 v21, 1.0
	s_and_saveexec_b64 s[14:15], vcc
	s_cbranch_execz .LBB51_338
; %bb.329:
	v_and_b32_e32 v6, 0xffff0000, v7
	v_cmp_ne_u64_e32 vcc, 1, v[26:27]
	s_and_saveexec_b64 s[20:21], vcc
	s_xor_b64 s[20:21], exec, s[20:21]
	s_cbranch_execz .LBB51_335
; %bb.330:
	s_mov_b64 s[22:23], 0x81
	v_cmp_gt_u64_e32 vcc, s[22:23], v[26:27]
	v_mov_b32_e32 v21, 0x7fc00000
	s_and_saveexec_b64 s[22:23], vcc
	s_cbranch_execz .LBB51_334
; %bb.331:
	s_mov_b64 s[26:27], 1
	s_mov_b64 s[24:25], 0
	v_mov_b32_e32 v7, 1.0
	v_mov_b32_e32 v21, v6
.LBB51_332:                             ; =>This Inner Loop Header: Depth=1
	s_flbit_i32_b32 s28, s27
	s_min_u32 s30, s28, 32
	s_lshl_b64 s[28:29], s[26:27], s30
	s_min_u32 s28, s28, 1
	s_or_b32 s28, s29, s28
	v_cvt_f32_u32_e32 v28, s28
	s_sub_i32 s30, 32, s30
	s_add_u32 s26, s26, 1
	s_addc_u32 s27, s27, 0
	v_ldexp_f32 v28, v28, s30
	v_cmp_eq_u64_e32 vcc, s[26:27], v[26:27]
	v_mul_f32_e32 v28, v7, v28
	s_or_b64 s[24:25], vcc, s[24:25]
	v_mov_b32_e32 v7, v21
	v_fma_f32 v21, v21, v6, -v28
	s_andn2_b64 exec, exec, s[24:25]
	s_cbranch_execnz .LBB51_332
; %bb.333:
	s_or_b64 exec, exec, s[24:25]
.LBB51_334:
	s_or_b64 exec, exec, s[22:23]
                                        ; implicit-def: $vgpr6
.LBB51_335:
	s_andn2_saveexec_b64 s[20:21], s[20:21]
; %bb.336:
	v_mov_b32_e32 v21, v6
; %bb.337:
	s_or_b64 exec, exec, s[20:21]
.LBB51_338:
	s_or_b64 exec, exec, s[14:15]
.LBB51_339:
	s_or_b64 exec, exec, s[10:11]
	s_waitcnt vmcnt(0)
	v_trunc_f32_e32 v6, v10
	s_mov_b32 s10, 0x2f800000
	v_mul_f32_e64 v7, |v6|, s10
	v_floor_f32_e32 v7, v7
	s_mov_b32 s10, 0xcf800000
	v_cvt_u32_f32_e32 v10, v7
	v_fma_f32 v7, v7, s10, |v6|
	v_cvt_u32_f32_e32 v7, v7
	v_ashrrev_i32_e32 v26, 31, v6
	v_xor_b32_e32 v10, v10, v26
	v_xor_b32_e32 v6, v7, v26
	v_sub_co_u32_e32 v6, vcc, v6, v26
	v_subb_co_u32_e32 v7, vcc, v10, v26, vcc
	v_cmp_lt_i64_e32 vcc, -1, v[6:7]
	v_mov_b32_e32 v10, 0
	s_and_saveexec_b64 s[10:11], vcc
	s_cbranch_execz .LBB51_351
; %bb.340:
	v_cmp_lt_i64_e32 vcc, 0, v[6:7]
	v_mov_b32_e32 v10, 1.0
	s_and_saveexec_b64 s[14:15], vcc
	s_cbranch_execz .LBB51_350
; %bb.341:
	v_lshlrev_b32_e32 v26, 16, v8
	v_cmp_ne_u64_e32 vcc, 1, v[6:7]
                                        ; implicit-def: $vgpr10
	s_and_saveexec_b64 s[20:21], vcc
	s_xor_b64 s[20:21], exec, s[20:21]
	s_cbranch_execz .LBB51_347
; %bb.342:
	s_mov_b64 s[22:23], 0x81
	v_cmp_gt_u64_e32 vcc, s[22:23], v[6:7]
	v_mov_b32_e32 v10, 0x7fc00000
	s_and_saveexec_b64 s[22:23], vcc
	s_cbranch_execz .LBB51_346
; %bb.343:
	s_mov_b64 s[26:27], 1
	s_mov_b64 s[24:25], 0
	v_mov_b32_e32 v27, 1.0
	v_mov_b32_e32 v10, v26
.LBB51_344:                             ; =>This Inner Loop Header: Depth=1
	s_flbit_i32_b32 s28, s27
	s_min_u32 s30, s28, 32
	s_lshl_b64 s[28:29], s[26:27], s30
	s_min_u32 s28, s28, 1
	s_or_b32 s28, s29, s28
	v_cvt_f32_u32_e32 v28, s28
	s_sub_i32 s30, 32, s30
	s_add_u32 s26, s26, 1
	s_addc_u32 s27, s27, 0
	v_ldexp_f32 v28, v28, s30
	v_cmp_eq_u64_e32 vcc, s[26:27], v[6:7]
	v_mul_f32_e32 v28, v27, v28
	s_or_b64 s[24:25], vcc, s[24:25]
	v_mov_b32_e32 v27, v10
	v_fma_f32 v10, v10, v26, -v28
	s_andn2_b64 exec, exec, s[24:25]
	s_cbranch_execnz .LBB51_344
; %bb.345:
	s_or_b64 exec, exec, s[24:25]
.LBB51_346:
	s_or_b64 exec, exec, s[22:23]
                                        ; implicit-def: $vgpr26
.LBB51_347:
	s_andn2_saveexec_b64 s[20:21], s[20:21]
; %bb.348:
	v_mov_b32_e32 v10, v26
; %bb.349:
	s_or_b64 exec, exec, s[20:21]
.LBB51_350:
	s_or_b64 exec, exec, s[14:15]
.LBB51_351:
	s_or_b64 exec, exec, s[10:11]
	v_trunc_f32_e32 v6, v11
	s_mov_b32 s10, 0x2f800000
	v_mul_f32_e64 v7, |v6|, s10
	v_floor_f32_e32 v7, v7
	s_mov_b32 s10, 0xcf800000
	v_cvt_u32_f32_e32 v11, v7
	v_fma_f32 v7, v7, s10, |v6|
	v_cvt_u32_f32_e32 v7, v7
	v_ashrrev_i32_e32 v26, 31, v6
	v_xor_b32_e32 v11, v11, v26
	v_xor_b32_e32 v6, v7, v26
	v_sub_co_u32_e32 v6, vcc, v6, v26
	v_subb_co_u32_e32 v7, vcc, v11, v26, vcc
	v_cmp_lt_i64_e32 vcc, -1, v[6:7]
	v_mov_b32_e32 v11, 0
	s_and_saveexec_b64 s[10:11], vcc
	s_cbranch_execz .LBB51_363
; %bb.352:
	v_cmp_lt_i64_e32 vcc, 0, v[6:7]
	v_mov_b32_e32 v11, 1.0
	s_and_saveexec_b64 s[14:15], vcc
	s_cbranch_execz .LBB51_362
; %bb.353:
	v_and_b32_e32 v8, 0xffff0000, v8
	v_cmp_ne_u64_e32 vcc, 1, v[6:7]
	s_and_saveexec_b64 s[20:21], vcc
	s_xor_b64 s[20:21], exec, s[20:21]
	s_cbranch_execz .LBB51_359
; %bb.354:
	s_mov_b64 s[22:23], 0x81
	v_cmp_gt_u64_e32 vcc, s[22:23], v[6:7]
	v_mov_b32_e32 v11, 0x7fc00000
	s_and_saveexec_b64 s[22:23], vcc
	s_cbranch_execz .LBB51_358
; %bb.355:
	s_mov_b64 s[26:27], 1
	s_mov_b64 s[24:25], 0
	v_mov_b32_e32 v26, 1.0
	v_mov_b32_e32 v11, v8
.LBB51_356:                             ; =>This Inner Loop Header: Depth=1
	s_flbit_i32_b32 s28, s27
	s_min_u32 s30, s28, 32
	s_lshl_b64 s[28:29], s[26:27], s30
	s_min_u32 s28, s28, 1
	s_or_b32 s28, s29, s28
	v_cvt_f32_u32_e32 v27, s28
	s_sub_i32 s30, 32, s30
	s_add_u32 s26, s26, 1
	s_addc_u32 s27, s27, 0
	v_ldexp_f32 v27, v27, s30
	v_cmp_eq_u64_e32 vcc, s[26:27], v[6:7]
	v_mul_f32_e32 v27, v26, v27
	s_or_b64 s[24:25], vcc, s[24:25]
	v_mov_b32_e32 v26, v11
	v_fma_f32 v11, v11, v8, -v27
	s_andn2_b64 exec, exec, s[24:25]
	s_cbranch_execnz .LBB51_356
; %bb.357:
	s_or_b64 exec, exec, s[24:25]
.LBB51_358:
	s_or_b64 exec, exec, s[22:23]
                                        ; implicit-def: $vgpr8
.LBB51_359:
	s_andn2_saveexec_b64 s[20:21], s[20:21]
; %bb.360:
	v_mov_b32_e32 v11, v8
; %bb.361:
	s_or_b64 exec, exec, s[20:21]
.LBB51_362:
	s_or_b64 exec, exec, s[14:15]
.LBB51_363:
	s_or_b64 exec, exec, s[10:11]
	v_trunc_f32_e32 v6, v12
	s_mov_b32 s10, 0x2f800000
	v_mul_f32_e64 v7, |v6|, s10
	v_floor_f32_e32 v7, v7
	s_mov_b32 s10, 0xcf800000
	v_cvt_u32_f32_e32 v8, v7
	v_fma_f32 v7, v7, s10, |v6|
	v_cvt_u32_f32_e32 v7, v7
	v_ashrrev_i32_e32 v12, 31, v6
	v_xor_b32_e32 v8, v8, v12
	v_xor_b32_e32 v6, v7, v12
	v_sub_co_u32_e32 v6, vcc, v6, v12
	v_subb_co_u32_e32 v7, vcc, v8, v12, vcc
	v_cmp_lt_i64_e32 vcc, -1, v[6:7]
	v_mov_b32_e32 v12, 0
	s_and_saveexec_b64 s[10:11], vcc
	s_cbranch_execz .LBB51_375
; %bb.364:
	v_cmp_lt_i64_e32 vcc, 0, v[6:7]
	v_mov_b32_e32 v12, 1.0
	s_and_saveexec_b64 s[14:15], vcc
	s_cbranch_execz .LBB51_374
; %bb.365:
	v_lshlrev_b32_e32 v8, 16, v9
	v_cmp_ne_u64_e32 vcc, 1, v[6:7]
	s_and_saveexec_b64 s[20:21], vcc
	s_xor_b64 s[20:21], exec, s[20:21]
	s_cbranch_execz .LBB51_371
; %bb.366:
	s_mov_b64 s[22:23], 0x81
	v_cmp_gt_u64_e32 vcc, s[22:23], v[6:7]
	v_mov_b32_e32 v12, 0x7fc00000
	s_and_saveexec_b64 s[22:23], vcc
	s_cbranch_execz .LBB51_370
; %bb.367:
	s_mov_b64 s[26:27], 1
	s_mov_b64 s[24:25], 0
	v_mov_b32_e32 v26, 1.0
	v_mov_b32_e32 v12, v8
.LBB51_368:                             ; =>This Inner Loop Header: Depth=1
	s_flbit_i32_b32 s28, s27
	s_min_u32 s30, s28, 32
	s_lshl_b64 s[28:29], s[26:27], s30
	s_min_u32 s28, s28, 1
	s_or_b32 s28, s29, s28
	v_cvt_f32_u32_e32 v27, s28
	s_sub_i32 s30, 32, s30
	s_add_u32 s26, s26, 1
	s_addc_u32 s27, s27, 0
	v_ldexp_f32 v27, v27, s30
	v_cmp_eq_u64_e32 vcc, s[26:27], v[6:7]
	v_mul_f32_e32 v27, v26, v27
	s_or_b64 s[24:25], vcc, s[24:25]
	v_mov_b32_e32 v26, v12
	v_fma_f32 v12, v12, v8, -v27
	s_andn2_b64 exec, exec, s[24:25]
	s_cbranch_execnz .LBB51_368
; %bb.369:
	s_or_b64 exec, exec, s[24:25]
.LBB51_370:
	s_or_b64 exec, exec, s[22:23]
                                        ; implicit-def: $vgpr8
.LBB51_371:
	s_andn2_saveexec_b64 s[20:21], s[20:21]
; %bb.372:
	v_mov_b32_e32 v12, v8
; %bb.373:
	s_or_b64 exec, exec, s[20:21]
.LBB51_374:
	s_or_b64 exec, exec, s[14:15]
.LBB51_375:
	s_or_b64 exec, exec, s[10:11]
	v_trunc_f32_e32 v6, v13
	s_mov_b32 s10, 0x2f800000
	v_mul_f32_e64 v7, |v6|, s10
	v_floor_f32_e32 v7, v7
	s_mov_b32 s10, 0xcf800000
	v_cvt_u32_f32_e32 v8, v7
	v_fma_f32 v7, v7, s10, |v6|
	v_cvt_u32_f32_e32 v7, v7
	v_ashrrev_i32_e32 v13, 31, v6
	v_xor_b32_e32 v8, v8, v13
	v_xor_b32_e32 v6, v7, v13
	v_sub_co_u32_e32 v6, vcc, v6, v13
	v_subb_co_u32_e32 v7, vcc, v8, v13, vcc
	v_cmp_lt_i64_e32 vcc, -1, v[6:7]
	v_mov_b32_e32 v13, 0
	s_and_saveexec_b64 s[10:11], vcc
	s_cbranch_execz .LBB51_387
; %bb.376:
	v_cmp_lt_i64_e32 vcc, 0, v[6:7]
	v_mov_b32_e32 v13, 1.0
	s_and_saveexec_b64 s[14:15], vcc
	s_cbranch_execz .LBB51_386
; %bb.377:
	v_and_b32_e32 v8, 0xffff0000, v9
	v_cmp_ne_u64_e32 vcc, 1, v[6:7]
	s_and_saveexec_b64 s[20:21], vcc
	s_xor_b64 s[20:21], exec, s[20:21]
	s_cbranch_execz .LBB51_383
; %bb.378:
	s_mov_b64 s[22:23], 0x81
	v_cmp_gt_u64_e32 vcc, s[22:23], v[6:7]
	v_mov_b32_e32 v13, 0x7fc00000
	s_and_saveexec_b64 s[22:23], vcc
	s_cbranch_execz .LBB51_382
; %bb.379:
	s_mov_b64 s[26:27], 1
	s_mov_b64 s[24:25], 0
	v_mov_b32_e32 v9, 1.0
	v_mov_b32_e32 v13, v8
.LBB51_380:                             ; =>This Inner Loop Header: Depth=1
	s_flbit_i32_b32 s28, s27
	s_min_u32 s30, s28, 32
	s_lshl_b64 s[28:29], s[26:27], s30
	s_min_u32 s28, s28, 1
	s_or_b32 s28, s29, s28
	v_cvt_f32_u32_e32 v26, s28
	s_sub_i32 s30, 32, s30
	s_add_u32 s26, s26, 1
	s_addc_u32 s27, s27, 0
	v_ldexp_f32 v26, v26, s30
	v_cmp_eq_u64_e32 vcc, s[26:27], v[6:7]
	v_mul_f32_e32 v26, v9, v26
	s_or_b64 s[24:25], vcc, s[24:25]
	v_mov_b32_e32 v9, v13
	v_fma_f32 v13, v13, v8, -v26
	s_andn2_b64 exec, exec, s[24:25]
	s_cbranch_execnz .LBB51_380
; %bb.381:
	s_or_b64 exec, exec, s[24:25]
.LBB51_382:
	s_or_b64 exec, exec, s[22:23]
                                        ; implicit-def: $vgpr8
.LBB51_383:
	s_andn2_saveexec_b64 s[20:21], s[20:21]
; %bb.384:
	v_mov_b32_e32 v13, v8
; %bb.385:
	s_or_b64 exec, exec, s[20:21]
.LBB51_386:
	s_or_b64 exec, exec, s[14:15]
.LBB51_387:
	s_or_b64 exec, exec, s[10:11]
	s_add_u32 s8, s16, s8
	s_addc_u32 s9, s17, s9
	v_mov_b32_e32 v6, s9
	v_add_co_u32_e32 v7, vcc, s8, v52
	v_addc_co_u32_e32 v6, vcc, 0, v6, vcc
	global_store_dwordx4 v52, v[2:5], s[8:9]
	global_store_dwordx4 v52, v[14:17], s[8:9] offset:16
	v_add_co_u32_e32 v2, vcc, 0x4000, v7
	v_addc_co_u32_e32 v3, vcc, 0, v6, vcc
	global_store_dwordx4 v[2:3], v[22:25], off
	global_store_dwordx4 v[2:3], v[34:37], off offset:16
	global_store_dwordx4 v1, v[38:41], s[8:9]
	global_store_dwordx4 v1, v[30:33], s[8:9] offset:16
	v_add_co_u32_e32 v2, vcc, 0xc000, v7
	v_addc_co_u32_e32 v3, vcc, 0, v6, vcc
	global_store_dwordx4 v[2:3], v[18:21], off
	global_store_dwordx4 v[2:3], v[10:13], off offset:16
	s_branch .LBB51_2
.LBB51_388:
	s_load_dword s10, s[4:5], 0x24
	s_load_dwordx4 s[20:23], s[4:5], 0x28
	s_add_u32 s8, s4, 56
	s_addc_u32 s9, s5, 0
	v_mov_b32_e32 v31, v0
	s_waitcnt lgkmcnt(0)
	v_lshrrev_b16_e64 v8, 8, s10
	v_mov_b32_e32 v0, s16
	v_mov_b32_e32 v1, s17
	;; [unrolled: 1-line block ×12, first 2 shown]
	s_getpc_b64 s[4:5]
	s_add_u32 s4, s4, _ZN2at6native25elementwise_kernel_helperILb1ENS0_13BinaryFunctorIfffZZZNS0_12_GLOBAL__N_133hermite_polynomial_he_kernel_cudaERNS_18TensorIteratorBaseEENKUlvE_clEvENKUlvE0_clEvEUlffE_EENS0_6memory8policies11unroll_baseILi512ESt5arrayIPcLm3EE23TrivialOffsetCalculatorILi2EjESG_ILi1EjENSA_12LoadWithCastILi2EEENSA_13StoreWithCastILi1EEELi32ELi1EEEEEvT0_T1_@rel32@lo+4
	s_addc_u32 s5, s5, _ZN2at6native25elementwise_kernel_helperILb1ENS0_13BinaryFunctorIfffZZZNS0_12_GLOBAL__N_133hermite_polynomial_he_kernel_cudaERNS_18TensorIteratorBaseEENKUlvE_clEvENKUlvE0_clEvEUlffE_EENS0_6memory8policies11unroll_baseILi512ESt5arrayIPcLm3EE23TrivialOffsetCalculatorILi2EjESG_ILi1EjENSA_12LoadWithCastILi2EEENSA_13StoreWithCastILi1EEELi32ELi1EEEEEvT0_T1_@rel32@hi+12
	s_swappc_b64 s[30:31], s[4:5]
	s_endpgm
	.section	.rodata,"a",@progbits
	.p2align	6, 0x0
	.amdhsa_kernel _ZN2at6native39vectorized_templated_elementwise_kernelILi8ENS0_13BinaryFunctorIfffZZZNS0_12_GLOBAL__N_133hermite_polynomial_he_kernel_cudaERNS_18TensorIteratorBaseEENKUlvE_clEvENKUlvE0_clEvEUlffE_EESt5arrayIPcLm3EE23TrivialOffsetCalculatorILi2EjESD_ILi1EjENS0_6memory12LoadWithCastILi2EEENSG_13StoreWithCastILi1EEEfJN3c108BFloat16EfEEEviT0_T1_T2_T3_T4_T5_
		.amdhsa_group_segment_fixed_size 0
		.amdhsa_private_segment_fixed_size 288
		.amdhsa_kernarg_size 312
		.amdhsa_user_sgpr_count 8
		.amdhsa_user_sgpr_private_segment_buffer 1
		.amdhsa_user_sgpr_dispatch_ptr 0
		.amdhsa_user_sgpr_queue_ptr 0
		.amdhsa_user_sgpr_kernarg_segment_ptr 1
		.amdhsa_user_sgpr_dispatch_id 0
		.amdhsa_user_sgpr_flat_scratch_init 1
		.amdhsa_user_sgpr_kernarg_preload_length 0
		.amdhsa_user_sgpr_kernarg_preload_offset 0
		.amdhsa_user_sgpr_private_segment_size 0
		.amdhsa_uses_dynamic_stack 0
		.amdhsa_system_sgpr_private_segment_wavefront_offset 1
		.amdhsa_system_sgpr_workgroup_id_x 1
		.amdhsa_system_sgpr_workgroup_id_y 0
		.amdhsa_system_sgpr_workgroup_id_z 0
		.amdhsa_system_sgpr_workgroup_info 0
		.amdhsa_system_vgpr_workitem_id 0
		.amdhsa_next_free_vgpr 120
		.amdhsa_next_free_sgpr 98
		.amdhsa_accum_offset 120
		.amdhsa_reserve_vcc 1
		.amdhsa_reserve_flat_scratch 1
		.amdhsa_float_round_mode_32 0
		.amdhsa_float_round_mode_16_64 0
		.amdhsa_float_denorm_mode_32 3
		.amdhsa_float_denorm_mode_16_64 3
		.amdhsa_dx10_clamp 1
		.amdhsa_ieee_mode 1
		.amdhsa_fp16_overflow 0
		.amdhsa_tg_split 0
		.amdhsa_exception_fp_ieee_invalid_op 0
		.amdhsa_exception_fp_denorm_src 0
		.amdhsa_exception_fp_ieee_div_zero 0
		.amdhsa_exception_fp_ieee_overflow 0
		.amdhsa_exception_fp_ieee_underflow 0
		.amdhsa_exception_fp_ieee_inexact 0
		.amdhsa_exception_int_div_zero 0
	.end_amdhsa_kernel
	.section	.text._ZN2at6native39vectorized_templated_elementwise_kernelILi8ENS0_13BinaryFunctorIfffZZZNS0_12_GLOBAL__N_133hermite_polynomial_he_kernel_cudaERNS_18TensorIteratorBaseEENKUlvE_clEvENKUlvE0_clEvEUlffE_EESt5arrayIPcLm3EE23TrivialOffsetCalculatorILi2EjESD_ILi1EjENS0_6memory12LoadWithCastILi2EEENSG_13StoreWithCastILi1EEEfJN3c108BFloat16EfEEEviT0_T1_T2_T3_T4_T5_,"axG",@progbits,_ZN2at6native39vectorized_templated_elementwise_kernelILi8ENS0_13BinaryFunctorIfffZZZNS0_12_GLOBAL__N_133hermite_polynomial_he_kernel_cudaERNS_18TensorIteratorBaseEENKUlvE_clEvENKUlvE0_clEvEUlffE_EESt5arrayIPcLm3EE23TrivialOffsetCalculatorILi2EjESD_ILi1EjENS0_6memory12LoadWithCastILi2EEENSG_13StoreWithCastILi1EEEfJN3c108BFloat16EfEEEviT0_T1_T2_T3_T4_T5_,comdat
.Lfunc_end51:
	.size	_ZN2at6native39vectorized_templated_elementwise_kernelILi8ENS0_13BinaryFunctorIfffZZZNS0_12_GLOBAL__N_133hermite_polynomial_he_kernel_cudaERNS_18TensorIteratorBaseEENKUlvE_clEvENKUlvE0_clEvEUlffE_EESt5arrayIPcLm3EE23TrivialOffsetCalculatorILi2EjESD_ILi1EjENS0_6memory12LoadWithCastILi2EEENSG_13StoreWithCastILi1EEEfJN3c108BFloat16EfEEEviT0_T1_T2_T3_T4_T5_, .Lfunc_end51-_ZN2at6native39vectorized_templated_elementwise_kernelILi8ENS0_13BinaryFunctorIfffZZZNS0_12_GLOBAL__N_133hermite_polynomial_he_kernel_cudaERNS_18TensorIteratorBaseEENKUlvE_clEvENKUlvE0_clEvEUlffE_EESt5arrayIPcLm3EE23TrivialOffsetCalculatorILi2EjESD_ILi1EjENS0_6memory12LoadWithCastILi2EEENSG_13StoreWithCastILi1EEEfJN3c108BFloat16EfEEEviT0_T1_T2_T3_T4_T5_
                                        ; -- End function
	.section	.AMDGPU.csdata,"",@progbits
; Kernel info:
; codeLenInByte = 9216
; NumSgprs: 104
; NumVgprs: 120
; NumAgprs: 0
; TotalNumVgprs: 120
; ScratchSize: 288
; MemoryBound: 0
; FloatMode: 240
; IeeeMode: 1
; LDSByteSize: 0 bytes/workgroup (compile time only)
; SGPRBlocks: 12
; VGPRBlocks: 14
; NumSGPRsForWavesPerEU: 104
; NumVGPRsForWavesPerEU: 120
; AccumOffset: 120
; Occupancy: 4
; WaveLimiterHint : 0
; COMPUTE_PGM_RSRC2:SCRATCH_EN: 1
; COMPUTE_PGM_RSRC2:USER_SGPR: 8
; COMPUTE_PGM_RSRC2:TRAP_HANDLER: 0
; COMPUTE_PGM_RSRC2:TGID_X_EN: 1
; COMPUTE_PGM_RSRC2:TGID_Y_EN: 0
; COMPUTE_PGM_RSRC2:TGID_Z_EN: 0
; COMPUTE_PGM_RSRC2:TIDIG_COMP_CNT: 0
; COMPUTE_PGM_RSRC3_GFX90A:ACCUM_OFFSET: 29
; COMPUTE_PGM_RSRC3_GFX90A:TG_SPLIT: 0
	.section	.text._ZN2at6native39vectorized_templated_elementwise_kernelILi4ENS0_13BinaryFunctorIfffZZZNS0_12_GLOBAL__N_133hermite_polynomial_he_kernel_cudaERNS_18TensorIteratorBaseEENKUlvE_clEvENKUlvE0_clEvEUlffE_EESt5arrayIPcLm3EE23TrivialOffsetCalculatorILi2EjESD_ILi1EjENS0_6memory12LoadWithCastILi2EEENSG_13StoreWithCastILi1EEEfJN3c108BFloat16EfEEEviT0_T1_T2_T3_T4_T5_,"axG",@progbits,_ZN2at6native39vectorized_templated_elementwise_kernelILi4ENS0_13BinaryFunctorIfffZZZNS0_12_GLOBAL__N_133hermite_polynomial_he_kernel_cudaERNS_18TensorIteratorBaseEENKUlvE_clEvENKUlvE0_clEvEUlffE_EESt5arrayIPcLm3EE23TrivialOffsetCalculatorILi2EjESD_ILi1EjENS0_6memory12LoadWithCastILi2EEENSG_13StoreWithCastILi1EEEfJN3c108BFloat16EfEEEviT0_T1_T2_T3_T4_T5_,comdat
	.globl	_ZN2at6native39vectorized_templated_elementwise_kernelILi4ENS0_13BinaryFunctorIfffZZZNS0_12_GLOBAL__N_133hermite_polynomial_he_kernel_cudaERNS_18TensorIteratorBaseEENKUlvE_clEvENKUlvE0_clEvEUlffE_EESt5arrayIPcLm3EE23TrivialOffsetCalculatorILi2EjESD_ILi1EjENS0_6memory12LoadWithCastILi2EEENSG_13StoreWithCastILi1EEEfJN3c108BFloat16EfEEEviT0_T1_T2_T3_T4_T5_ ; -- Begin function _ZN2at6native39vectorized_templated_elementwise_kernelILi4ENS0_13BinaryFunctorIfffZZZNS0_12_GLOBAL__N_133hermite_polynomial_he_kernel_cudaERNS_18TensorIteratorBaseEENKUlvE_clEvENKUlvE0_clEvEUlffE_EESt5arrayIPcLm3EE23TrivialOffsetCalculatorILi2EjESD_ILi1EjENS0_6memory12LoadWithCastILi2EEENSG_13StoreWithCastILi1EEEfJN3c108BFloat16EfEEEviT0_T1_T2_T3_T4_T5_
	.p2align	8
	.type	_ZN2at6native39vectorized_templated_elementwise_kernelILi4ENS0_13BinaryFunctorIfffZZZNS0_12_GLOBAL__N_133hermite_polynomial_he_kernel_cudaERNS_18TensorIteratorBaseEENKUlvE_clEvENKUlvE0_clEvEUlffE_EESt5arrayIPcLm3EE23TrivialOffsetCalculatorILi2EjESD_ILi1EjENS0_6memory12LoadWithCastILi2EEENSG_13StoreWithCastILi1EEEfJN3c108BFloat16EfEEEviT0_T1_T2_T3_T4_T5_,@function
_ZN2at6native39vectorized_templated_elementwise_kernelILi4ENS0_13BinaryFunctorIfffZZZNS0_12_GLOBAL__N_133hermite_polynomial_he_kernel_cudaERNS_18TensorIteratorBaseEENKUlvE_clEvENKUlvE0_clEvEUlffE_EESt5arrayIPcLm3EE23TrivialOffsetCalculatorILi2EjESD_ILi1EjENS0_6memory12LoadWithCastILi2EEENSG_13StoreWithCastILi1EEEfJN3c108BFloat16EfEEEviT0_T1_T2_T3_T4_T5_: ; @_ZN2at6native39vectorized_templated_elementwise_kernelILi4ENS0_13BinaryFunctorIfffZZZNS0_12_GLOBAL__N_133hermite_polynomial_he_kernel_cudaERNS_18TensorIteratorBaseEENKUlvE_clEvENKUlvE0_clEvEUlffE_EESt5arrayIPcLm3EE23TrivialOffsetCalculatorILi2EjESD_ILi1EjENS0_6memory12LoadWithCastILi2EEENSG_13StoreWithCastILi1EEEfJN3c108BFloat16EfEEEviT0_T1_T2_T3_T4_T5_
; %bb.0:
	s_add_u32 flat_scratch_lo, s6, s9
	s_addc_u32 flat_scratch_hi, s7, 0
	s_add_u32 s0, s0, s9
	s_mov_b32 s12, s8
	s_load_dword s8, s[4:5], 0x38
	s_load_dwordx2 s[6:7], s[4:5], 0x18
	s_load_dword s9, s[4:5], 0x0
	s_load_dwordx4 s[16:19], s[4:5], 0x8
	s_addc_u32 s1, s1, 0
	s_not_b32 s10, s12
	s_waitcnt lgkmcnt(0)
	s_add_i32 s8, s8, s10
	s_lshl_b32 s8, s8, 14
	s_sub_i32 s13, s9, s8
	s_cmpk_gt_i32 s13, 0x3fff
	s_mov_b64 s[10:11], -1
	s_mov_b32 s32, 0
	s_cbranch_scc1 .LBB52_3
; %bb.1:
	s_and_b64 vcc, exec, s[10:11]
	s_cbranch_vccnz .LBB52_388
.LBB52_2:
	s_endpgm
.LBB52_3:
	s_ashr_i32 s9, s8, 31
	s_lshl_b64 s[10:11], s[8:9], 1
	s_add_u32 s10, s18, s10
	s_addc_u32 s11, s19, s11
	v_lshlrev_b32_e32 v1, 3, v0
	v_mov_b32_e32 v2, s11
	v_add_co_u32_e32 v6, vcc, s10, v1
	v_addc_co_u32_e32 v7, vcc, 0, v2, vcc
	v_add_co_u32_e32 v2, vcc, 0x1000, v6
	v_addc_co_u32_e32 v3, vcc, 0, v7, vcc
	v_add_co_u32_e32 v4, vcc, 0x3000, v6
	v_or_b32_e32 v8, 0x400, v0
	v_addc_co_u32_e32 v5, vcc, 0, v7, vcc
	v_lshlrev_b32_e32 v9, 3, v8
	global_load_dwordx2 v[48:49], v1, s[10:11]
	global_load_dwordx2 v[46:47], v[2:3], off
	global_load_dwordx2 v[44:45], v9, s[10:11]
	global_load_dwordx2 v[42:43], v[4:5], off
	v_add_co_u32_e32 v2, vcc, 0x5000, v6
	v_or_b32_e32 v1, 0x800, v0
	v_addc_co_u32_e32 v3, vcc, 0, v7, vcc
	v_lshlrev_b32_e32 v9, 3, v1
	v_or_b32_e32 v14, 0xc00, v0
	v_add_co_u32_e32 v4, vcc, 0x7000, v6
	s_lshl_b64 s[8:9], s[8:9], 2
	v_lshlrev_b32_e32 v10, 3, v14
	v_addc_co_u32_e32 v5, vcc, 0, v7, vcc
	global_load_dwordx2 v[40:41], v9, s[10:11]
	global_load_dwordx2 v[38:39], v[2:3], off
	global_load_dwordx2 v[36:37], v10, s[10:11]
	global_load_dwordx2 v[34:35], v[4:5], off
	s_add_u32 s10, s6, s8
	s_addc_u32 s11, s7, s9
	v_lshlrev_b32_e32 v54, 4, v0
	v_mov_b32_e32 v2, s11
	v_add_co_u32_e32 v9, vcc, s10, v54
	v_addc_co_u32_e32 v15, vcc, 0, v2, vcc
	v_add_co_u32_e32 v6, vcc, 0x2000, v9
	v_addc_co_u32_e32 v7, vcc, 0, v15, vcc
	global_load_dwordx4 v[2:5], v54, s[10:11]
	global_load_dwordx4 v[10:13], v[6:7], off
	v_add_co_u32_e32 v6, vcc, 0x6000, v9
	v_lshlrev_b32_e32 v53, 4, v8
	v_addc_co_u32_e32 v7, vcc, 0, v15, vcc
	global_load_dwordx4 v[18:21], v53, s[10:11]
	global_load_dwordx4 v[26:29], v[6:7], off
	v_add_co_u32_e32 v6, vcc, 0xa000, v9
	v_addc_co_u32_e32 v7, vcc, 0, v15, vcc
	v_lshlrev_b32_e32 v52, 4, v1
	v_lshlrev_b32_e32 v1, 4, v14
	v_add_co_u32_e32 v50, vcc, 0xe000, v9
	global_load_dwordx4 v[30:33], v52, s[10:11]
	global_load_dwordx4 v[22:25], v[6:7], off
	v_addc_co_u32_e32 v51, vcc, 0, v15, vcc
	global_load_dwordx4 v[14:17], v1, s[10:11]
	global_load_dwordx4 v[6:9], v[50:51], off
	s_mov_b32 s10, 0x2f800000
	s_mov_b32 s11, 0xcf800000
	s_waitcnt vmcnt(7)
	v_trunc_f32_e32 v2, v2
	v_mul_f32_e64 v50, |v2|, s10
	v_floor_f32_e32 v50, v50
	v_fma_f32 v51, v50, s11, |v2|
	v_cvt_u32_f32_e32 v50, v50
	v_cvt_u32_f32_e32 v51, v51
	v_ashrrev_i32_e32 v2, 31, v2
	v_xor_b32_e32 v55, v50, v2
	v_xor_b32_e32 v50, v51, v2
	v_sub_co_u32_e32 v50, vcc, v50, v2
	v_subb_co_u32_e32 v51, vcc, v55, v2, vcc
	v_cmp_lt_i64_e32 vcc, -1, v[50:51]
	v_mov_b32_e32 v2, 0
	s_and_saveexec_b64 s[10:11], vcc
	s_cbranch_execz .LBB52_15
; %bb.4:
	v_cmp_lt_i64_e32 vcc, 0, v[50:51]
	v_mov_b32_e32 v2, 1.0
	s_and_saveexec_b64 s[14:15], vcc
	s_cbranch_execz .LBB52_14
; %bb.5:
	v_lshlrev_b32_e32 v55, 16, v48
	v_cmp_ne_u64_e32 vcc, 1, v[50:51]
                                        ; implicit-def: $vgpr2
	s_and_saveexec_b64 s[20:21], vcc
	s_xor_b64 s[20:21], exec, s[20:21]
	s_cbranch_execz .LBB52_11
; %bb.6:
	s_mov_b64 s[22:23], 0x81
	v_cmp_gt_u64_e32 vcc, s[22:23], v[50:51]
	v_mov_b32_e32 v2, 0x7fc00000
	s_and_saveexec_b64 s[22:23], vcc
	s_cbranch_execz .LBB52_10
; %bb.7:
	s_mov_b64 s[26:27], 1
	s_mov_b64 s[24:25], 0
	v_mov_b32_e32 v56, 1.0
	v_mov_b32_e32 v2, v55
.LBB52_8:                               ; =>This Inner Loop Header: Depth=1
	s_flbit_i32_b32 s28, s27
	s_min_u32 s30, s28, 32
	s_lshl_b64 s[28:29], s[26:27], s30
	s_min_u32 s28, s28, 1
	s_or_b32 s28, s29, s28
	v_cvt_f32_u32_e32 v57, s28
	s_sub_i32 s30, 32, s30
	s_add_u32 s26, s26, 1
	s_addc_u32 s27, s27, 0
	v_ldexp_f32 v57, v57, s30
	v_cmp_eq_u64_e32 vcc, s[26:27], v[50:51]
	v_mul_f32_e32 v57, v56, v57
	s_or_b64 s[24:25], vcc, s[24:25]
	v_mov_b32_e32 v56, v2
	v_fma_f32 v2, v2, v55, -v57
	s_andn2_b64 exec, exec, s[24:25]
	s_cbranch_execnz .LBB52_8
; %bb.9:
	s_or_b64 exec, exec, s[24:25]
.LBB52_10:
	s_or_b64 exec, exec, s[22:23]
                                        ; implicit-def: $vgpr55
.LBB52_11:
	s_andn2_saveexec_b64 s[20:21], s[20:21]
; %bb.12:
	v_mov_b32_e32 v2, v55
; %bb.13:
	s_or_b64 exec, exec, s[20:21]
.LBB52_14:
	s_or_b64 exec, exec, s[14:15]
.LBB52_15:
	s_or_b64 exec, exec, s[10:11]
	v_trunc_f32_e32 v3, v3
	s_mov_b32 s10, 0x2f800000
	v_mul_f32_e64 v50, |v3|, s10
	v_floor_f32_e32 v50, v50
	s_mov_b32 s10, 0xcf800000
	v_cvt_u32_f32_e32 v51, v50
	v_fma_f32 v50, v50, s10, |v3|
	v_cvt_u32_f32_e32 v50, v50
	v_ashrrev_i32_e32 v3, 31, v3
	v_xor_b32_e32 v51, v51, v3
	v_xor_b32_e32 v50, v50, v3
	v_sub_co_u32_e32 v50, vcc, v50, v3
	v_subb_co_u32_e32 v51, vcc, v51, v3, vcc
	v_cmp_lt_i64_e32 vcc, -1, v[50:51]
	v_mov_b32_e32 v3, 0
	s_and_saveexec_b64 s[10:11], vcc
	s_cbranch_execz .LBB52_27
; %bb.16:
	v_cmp_lt_i64_e32 vcc, 0, v[50:51]
	v_mov_b32_e32 v3, 1.0
	s_and_saveexec_b64 s[14:15], vcc
	s_cbranch_execz .LBB52_26
; %bb.17:
	v_and_b32_e32 v48, 0xffff0000, v48
	v_cmp_ne_u64_e32 vcc, 1, v[50:51]
	s_and_saveexec_b64 s[20:21], vcc
	s_xor_b64 s[20:21], exec, s[20:21]
	s_cbranch_execz .LBB52_23
; %bb.18:
	s_mov_b64 s[22:23], 0x81
	v_cmp_gt_u64_e32 vcc, s[22:23], v[50:51]
	v_mov_b32_e32 v3, 0x7fc00000
	s_and_saveexec_b64 s[22:23], vcc
	s_cbranch_execz .LBB52_22
; %bb.19:
	s_mov_b64 s[26:27], 1
	s_mov_b64 s[24:25], 0
	v_mov_b32_e32 v55, 1.0
	v_mov_b32_e32 v3, v48
.LBB52_20:                              ; =>This Inner Loop Header: Depth=1
	s_flbit_i32_b32 s28, s27
	s_min_u32 s30, s28, 32
	s_lshl_b64 s[28:29], s[26:27], s30
	s_min_u32 s28, s28, 1
	s_or_b32 s28, s29, s28
	v_cvt_f32_u32_e32 v56, s28
	s_sub_i32 s30, 32, s30
	s_add_u32 s26, s26, 1
	s_addc_u32 s27, s27, 0
	v_ldexp_f32 v56, v56, s30
	v_cmp_eq_u64_e32 vcc, s[26:27], v[50:51]
	v_mul_f32_e32 v56, v55, v56
	s_or_b64 s[24:25], vcc, s[24:25]
	v_mov_b32_e32 v55, v3
	v_fma_f32 v3, v3, v48, -v56
	s_andn2_b64 exec, exec, s[24:25]
	s_cbranch_execnz .LBB52_20
; %bb.21:
	s_or_b64 exec, exec, s[24:25]
.LBB52_22:
	s_or_b64 exec, exec, s[22:23]
                                        ; implicit-def: $vgpr48
.LBB52_23:
	s_andn2_saveexec_b64 s[20:21], s[20:21]
; %bb.24:
	v_mov_b32_e32 v3, v48
; %bb.25:
	s_or_b64 exec, exec, s[20:21]
.LBB52_26:
	s_or_b64 exec, exec, s[14:15]
.LBB52_27:
	s_or_b64 exec, exec, s[10:11]
	v_trunc_f32_e32 v4, v4
	s_mov_b32 s10, 0x2f800000
	v_mul_f32_e64 v48, |v4|, s10
	v_floor_f32_e32 v48, v48
	s_mov_b32 s10, 0xcf800000
	v_cvt_u32_f32_e32 v50, v48
	v_fma_f32 v48, v48, s10, |v4|
	v_cvt_u32_f32_e32 v48, v48
	v_ashrrev_i32_e32 v4, 31, v4
	v_xor_b32_e32 v51, v50, v4
	v_xor_b32_e32 v48, v48, v4
	v_sub_co_u32_e32 v50, vcc, v48, v4
	v_subb_co_u32_e32 v51, vcc, v51, v4, vcc
	v_cmp_lt_i64_e32 vcc, -1, v[50:51]
	v_mov_b32_e32 v4, 0
	s_and_saveexec_b64 s[10:11], vcc
	s_cbranch_execz .LBB52_39
; %bb.28:
	v_cmp_lt_i64_e32 vcc, 0, v[50:51]
	v_mov_b32_e32 v4, 1.0
	s_and_saveexec_b64 s[14:15], vcc
	s_cbranch_execz .LBB52_38
; %bb.29:
	v_lshlrev_b32_e32 v48, 16, v49
	v_cmp_ne_u64_e32 vcc, 1, v[50:51]
	s_and_saveexec_b64 s[20:21], vcc
	s_xor_b64 s[20:21], exec, s[20:21]
	s_cbranch_execz .LBB52_35
; %bb.30:
	s_mov_b64 s[22:23], 0x81
	v_cmp_gt_u64_e32 vcc, s[22:23], v[50:51]
	v_mov_b32_e32 v4, 0x7fc00000
	s_and_saveexec_b64 s[22:23], vcc
	s_cbranch_execz .LBB52_34
; %bb.31:
	s_mov_b64 s[26:27], 1
	s_mov_b64 s[24:25], 0
	v_mov_b32_e32 v55, 1.0
	v_mov_b32_e32 v4, v48
.LBB52_32:                              ; =>This Inner Loop Header: Depth=1
	s_flbit_i32_b32 s28, s27
	s_min_u32 s30, s28, 32
	s_lshl_b64 s[28:29], s[26:27], s30
	s_min_u32 s28, s28, 1
	s_or_b32 s28, s29, s28
	v_cvt_f32_u32_e32 v56, s28
	s_sub_i32 s30, 32, s30
	s_add_u32 s26, s26, 1
	s_addc_u32 s27, s27, 0
	v_ldexp_f32 v56, v56, s30
	v_cmp_eq_u64_e32 vcc, s[26:27], v[50:51]
	v_mul_f32_e32 v56, v55, v56
	s_or_b64 s[24:25], vcc, s[24:25]
	v_mov_b32_e32 v55, v4
	v_fma_f32 v4, v4, v48, -v56
	s_andn2_b64 exec, exec, s[24:25]
	s_cbranch_execnz .LBB52_32
; %bb.33:
	s_or_b64 exec, exec, s[24:25]
.LBB52_34:
	s_or_b64 exec, exec, s[22:23]
                                        ; implicit-def: $vgpr48
.LBB52_35:
	s_andn2_saveexec_b64 s[20:21], s[20:21]
; %bb.36:
	v_mov_b32_e32 v4, v48
; %bb.37:
	s_or_b64 exec, exec, s[20:21]
.LBB52_38:
	s_or_b64 exec, exec, s[14:15]
.LBB52_39:
	s_or_b64 exec, exec, s[10:11]
	v_trunc_f32_e32 v5, v5
	s_mov_b32 s10, 0x2f800000
	v_mul_f32_e64 v48, |v5|, s10
	v_floor_f32_e32 v48, v48
	s_mov_b32 s10, 0xcf800000
	v_cvt_u32_f32_e32 v50, v48
	v_fma_f32 v48, v48, s10, |v5|
	v_cvt_u32_f32_e32 v48, v48
	v_ashrrev_i32_e32 v5, 31, v5
	v_xor_b32_e32 v51, v50, v5
	v_xor_b32_e32 v48, v48, v5
	v_sub_co_u32_e32 v50, vcc, v48, v5
	v_subb_co_u32_e32 v51, vcc, v51, v5, vcc
	v_cmp_lt_i64_e32 vcc, -1, v[50:51]
	v_mov_b32_e32 v5, 0
	s_and_saveexec_b64 s[10:11], vcc
	s_cbranch_execz .LBB52_51
; %bb.40:
	v_cmp_lt_i64_e32 vcc, 0, v[50:51]
	v_mov_b32_e32 v5, 1.0
	s_and_saveexec_b64 s[14:15], vcc
	s_cbranch_execz .LBB52_50
; %bb.41:
	v_and_b32_e32 v48, 0xffff0000, v49
	v_cmp_ne_u64_e32 vcc, 1, v[50:51]
	s_and_saveexec_b64 s[20:21], vcc
	s_xor_b64 s[20:21], exec, s[20:21]
	s_cbranch_execz .LBB52_47
; %bb.42:
	s_mov_b64 s[22:23], 0x81
	v_cmp_gt_u64_e32 vcc, s[22:23], v[50:51]
	v_mov_b32_e32 v5, 0x7fc00000
	s_and_saveexec_b64 s[22:23], vcc
	s_cbranch_execz .LBB52_46
; %bb.43:
	s_mov_b64 s[26:27], 1
	s_mov_b64 s[24:25], 0
	v_mov_b32_e32 v49, 1.0
	v_mov_b32_e32 v5, v48
.LBB52_44:                              ; =>This Inner Loop Header: Depth=1
	s_flbit_i32_b32 s28, s27
	s_min_u32 s30, s28, 32
	s_lshl_b64 s[28:29], s[26:27], s30
	s_min_u32 s28, s28, 1
	s_or_b32 s28, s29, s28
	v_cvt_f32_u32_e32 v55, s28
	s_sub_i32 s30, 32, s30
	s_add_u32 s26, s26, 1
	s_addc_u32 s27, s27, 0
	v_ldexp_f32 v55, v55, s30
	v_cmp_eq_u64_e32 vcc, s[26:27], v[50:51]
	v_mul_f32_e32 v55, v49, v55
	s_or_b64 s[24:25], vcc, s[24:25]
	v_mov_b32_e32 v49, v5
	v_fma_f32 v5, v5, v48, -v55
	s_andn2_b64 exec, exec, s[24:25]
	s_cbranch_execnz .LBB52_44
; %bb.45:
	s_or_b64 exec, exec, s[24:25]
.LBB52_46:
	s_or_b64 exec, exec, s[22:23]
                                        ; implicit-def: $vgpr48
.LBB52_47:
	s_andn2_saveexec_b64 s[20:21], s[20:21]
; %bb.48:
	v_mov_b32_e32 v5, v48
; %bb.49:
	s_or_b64 exec, exec, s[20:21]
.LBB52_50:
	s_or_b64 exec, exec, s[14:15]
.LBB52_51:
	s_or_b64 exec, exec, s[10:11]
	s_waitcnt vmcnt(6)
	v_trunc_f32_e32 v10, v10
	s_mov_b32 s10, 0x2f800000
	v_mul_f32_e64 v48, |v10|, s10
	v_floor_f32_e32 v48, v48
	s_mov_b32 s10, 0xcf800000
	v_cvt_u32_f32_e32 v49, v48
	v_fma_f32 v48, v48, s10, |v10|
	v_cvt_u32_f32_e32 v48, v48
	v_ashrrev_i32_e32 v10, 31, v10
	v_xor_b32_e32 v49, v49, v10
	v_xor_b32_e32 v48, v48, v10
	v_sub_co_u32_e32 v48, vcc, v48, v10
	v_subb_co_u32_e32 v49, vcc, v49, v10, vcc
	v_cmp_lt_i64_e32 vcc, -1, v[48:49]
	v_mov_b32_e32 v10, 0
	s_and_saveexec_b64 s[10:11], vcc
	s_cbranch_execz .LBB52_63
; %bb.52:
	v_cmp_lt_i64_e32 vcc, 0, v[48:49]
	v_mov_b32_e32 v10, 1.0
	s_and_saveexec_b64 s[14:15], vcc
	s_cbranch_execz .LBB52_62
; %bb.53:
	v_lshlrev_b32_e32 v50, 16, v46
	v_cmp_ne_u64_e32 vcc, 1, v[48:49]
                                        ; implicit-def: $vgpr10
	s_and_saveexec_b64 s[20:21], vcc
	s_xor_b64 s[20:21], exec, s[20:21]
	s_cbranch_execz .LBB52_59
; %bb.54:
	s_mov_b64 s[22:23], 0x81
	v_cmp_gt_u64_e32 vcc, s[22:23], v[48:49]
	v_mov_b32_e32 v10, 0x7fc00000
	s_and_saveexec_b64 s[22:23], vcc
	s_cbranch_execz .LBB52_58
; %bb.55:
	s_mov_b64 s[26:27], 1
	s_mov_b64 s[24:25], 0
	v_mov_b32_e32 v51, 1.0
	v_mov_b32_e32 v10, v50
.LBB52_56:                              ; =>This Inner Loop Header: Depth=1
	s_flbit_i32_b32 s28, s27
	s_min_u32 s30, s28, 32
	s_lshl_b64 s[28:29], s[26:27], s30
	s_min_u32 s28, s28, 1
	s_or_b32 s28, s29, s28
	v_cvt_f32_u32_e32 v55, s28
	s_sub_i32 s30, 32, s30
	s_add_u32 s26, s26, 1
	s_addc_u32 s27, s27, 0
	v_ldexp_f32 v55, v55, s30
	v_cmp_eq_u64_e32 vcc, s[26:27], v[48:49]
	v_mul_f32_e32 v55, v51, v55
	s_or_b64 s[24:25], vcc, s[24:25]
	v_mov_b32_e32 v51, v10
	v_fma_f32 v10, v10, v50, -v55
	s_andn2_b64 exec, exec, s[24:25]
	s_cbranch_execnz .LBB52_56
; %bb.57:
	s_or_b64 exec, exec, s[24:25]
.LBB52_58:
	s_or_b64 exec, exec, s[22:23]
                                        ; implicit-def: $vgpr50
.LBB52_59:
	s_andn2_saveexec_b64 s[20:21], s[20:21]
; %bb.60:
	v_mov_b32_e32 v10, v50
; %bb.61:
	s_or_b64 exec, exec, s[20:21]
.LBB52_62:
	s_or_b64 exec, exec, s[14:15]
.LBB52_63:
	s_or_b64 exec, exec, s[10:11]
	v_trunc_f32_e32 v11, v11
	s_mov_b32 s10, 0x2f800000
	v_mul_f32_e64 v48, |v11|, s10
	v_floor_f32_e32 v48, v48
	s_mov_b32 s10, 0xcf800000
	v_cvt_u32_f32_e32 v49, v48
	v_fma_f32 v48, v48, s10, |v11|
	v_cvt_u32_f32_e32 v48, v48
	v_ashrrev_i32_e32 v11, 31, v11
	v_xor_b32_e32 v49, v49, v11
	v_xor_b32_e32 v48, v48, v11
	v_sub_co_u32_e32 v48, vcc, v48, v11
	v_subb_co_u32_e32 v49, vcc, v49, v11, vcc
	v_cmp_lt_i64_e32 vcc, -1, v[48:49]
	v_mov_b32_e32 v11, 0
	s_and_saveexec_b64 s[10:11], vcc
	s_cbranch_execz .LBB52_75
; %bb.64:
	v_cmp_lt_i64_e32 vcc, 0, v[48:49]
	v_mov_b32_e32 v11, 1.0
	s_and_saveexec_b64 s[14:15], vcc
	s_cbranch_execz .LBB52_74
; %bb.65:
	v_and_b32_e32 v46, 0xffff0000, v46
	v_cmp_ne_u64_e32 vcc, 1, v[48:49]
	s_and_saveexec_b64 s[20:21], vcc
	s_xor_b64 s[20:21], exec, s[20:21]
	s_cbranch_execz .LBB52_71
; %bb.66:
	s_mov_b64 s[22:23], 0x81
	v_cmp_gt_u64_e32 vcc, s[22:23], v[48:49]
	v_mov_b32_e32 v11, 0x7fc00000
	s_and_saveexec_b64 s[22:23], vcc
	s_cbranch_execz .LBB52_70
; %bb.67:
	s_mov_b64 s[26:27], 1
	s_mov_b64 s[24:25], 0
	v_mov_b32_e32 v50, 1.0
	v_mov_b32_e32 v11, v46
.LBB52_68:                              ; =>This Inner Loop Header: Depth=1
	s_flbit_i32_b32 s28, s27
	s_min_u32 s30, s28, 32
	s_lshl_b64 s[28:29], s[26:27], s30
	s_min_u32 s28, s28, 1
	s_or_b32 s28, s29, s28
	v_cvt_f32_u32_e32 v51, s28
	s_sub_i32 s30, 32, s30
	s_add_u32 s26, s26, 1
	s_addc_u32 s27, s27, 0
	v_ldexp_f32 v51, v51, s30
	v_cmp_eq_u64_e32 vcc, s[26:27], v[48:49]
	v_mul_f32_e32 v51, v50, v51
	s_or_b64 s[24:25], vcc, s[24:25]
	v_mov_b32_e32 v50, v11
	v_fma_f32 v11, v11, v46, -v51
	s_andn2_b64 exec, exec, s[24:25]
	s_cbranch_execnz .LBB52_68
; %bb.69:
	s_or_b64 exec, exec, s[24:25]
.LBB52_70:
	s_or_b64 exec, exec, s[22:23]
                                        ; implicit-def: $vgpr46
.LBB52_71:
	s_andn2_saveexec_b64 s[20:21], s[20:21]
; %bb.72:
	v_mov_b32_e32 v11, v46
; %bb.73:
	s_or_b64 exec, exec, s[20:21]
.LBB52_74:
	s_or_b64 exec, exec, s[14:15]
.LBB52_75:
	s_or_b64 exec, exec, s[10:11]
	v_trunc_f32_e32 v12, v12
	s_mov_b32 s10, 0x2f800000
	v_mul_f32_e64 v46, |v12|, s10
	v_floor_f32_e32 v46, v46
	s_mov_b32 s10, 0xcf800000
	v_cvt_u32_f32_e32 v48, v46
	v_fma_f32 v46, v46, s10, |v12|
	v_cvt_u32_f32_e32 v46, v46
	v_ashrrev_i32_e32 v12, 31, v12
	v_xor_b32_e32 v49, v48, v12
	v_xor_b32_e32 v46, v46, v12
	v_sub_co_u32_e32 v48, vcc, v46, v12
	v_subb_co_u32_e32 v49, vcc, v49, v12, vcc
	v_cmp_lt_i64_e32 vcc, -1, v[48:49]
	v_mov_b32_e32 v12, 0
	s_and_saveexec_b64 s[10:11], vcc
	s_cbranch_execz .LBB52_87
; %bb.76:
	v_cmp_lt_i64_e32 vcc, 0, v[48:49]
	v_mov_b32_e32 v12, 1.0
	s_and_saveexec_b64 s[14:15], vcc
	s_cbranch_execz .LBB52_86
; %bb.77:
	v_lshlrev_b32_e32 v46, 16, v47
	v_cmp_ne_u64_e32 vcc, 1, v[48:49]
	s_and_saveexec_b64 s[20:21], vcc
	s_xor_b64 s[20:21], exec, s[20:21]
	s_cbranch_execz .LBB52_83
; %bb.78:
	s_mov_b64 s[22:23], 0x81
	v_cmp_gt_u64_e32 vcc, s[22:23], v[48:49]
	v_mov_b32_e32 v12, 0x7fc00000
	s_and_saveexec_b64 s[22:23], vcc
	s_cbranch_execz .LBB52_82
; %bb.79:
	s_mov_b64 s[26:27], 1
	s_mov_b64 s[24:25], 0
	v_mov_b32_e32 v50, 1.0
	v_mov_b32_e32 v12, v46
.LBB52_80:                              ; =>This Inner Loop Header: Depth=1
	s_flbit_i32_b32 s28, s27
	s_min_u32 s30, s28, 32
	s_lshl_b64 s[28:29], s[26:27], s30
	s_min_u32 s28, s28, 1
	s_or_b32 s28, s29, s28
	v_cvt_f32_u32_e32 v51, s28
	s_sub_i32 s30, 32, s30
	s_add_u32 s26, s26, 1
	s_addc_u32 s27, s27, 0
	v_ldexp_f32 v51, v51, s30
	v_cmp_eq_u64_e32 vcc, s[26:27], v[48:49]
	v_mul_f32_e32 v51, v50, v51
	s_or_b64 s[24:25], vcc, s[24:25]
	v_mov_b32_e32 v50, v12
	v_fma_f32 v12, v12, v46, -v51
	s_andn2_b64 exec, exec, s[24:25]
	s_cbranch_execnz .LBB52_80
; %bb.81:
	s_or_b64 exec, exec, s[24:25]
.LBB52_82:
	s_or_b64 exec, exec, s[22:23]
                                        ; implicit-def: $vgpr46
.LBB52_83:
	s_andn2_saveexec_b64 s[20:21], s[20:21]
; %bb.84:
	v_mov_b32_e32 v12, v46
; %bb.85:
	s_or_b64 exec, exec, s[20:21]
.LBB52_86:
	s_or_b64 exec, exec, s[14:15]
.LBB52_87:
	s_or_b64 exec, exec, s[10:11]
	v_trunc_f32_e32 v13, v13
	s_mov_b32 s10, 0x2f800000
	v_mul_f32_e64 v46, |v13|, s10
	v_floor_f32_e32 v46, v46
	s_mov_b32 s10, 0xcf800000
	v_cvt_u32_f32_e32 v48, v46
	v_fma_f32 v46, v46, s10, |v13|
	v_cvt_u32_f32_e32 v46, v46
	v_ashrrev_i32_e32 v13, 31, v13
	v_xor_b32_e32 v49, v48, v13
	v_xor_b32_e32 v46, v46, v13
	v_sub_co_u32_e32 v48, vcc, v46, v13
	v_subb_co_u32_e32 v49, vcc, v49, v13, vcc
	v_cmp_lt_i64_e32 vcc, -1, v[48:49]
	v_mov_b32_e32 v13, 0
	s_and_saveexec_b64 s[10:11], vcc
	s_cbranch_execz .LBB52_99
; %bb.88:
	v_cmp_lt_i64_e32 vcc, 0, v[48:49]
	v_mov_b32_e32 v13, 1.0
	s_and_saveexec_b64 s[14:15], vcc
	s_cbranch_execz .LBB52_98
; %bb.89:
	v_and_b32_e32 v46, 0xffff0000, v47
	v_cmp_ne_u64_e32 vcc, 1, v[48:49]
	s_and_saveexec_b64 s[20:21], vcc
	s_xor_b64 s[20:21], exec, s[20:21]
	s_cbranch_execz .LBB52_95
; %bb.90:
	s_mov_b64 s[22:23], 0x81
	v_cmp_gt_u64_e32 vcc, s[22:23], v[48:49]
	v_mov_b32_e32 v13, 0x7fc00000
	s_and_saveexec_b64 s[22:23], vcc
	s_cbranch_execz .LBB52_94
; %bb.91:
	s_mov_b64 s[26:27], 1
	s_mov_b64 s[24:25], 0
	v_mov_b32_e32 v47, 1.0
	v_mov_b32_e32 v13, v46
.LBB52_92:                              ; =>This Inner Loop Header: Depth=1
	s_flbit_i32_b32 s28, s27
	s_min_u32 s30, s28, 32
	s_lshl_b64 s[28:29], s[26:27], s30
	s_min_u32 s28, s28, 1
	s_or_b32 s28, s29, s28
	v_cvt_f32_u32_e32 v50, s28
	s_sub_i32 s30, 32, s30
	s_add_u32 s26, s26, 1
	s_addc_u32 s27, s27, 0
	v_ldexp_f32 v50, v50, s30
	v_cmp_eq_u64_e32 vcc, s[26:27], v[48:49]
	v_mul_f32_e32 v50, v47, v50
	s_or_b64 s[24:25], vcc, s[24:25]
	v_mov_b32_e32 v47, v13
	v_fma_f32 v13, v13, v46, -v50
	s_andn2_b64 exec, exec, s[24:25]
	s_cbranch_execnz .LBB52_92
; %bb.93:
	s_or_b64 exec, exec, s[24:25]
.LBB52_94:
	s_or_b64 exec, exec, s[22:23]
                                        ; implicit-def: $vgpr46
.LBB52_95:
	s_andn2_saveexec_b64 s[20:21], s[20:21]
; %bb.96:
	v_mov_b32_e32 v13, v46
; %bb.97:
	s_or_b64 exec, exec, s[20:21]
.LBB52_98:
	s_or_b64 exec, exec, s[14:15]
.LBB52_99:
	s_or_b64 exec, exec, s[10:11]
	s_waitcnt vmcnt(5)
	v_trunc_f32_e32 v18, v18
	s_mov_b32 s10, 0x2f800000
	v_mul_f32_e64 v46, |v18|, s10
	v_floor_f32_e32 v46, v46
	s_mov_b32 s10, 0xcf800000
	v_cvt_u32_f32_e32 v47, v46
	v_fma_f32 v46, v46, s10, |v18|
	v_cvt_u32_f32_e32 v46, v46
	v_ashrrev_i32_e32 v18, 31, v18
	v_xor_b32_e32 v47, v47, v18
	v_xor_b32_e32 v46, v46, v18
	v_sub_co_u32_e32 v46, vcc, v46, v18
	v_subb_co_u32_e32 v47, vcc, v47, v18, vcc
	v_cmp_lt_i64_e32 vcc, -1, v[46:47]
	v_mov_b32_e32 v18, 0
	s_and_saveexec_b64 s[10:11], vcc
	s_cbranch_execz .LBB52_111
; %bb.100:
	v_cmp_lt_i64_e32 vcc, 0, v[46:47]
	v_mov_b32_e32 v18, 1.0
	s_and_saveexec_b64 s[14:15], vcc
	s_cbranch_execz .LBB52_110
; %bb.101:
	v_lshlrev_b32_e32 v48, 16, v44
	v_cmp_ne_u64_e32 vcc, 1, v[46:47]
                                        ; implicit-def: $vgpr18
	s_and_saveexec_b64 s[20:21], vcc
	s_xor_b64 s[20:21], exec, s[20:21]
	s_cbranch_execz .LBB52_107
; %bb.102:
	s_mov_b64 s[22:23], 0x81
	v_cmp_gt_u64_e32 vcc, s[22:23], v[46:47]
	v_mov_b32_e32 v18, 0x7fc00000
	s_and_saveexec_b64 s[22:23], vcc
	s_cbranch_execz .LBB52_106
; %bb.103:
	s_mov_b64 s[26:27], 1
	s_mov_b64 s[24:25], 0
	v_mov_b32_e32 v49, 1.0
	v_mov_b32_e32 v18, v48
.LBB52_104:                             ; =>This Inner Loop Header: Depth=1
	s_flbit_i32_b32 s28, s27
	s_min_u32 s30, s28, 32
	s_lshl_b64 s[28:29], s[26:27], s30
	s_min_u32 s28, s28, 1
	s_or_b32 s28, s29, s28
	v_cvt_f32_u32_e32 v50, s28
	s_sub_i32 s30, 32, s30
	s_add_u32 s26, s26, 1
	s_addc_u32 s27, s27, 0
	v_ldexp_f32 v50, v50, s30
	v_cmp_eq_u64_e32 vcc, s[26:27], v[46:47]
	v_mul_f32_e32 v50, v49, v50
	s_or_b64 s[24:25], vcc, s[24:25]
	v_mov_b32_e32 v49, v18
	v_fma_f32 v18, v18, v48, -v50
	s_andn2_b64 exec, exec, s[24:25]
	s_cbranch_execnz .LBB52_104
; %bb.105:
	s_or_b64 exec, exec, s[24:25]
.LBB52_106:
	s_or_b64 exec, exec, s[22:23]
                                        ; implicit-def: $vgpr48
.LBB52_107:
	s_andn2_saveexec_b64 s[20:21], s[20:21]
; %bb.108:
	v_mov_b32_e32 v18, v48
; %bb.109:
	s_or_b64 exec, exec, s[20:21]
.LBB52_110:
	s_or_b64 exec, exec, s[14:15]
.LBB52_111:
	s_or_b64 exec, exec, s[10:11]
	v_trunc_f32_e32 v19, v19
	s_mov_b32 s10, 0x2f800000
	v_mul_f32_e64 v46, |v19|, s10
	v_floor_f32_e32 v46, v46
	s_mov_b32 s10, 0xcf800000
	v_cvt_u32_f32_e32 v47, v46
	v_fma_f32 v46, v46, s10, |v19|
	v_cvt_u32_f32_e32 v46, v46
	v_ashrrev_i32_e32 v19, 31, v19
	v_xor_b32_e32 v47, v47, v19
	v_xor_b32_e32 v46, v46, v19
	v_sub_co_u32_e32 v46, vcc, v46, v19
	v_subb_co_u32_e32 v47, vcc, v47, v19, vcc
	v_cmp_lt_i64_e32 vcc, -1, v[46:47]
	v_mov_b32_e32 v19, 0
	s_and_saveexec_b64 s[10:11], vcc
	s_cbranch_execz .LBB52_123
; %bb.112:
	v_cmp_lt_i64_e32 vcc, 0, v[46:47]
	v_mov_b32_e32 v19, 1.0
	s_and_saveexec_b64 s[14:15], vcc
	s_cbranch_execz .LBB52_122
; %bb.113:
	v_and_b32_e32 v44, 0xffff0000, v44
	v_cmp_ne_u64_e32 vcc, 1, v[46:47]
	s_and_saveexec_b64 s[20:21], vcc
	s_xor_b64 s[20:21], exec, s[20:21]
	s_cbranch_execz .LBB52_119
; %bb.114:
	s_mov_b64 s[22:23], 0x81
	v_cmp_gt_u64_e32 vcc, s[22:23], v[46:47]
	v_mov_b32_e32 v19, 0x7fc00000
	s_and_saveexec_b64 s[22:23], vcc
	s_cbranch_execz .LBB52_118
; %bb.115:
	s_mov_b64 s[26:27], 1
	s_mov_b64 s[24:25], 0
	v_mov_b32_e32 v48, 1.0
	v_mov_b32_e32 v19, v44
.LBB52_116:                             ; =>This Inner Loop Header: Depth=1
	s_flbit_i32_b32 s28, s27
	s_min_u32 s30, s28, 32
	s_lshl_b64 s[28:29], s[26:27], s30
	s_min_u32 s28, s28, 1
	s_or_b32 s28, s29, s28
	v_cvt_f32_u32_e32 v49, s28
	s_sub_i32 s30, 32, s30
	s_add_u32 s26, s26, 1
	s_addc_u32 s27, s27, 0
	v_ldexp_f32 v49, v49, s30
	v_cmp_eq_u64_e32 vcc, s[26:27], v[46:47]
	v_mul_f32_e32 v49, v48, v49
	s_or_b64 s[24:25], vcc, s[24:25]
	v_mov_b32_e32 v48, v19
	v_fma_f32 v19, v19, v44, -v49
	s_andn2_b64 exec, exec, s[24:25]
	s_cbranch_execnz .LBB52_116
; %bb.117:
	s_or_b64 exec, exec, s[24:25]
.LBB52_118:
	s_or_b64 exec, exec, s[22:23]
                                        ; implicit-def: $vgpr44
.LBB52_119:
	s_andn2_saveexec_b64 s[20:21], s[20:21]
; %bb.120:
	v_mov_b32_e32 v19, v44
; %bb.121:
	s_or_b64 exec, exec, s[20:21]
.LBB52_122:
	s_or_b64 exec, exec, s[14:15]
.LBB52_123:
	s_or_b64 exec, exec, s[10:11]
	v_trunc_f32_e32 v20, v20
	s_mov_b32 s10, 0x2f800000
	v_mul_f32_e64 v44, |v20|, s10
	v_floor_f32_e32 v44, v44
	s_mov_b32 s10, 0xcf800000
	v_cvt_u32_f32_e32 v46, v44
	v_fma_f32 v44, v44, s10, |v20|
	v_cvt_u32_f32_e32 v44, v44
	v_ashrrev_i32_e32 v20, 31, v20
	v_xor_b32_e32 v47, v46, v20
	v_xor_b32_e32 v44, v44, v20
	v_sub_co_u32_e32 v46, vcc, v44, v20
	v_subb_co_u32_e32 v47, vcc, v47, v20, vcc
	v_cmp_lt_i64_e32 vcc, -1, v[46:47]
	v_mov_b32_e32 v20, 0
	s_and_saveexec_b64 s[10:11], vcc
	s_cbranch_execz .LBB52_135
; %bb.124:
	v_cmp_lt_i64_e32 vcc, 0, v[46:47]
	v_mov_b32_e32 v20, 1.0
	s_and_saveexec_b64 s[14:15], vcc
	s_cbranch_execz .LBB52_134
; %bb.125:
	v_lshlrev_b32_e32 v44, 16, v45
	v_cmp_ne_u64_e32 vcc, 1, v[46:47]
	s_and_saveexec_b64 s[20:21], vcc
	s_xor_b64 s[20:21], exec, s[20:21]
	s_cbranch_execz .LBB52_131
; %bb.126:
	s_mov_b64 s[22:23], 0x81
	v_cmp_gt_u64_e32 vcc, s[22:23], v[46:47]
	v_mov_b32_e32 v20, 0x7fc00000
	s_and_saveexec_b64 s[22:23], vcc
	s_cbranch_execz .LBB52_130
; %bb.127:
	s_mov_b64 s[26:27], 1
	s_mov_b64 s[24:25], 0
	v_mov_b32_e32 v48, 1.0
	v_mov_b32_e32 v20, v44
.LBB52_128:                             ; =>This Inner Loop Header: Depth=1
	s_flbit_i32_b32 s28, s27
	s_min_u32 s30, s28, 32
	s_lshl_b64 s[28:29], s[26:27], s30
	s_min_u32 s28, s28, 1
	s_or_b32 s28, s29, s28
	v_cvt_f32_u32_e32 v49, s28
	s_sub_i32 s30, 32, s30
	s_add_u32 s26, s26, 1
	s_addc_u32 s27, s27, 0
	v_ldexp_f32 v49, v49, s30
	v_cmp_eq_u64_e32 vcc, s[26:27], v[46:47]
	v_mul_f32_e32 v49, v48, v49
	s_or_b64 s[24:25], vcc, s[24:25]
	v_mov_b32_e32 v48, v20
	v_fma_f32 v20, v20, v44, -v49
	s_andn2_b64 exec, exec, s[24:25]
	s_cbranch_execnz .LBB52_128
; %bb.129:
	s_or_b64 exec, exec, s[24:25]
.LBB52_130:
	s_or_b64 exec, exec, s[22:23]
                                        ; implicit-def: $vgpr44
.LBB52_131:
	s_andn2_saveexec_b64 s[20:21], s[20:21]
; %bb.132:
	v_mov_b32_e32 v20, v44
; %bb.133:
	s_or_b64 exec, exec, s[20:21]
.LBB52_134:
	s_or_b64 exec, exec, s[14:15]
.LBB52_135:
	s_or_b64 exec, exec, s[10:11]
	v_trunc_f32_e32 v21, v21
	s_mov_b32 s10, 0x2f800000
	v_mul_f32_e64 v44, |v21|, s10
	v_floor_f32_e32 v44, v44
	s_mov_b32 s10, 0xcf800000
	v_cvt_u32_f32_e32 v46, v44
	v_fma_f32 v44, v44, s10, |v21|
	v_cvt_u32_f32_e32 v44, v44
	v_ashrrev_i32_e32 v21, 31, v21
	v_xor_b32_e32 v47, v46, v21
	v_xor_b32_e32 v44, v44, v21
	v_sub_co_u32_e32 v46, vcc, v44, v21
	v_subb_co_u32_e32 v47, vcc, v47, v21, vcc
	v_cmp_lt_i64_e32 vcc, -1, v[46:47]
	v_mov_b32_e32 v21, 0
	s_and_saveexec_b64 s[10:11], vcc
	s_cbranch_execz .LBB52_147
; %bb.136:
	v_cmp_lt_i64_e32 vcc, 0, v[46:47]
	v_mov_b32_e32 v21, 1.0
	s_and_saveexec_b64 s[14:15], vcc
	s_cbranch_execz .LBB52_146
; %bb.137:
	v_and_b32_e32 v44, 0xffff0000, v45
	v_cmp_ne_u64_e32 vcc, 1, v[46:47]
	s_and_saveexec_b64 s[20:21], vcc
	s_xor_b64 s[20:21], exec, s[20:21]
	s_cbranch_execz .LBB52_143
; %bb.138:
	s_mov_b64 s[22:23], 0x81
	v_cmp_gt_u64_e32 vcc, s[22:23], v[46:47]
	v_mov_b32_e32 v21, 0x7fc00000
	s_and_saveexec_b64 s[22:23], vcc
	s_cbranch_execz .LBB52_142
; %bb.139:
	s_mov_b64 s[26:27], 1
	s_mov_b64 s[24:25], 0
	v_mov_b32_e32 v45, 1.0
	v_mov_b32_e32 v21, v44
.LBB52_140:                             ; =>This Inner Loop Header: Depth=1
	s_flbit_i32_b32 s28, s27
	s_min_u32 s30, s28, 32
	s_lshl_b64 s[28:29], s[26:27], s30
	s_min_u32 s28, s28, 1
	s_or_b32 s28, s29, s28
	v_cvt_f32_u32_e32 v48, s28
	s_sub_i32 s30, 32, s30
	s_add_u32 s26, s26, 1
	s_addc_u32 s27, s27, 0
	v_ldexp_f32 v48, v48, s30
	v_cmp_eq_u64_e32 vcc, s[26:27], v[46:47]
	v_mul_f32_e32 v48, v45, v48
	s_or_b64 s[24:25], vcc, s[24:25]
	v_mov_b32_e32 v45, v21
	v_fma_f32 v21, v21, v44, -v48
	s_andn2_b64 exec, exec, s[24:25]
	s_cbranch_execnz .LBB52_140
; %bb.141:
	s_or_b64 exec, exec, s[24:25]
.LBB52_142:
	s_or_b64 exec, exec, s[22:23]
                                        ; implicit-def: $vgpr44
.LBB52_143:
	s_andn2_saveexec_b64 s[20:21], s[20:21]
; %bb.144:
	v_mov_b32_e32 v21, v44
; %bb.145:
	s_or_b64 exec, exec, s[20:21]
.LBB52_146:
	s_or_b64 exec, exec, s[14:15]
.LBB52_147:
	s_or_b64 exec, exec, s[10:11]
	s_waitcnt vmcnt(4)
	v_trunc_f32_e32 v26, v26
	s_mov_b32 s10, 0x2f800000
	v_mul_f32_e64 v44, |v26|, s10
	v_floor_f32_e32 v44, v44
	s_mov_b32 s10, 0xcf800000
	v_cvt_u32_f32_e32 v45, v44
	v_fma_f32 v44, v44, s10, |v26|
	v_cvt_u32_f32_e32 v44, v44
	v_ashrrev_i32_e32 v26, 31, v26
	v_xor_b32_e32 v45, v45, v26
	v_xor_b32_e32 v44, v44, v26
	v_sub_co_u32_e32 v44, vcc, v44, v26
	v_subb_co_u32_e32 v45, vcc, v45, v26, vcc
	v_cmp_lt_i64_e32 vcc, -1, v[44:45]
	v_mov_b32_e32 v26, 0
	s_and_saveexec_b64 s[10:11], vcc
	s_cbranch_execz .LBB52_159
; %bb.148:
	v_cmp_lt_i64_e32 vcc, 0, v[44:45]
	v_mov_b32_e32 v26, 1.0
	s_and_saveexec_b64 s[14:15], vcc
	s_cbranch_execz .LBB52_158
; %bb.149:
	v_lshlrev_b32_e32 v46, 16, v42
	v_cmp_ne_u64_e32 vcc, 1, v[44:45]
                                        ; implicit-def: $vgpr26
	s_and_saveexec_b64 s[20:21], vcc
	s_xor_b64 s[20:21], exec, s[20:21]
	s_cbranch_execz .LBB52_155
; %bb.150:
	s_mov_b64 s[22:23], 0x81
	v_cmp_gt_u64_e32 vcc, s[22:23], v[44:45]
	v_mov_b32_e32 v26, 0x7fc00000
	s_and_saveexec_b64 s[22:23], vcc
	s_cbranch_execz .LBB52_154
; %bb.151:
	s_mov_b64 s[26:27], 1
	s_mov_b64 s[24:25], 0
	v_mov_b32_e32 v47, 1.0
	v_mov_b32_e32 v26, v46
.LBB52_152:                             ; =>This Inner Loop Header: Depth=1
	s_flbit_i32_b32 s28, s27
	s_min_u32 s30, s28, 32
	s_lshl_b64 s[28:29], s[26:27], s30
	s_min_u32 s28, s28, 1
	s_or_b32 s28, s29, s28
	v_cvt_f32_u32_e32 v48, s28
	s_sub_i32 s30, 32, s30
	s_add_u32 s26, s26, 1
	s_addc_u32 s27, s27, 0
	v_ldexp_f32 v48, v48, s30
	v_cmp_eq_u64_e32 vcc, s[26:27], v[44:45]
	v_mul_f32_e32 v48, v47, v48
	s_or_b64 s[24:25], vcc, s[24:25]
	v_mov_b32_e32 v47, v26
	v_fma_f32 v26, v26, v46, -v48
	s_andn2_b64 exec, exec, s[24:25]
	s_cbranch_execnz .LBB52_152
; %bb.153:
	s_or_b64 exec, exec, s[24:25]
.LBB52_154:
	s_or_b64 exec, exec, s[22:23]
                                        ; implicit-def: $vgpr46
.LBB52_155:
	s_andn2_saveexec_b64 s[20:21], s[20:21]
; %bb.156:
	v_mov_b32_e32 v26, v46
; %bb.157:
	s_or_b64 exec, exec, s[20:21]
.LBB52_158:
	s_or_b64 exec, exec, s[14:15]
.LBB52_159:
	s_or_b64 exec, exec, s[10:11]
	v_trunc_f32_e32 v27, v27
	s_mov_b32 s10, 0x2f800000
	v_mul_f32_e64 v44, |v27|, s10
	v_floor_f32_e32 v44, v44
	s_mov_b32 s10, 0xcf800000
	v_cvt_u32_f32_e32 v45, v44
	v_fma_f32 v44, v44, s10, |v27|
	v_cvt_u32_f32_e32 v44, v44
	v_ashrrev_i32_e32 v27, 31, v27
	v_xor_b32_e32 v45, v45, v27
	v_xor_b32_e32 v44, v44, v27
	v_sub_co_u32_e32 v44, vcc, v44, v27
	v_subb_co_u32_e32 v45, vcc, v45, v27, vcc
	v_cmp_lt_i64_e32 vcc, -1, v[44:45]
	v_mov_b32_e32 v27, 0
	s_and_saveexec_b64 s[10:11], vcc
	s_cbranch_execz .LBB52_171
; %bb.160:
	v_cmp_lt_i64_e32 vcc, 0, v[44:45]
	v_mov_b32_e32 v27, 1.0
	s_and_saveexec_b64 s[14:15], vcc
	s_cbranch_execz .LBB52_170
; %bb.161:
	v_and_b32_e32 v42, 0xffff0000, v42
	v_cmp_ne_u64_e32 vcc, 1, v[44:45]
	s_and_saveexec_b64 s[20:21], vcc
	s_xor_b64 s[20:21], exec, s[20:21]
	s_cbranch_execz .LBB52_167
; %bb.162:
	s_mov_b64 s[22:23], 0x81
	v_cmp_gt_u64_e32 vcc, s[22:23], v[44:45]
	v_mov_b32_e32 v27, 0x7fc00000
	s_and_saveexec_b64 s[22:23], vcc
	s_cbranch_execz .LBB52_166
; %bb.163:
	s_mov_b64 s[26:27], 1
	s_mov_b64 s[24:25], 0
	v_mov_b32_e32 v46, 1.0
	v_mov_b32_e32 v27, v42
.LBB52_164:                             ; =>This Inner Loop Header: Depth=1
	s_flbit_i32_b32 s28, s27
	s_min_u32 s30, s28, 32
	s_lshl_b64 s[28:29], s[26:27], s30
	s_min_u32 s28, s28, 1
	s_or_b32 s28, s29, s28
	v_cvt_f32_u32_e32 v47, s28
	s_sub_i32 s30, 32, s30
	s_add_u32 s26, s26, 1
	s_addc_u32 s27, s27, 0
	v_ldexp_f32 v47, v47, s30
	v_cmp_eq_u64_e32 vcc, s[26:27], v[44:45]
	v_mul_f32_e32 v47, v46, v47
	s_or_b64 s[24:25], vcc, s[24:25]
	v_mov_b32_e32 v46, v27
	v_fma_f32 v27, v27, v42, -v47
	s_andn2_b64 exec, exec, s[24:25]
	s_cbranch_execnz .LBB52_164
; %bb.165:
	s_or_b64 exec, exec, s[24:25]
.LBB52_166:
	s_or_b64 exec, exec, s[22:23]
                                        ; implicit-def: $vgpr42
.LBB52_167:
	s_andn2_saveexec_b64 s[20:21], s[20:21]
; %bb.168:
	v_mov_b32_e32 v27, v42
; %bb.169:
	s_or_b64 exec, exec, s[20:21]
.LBB52_170:
	s_or_b64 exec, exec, s[14:15]
.LBB52_171:
	s_or_b64 exec, exec, s[10:11]
	v_trunc_f32_e32 v28, v28
	s_mov_b32 s10, 0x2f800000
	v_mul_f32_e64 v42, |v28|, s10
	v_floor_f32_e32 v42, v42
	s_mov_b32 s10, 0xcf800000
	v_cvt_u32_f32_e32 v44, v42
	v_fma_f32 v42, v42, s10, |v28|
	v_cvt_u32_f32_e32 v42, v42
	v_ashrrev_i32_e32 v28, 31, v28
	v_xor_b32_e32 v45, v44, v28
	v_xor_b32_e32 v42, v42, v28
	v_sub_co_u32_e32 v44, vcc, v42, v28
	v_subb_co_u32_e32 v45, vcc, v45, v28, vcc
	v_cmp_lt_i64_e32 vcc, -1, v[44:45]
	v_mov_b32_e32 v28, 0
	s_and_saveexec_b64 s[10:11], vcc
	s_cbranch_execz .LBB52_183
; %bb.172:
	v_cmp_lt_i64_e32 vcc, 0, v[44:45]
	v_mov_b32_e32 v28, 1.0
	s_and_saveexec_b64 s[14:15], vcc
	s_cbranch_execz .LBB52_182
; %bb.173:
	v_lshlrev_b32_e32 v42, 16, v43
	v_cmp_ne_u64_e32 vcc, 1, v[44:45]
	s_and_saveexec_b64 s[20:21], vcc
	s_xor_b64 s[20:21], exec, s[20:21]
	s_cbranch_execz .LBB52_179
; %bb.174:
	s_mov_b64 s[22:23], 0x81
	v_cmp_gt_u64_e32 vcc, s[22:23], v[44:45]
	v_mov_b32_e32 v28, 0x7fc00000
	s_and_saveexec_b64 s[22:23], vcc
	s_cbranch_execz .LBB52_178
; %bb.175:
	s_mov_b64 s[26:27], 1
	s_mov_b64 s[24:25], 0
	v_mov_b32_e32 v46, 1.0
	v_mov_b32_e32 v28, v42
.LBB52_176:                             ; =>This Inner Loop Header: Depth=1
	s_flbit_i32_b32 s28, s27
	s_min_u32 s30, s28, 32
	s_lshl_b64 s[28:29], s[26:27], s30
	s_min_u32 s28, s28, 1
	s_or_b32 s28, s29, s28
	v_cvt_f32_u32_e32 v47, s28
	s_sub_i32 s30, 32, s30
	s_add_u32 s26, s26, 1
	s_addc_u32 s27, s27, 0
	v_ldexp_f32 v47, v47, s30
	v_cmp_eq_u64_e32 vcc, s[26:27], v[44:45]
	v_mul_f32_e32 v47, v46, v47
	s_or_b64 s[24:25], vcc, s[24:25]
	v_mov_b32_e32 v46, v28
	v_fma_f32 v28, v28, v42, -v47
	s_andn2_b64 exec, exec, s[24:25]
	s_cbranch_execnz .LBB52_176
; %bb.177:
	s_or_b64 exec, exec, s[24:25]
.LBB52_178:
	s_or_b64 exec, exec, s[22:23]
                                        ; implicit-def: $vgpr42
.LBB52_179:
	s_andn2_saveexec_b64 s[20:21], s[20:21]
; %bb.180:
	v_mov_b32_e32 v28, v42
; %bb.181:
	s_or_b64 exec, exec, s[20:21]
.LBB52_182:
	s_or_b64 exec, exec, s[14:15]
.LBB52_183:
	s_or_b64 exec, exec, s[10:11]
	v_trunc_f32_e32 v29, v29
	s_mov_b32 s10, 0x2f800000
	v_mul_f32_e64 v42, |v29|, s10
	v_floor_f32_e32 v42, v42
	s_mov_b32 s10, 0xcf800000
	v_cvt_u32_f32_e32 v44, v42
	v_fma_f32 v42, v42, s10, |v29|
	v_cvt_u32_f32_e32 v42, v42
	v_ashrrev_i32_e32 v29, 31, v29
	v_xor_b32_e32 v45, v44, v29
	v_xor_b32_e32 v42, v42, v29
	v_sub_co_u32_e32 v44, vcc, v42, v29
	v_subb_co_u32_e32 v45, vcc, v45, v29, vcc
	v_cmp_lt_i64_e32 vcc, -1, v[44:45]
	v_mov_b32_e32 v29, 0
	s_and_saveexec_b64 s[10:11], vcc
	s_cbranch_execz .LBB52_195
; %bb.184:
	v_cmp_lt_i64_e32 vcc, 0, v[44:45]
	v_mov_b32_e32 v29, 1.0
	s_and_saveexec_b64 s[14:15], vcc
	s_cbranch_execz .LBB52_194
; %bb.185:
	v_and_b32_e32 v42, 0xffff0000, v43
	v_cmp_ne_u64_e32 vcc, 1, v[44:45]
	s_and_saveexec_b64 s[20:21], vcc
	s_xor_b64 s[20:21], exec, s[20:21]
	s_cbranch_execz .LBB52_191
; %bb.186:
	s_mov_b64 s[22:23], 0x81
	v_cmp_gt_u64_e32 vcc, s[22:23], v[44:45]
	v_mov_b32_e32 v29, 0x7fc00000
	s_and_saveexec_b64 s[22:23], vcc
	s_cbranch_execz .LBB52_190
; %bb.187:
	s_mov_b64 s[26:27], 1
	s_mov_b64 s[24:25], 0
	v_mov_b32_e32 v43, 1.0
	v_mov_b32_e32 v29, v42
.LBB52_188:                             ; =>This Inner Loop Header: Depth=1
	s_flbit_i32_b32 s28, s27
	s_min_u32 s30, s28, 32
	s_lshl_b64 s[28:29], s[26:27], s30
	s_min_u32 s28, s28, 1
	s_or_b32 s28, s29, s28
	v_cvt_f32_u32_e32 v46, s28
	s_sub_i32 s30, 32, s30
	s_add_u32 s26, s26, 1
	s_addc_u32 s27, s27, 0
	v_ldexp_f32 v46, v46, s30
	v_cmp_eq_u64_e32 vcc, s[26:27], v[44:45]
	v_mul_f32_e32 v46, v43, v46
	s_or_b64 s[24:25], vcc, s[24:25]
	v_mov_b32_e32 v43, v29
	v_fma_f32 v29, v29, v42, -v46
	s_andn2_b64 exec, exec, s[24:25]
	s_cbranch_execnz .LBB52_188
; %bb.189:
	s_or_b64 exec, exec, s[24:25]
.LBB52_190:
	s_or_b64 exec, exec, s[22:23]
                                        ; implicit-def: $vgpr42
.LBB52_191:
	s_andn2_saveexec_b64 s[20:21], s[20:21]
; %bb.192:
	v_mov_b32_e32 v29, v42
; %bb.193:
	s_or_b64 exec, exec, s[20:21]
.LBB52_194:
	s_or_b64 exec, exec, s[14:15]
.LBB52_195:
	s_or_b64 exec, exec, s[10:11]
	s_waitcnt vmcnt(3)
	v_trunc_f32_e32 v30, v30
	s_mov_b32 s10, 0x2f800000
	v_mul_f32_e64 v42, |v30|, s10
	v_floor_f32_e32 v42, v42
	s_mov_b32 s10, 0xcf800000
	v_cvt_u32_f32_e32 v43, v42
	v_fma_f32 v42, v42, s10, |v30|
	v_cvt_u32_f32_e32 v42, v42
	v_ashrrev_i32_e32 v30, 31, v30
	v_xor_b32_e32 v43, v43, v30
	v_xor_b32_e32 v42, v42, v30
	v_sub_co_u32_e32 v42, vcc, v42, v30
	v_subb_co_u32_e32 v43, vcc, v43, v30, vcc
	v_cmp_lt_i64_e32 vcc, -1, v[42:43]
	v_mov_b32_e32 v30, 0
	s_and_saveexec_b64 s[10:11], vcc
	s_cbranch_execz .LBB52_207
; %bb.196:
	v_cmp_lt_i64_e32 vcc, 0, v[42:43]
	v_mov_b32_e32 v30, 1.0
	s_and_saveexec_b64 s[14:15], vcc
	s_cbranch_execz .LBB52_206
; %bb.197:
	v_lshlrev_b32_e32 v44, 16, v40
	v_cmp_ne_u64_e32 vcc, 1, v[42:43]
                                        ; implicit-def: $vgpr30
	s_and_saveexec_b64 s[20:21], vcc
	s_xor_b64 s[20:21], exec, s[20:21]
	s_cbranch_execz .LBB52_203
; %bb.198:
	s_mov_b64 s[22:23], 0x81
	v_cmp_gt_u64_e32 vcc, s[22:23], v[42:43]
	v_mov_b32_e32 v30, 0x7fc00000
	s_and_saveexec_b64 s[22:23], vcc
	s_cbranch_execz .LBB52_202
; %bb.199:
	s_mov_b64 s[26:27], 1
	s_mov_b64 s[24:25], 0
	v_mov_b32_e32 v45, 1.0
	v_mov_b32_e32 v30, v44
.LBB52_200:                             ; =>This Inner Loop Header: Depth=1
	s_flbit_i32_b32 s28, s27
	s_min_u32 s30, s28, 32
	s_lshl_b64 s[28:29], s[26:27], s30
	s_min_u32 s28, s28, 1
	s_or_b32 s28, s29, s28
	v_cvt_f32_u32_e32 v46, s28
	s_sub_i32 s30, 32, s30
	s_add_u32 s26, s26, 1
	s_addc_u32 s27, s27, 0
	v_ldexp_f32 v46, v46, s30
	v_cmp_eq_u64_e32 vcc, s[26:27], v[42:43]
	v_mul_f32_e32 v46, v45, v46
	s_or_b64 s[24:25], vcc, s[24:25]
	v_mov_b32_e32 v45, v30
	v_fma_f32 v30, v30, v44, -v46
	s_andn2_b64 exec, exec, s[24:25]
	s_cbranch_execnz .LBB52_200
; %bb.201:
	s_or_b64 exec, exec, s[24:25]
.LBB52_202:
	s_or_b64 exec, exec, s[22:23]
                                        ; implicit-def: $vgpr44
.LBB52_203:
	s_andn2_saveexec_b64 s[20:21], s[20:21]
; %bb.204:
	v_mov_b32_e32 v30, v44
; %bb.205:
	s_or_b64 exec, exec, s[20:21]
.LBB52_206:
	s_or_b64 exec, exec, s[14:15]
.LBB52_207:
	s_or_b64 exec, exec, s[10:11]
	v_trunc_f32_e32 v31, v31
	s_mov_b32 s10, 0x2f800000
	v_mul_f32_e64 v42, |v31|, s10
	v_floor_f32_e32 v42, v42
	s_mov_b32 s10, 0xcf800000
	v_cvt_u32_f32_e32 v43, v42
	v_fma_f32 v42, v42, s10, |v31|
	v_cvt_u32_f32_e32 v42, v42
	v_ashrrev_i32_e32 v31, 31, v31
	v_xor_b32_e32 v43, v43, v31
	v_xor_b32_e32 v42, v42, v31
	v_sub_co_u32_e32 v42, vcc, v42, v31
	v_subb_co_u32_e32 v43, vcc, v43, v31, vcc
	v_cmp_lt_i64_e32 vcc, -1, v[42:43]
	v_mov_b32_e32 v31, 0
	s_and_saveexec_b64 s[10:11], vcc
	s_cbranch_execz .LBB52_219
; %bb.208:
	v_cmp_lt_i64_e32 vcc, 0, v[42:43]
	v_mov_b32_e32 v31, 1.0
	s_and_saveexec_b64 s[14:15], vcc
	s_cbranch_execz .LBB52_218
; %bb.209:
	v_and_b32_e32 v40, 0xffff0000, v40
	v_cmp_ne_u64_e32 vcc, 1, v[42:43]
	s_and_saveexec_b64 s[20:21], vcc
	s_xor_b64 s[20:21], exec, s[20:21]
	s_cbranch_execz .LBB52_215
; %bb.210:
	s_mov_b64 s[22:23], 0x81
	v_cmp_gt_u64_e32 vcc, s[22:23], v[42:43]
	v_mov_b32_e32 v31, 0x7fc00000
	s_and_saveexec_b64 s[22:23], vcc
	s_cbranch_execz .LBB52_214
; %bb.211:
	s_mov_b64 s[26:27], 1
	s_mov_b64 s[24:25], 0
	v_mov_b32_e32 v44, 1.0
	v_mov_b32_e32 v31, v40
.LBB52_212:                             ; =>This Inner Loop Header: Depth=1
	s_flbit_i32_b32 s28, s27
	s_min_u32 s30, s28, 32
	s_lshl_b64 s[28:29], s[26:27], s30
	s_min_u32 s28, s28, 1
	s_or_b32 s28, s29, s28
	v_cvt_f32_u32_e32 v45, s28
	s_sub_i32 s30, 32, s30
	s_add_u32 s26, s26, 1
	s_addc_u32 s27, s27, 0
	v_ldexp_f32 v45, v45, s30
	v_cmp_eq_u64_e32 vcc, s[26:27], v[42:43]
	v_mul_f32_e32 v45, v44, v45
	s_or_b64 s[24:25], vcc, s[24:25]
	v_mov_b32_e32 v44, v31
	v_fma_f32 v31, v31, v40, -v45
	s_andn2_b64 exec, exec, s[24:25]
	s_cbranch_execnz .LBB52_212
; %bb.213:
	s_or_b64 exec, exec, s[24:25]
.LBB52_214:
	s_or_b64 exec, exec, s[22:23]
                                        ; implicit-def: $vgpr40
.LBB52_215:
	s_andn2_saveexec_b64 s[20:21], s[20:21]
; %bb.216:
	v_mov_b32_e32 v31, v40
; %bb.217:
	s_or_b64 exec, exec, s[20:21]
.LBB52_218:
	s_or_b64 exec, exec, s[14:15]
.LBB52_219:
	s_or_b64 exec, exec, s[10:11]
	v_trunc_f32_e32 v32, v32
	s_mov_b32 s10, 0x2f800000
	v_mul_f32_e64 v40, |v32|, s10
	v_floor_f32_e32 v40, v40
	s_mov_b32 s10, 0xcf800000
	v_cvt_u32_f32_e32 v42, v40
	v_fma_f32 v40, v40, s10, |v32|
	v_cvt_u32_f32_e32 v40, v40
	v_ashrrev_i32_e32 v32, 31, v32
	v_xor_b32_e32 v43, v42, v32
	v_xor_b32_e32 v40, v40, v32
	v_sub_co_u32_e32 v42, vcc, v40, v32
	v_subb_co_u32_e32 v43, vcc, v43, v32, vcc
	v_cmp_lt_i64_e32 vcc, -1, v[42:43]
	v_mov_b32_e32 v32, 0
	s_and_saveexec_b64 s[10:11], vcc
	s_cbranch_execz .LBB52_231
; %bb.220:
	v_cmp_lt_i64_e32 vcc, 0, v[42:43]
	v_mov_b32_e32 v32, 1.0
	s_and_saveexec_b64 s[14:15], vcc
	s_cbranch_execz .LBB52_230
; %bb.221:
	v_lshlrev_b32_e32 v40, 16, v41
	v_cmp_ne_u64_e32 vcc, 1, v[42:43]
	s_and_saveexec_b64 s[20:21], vcc
	s_xor_b64 s[20:21], exec, s[20:21]
	s_cbranch_execz .LBB52_227
; %bb.222:
	s_mov_b64 s[22:23], 0x81
	v_cmp_gt_u64_e32 vcc, s[22:23], v[42:43]
	v_mov_b32_e32 v32, 0x7fc00000
	s_and_saveexec_b64 s[22:23], vcc
	s_cbranch_execz .LBB52_226
; %bb.223:
	s_mov_b64 s[26:27], 1
	s_mov_b64 s[24:25], 0
	v_mov_b32_e32 v44, 1.0
	v_mov_b32_e32 v32, v40
.LBB52_224:                             ; =>This Inner Loop Header: Depth=1
	s_flbit_i32_b32 s28, s27
	s_min_u32 s30, s28, 32
	s_lshl_b64 s[28:29], s[26:27], s30
	s_min_u32 s28, s28, 1
	s_or_b32 s28, s29, s28
	v_cvt_f32_u32_e32 v45, s28
	s_sub_i32 s30, 32, s30
	s_add_u32 s26, s26, 1
	s_addc_u32 s27, s27, 0
	v_ldexp_f32 v45, v45, s30
	v_cmp_eq_u64_e32 vcc, s[26:27], v[42:43]
	v_mul_f32_e32 v45, v44, v45
	s_or_b64 s[24:25], vcc, s[24:25]
	v_mov_b32_e32 v44, v32
	v_fma_f32 v32, v32, v40, -v45
	s_andn2_b64 exec, exec, s[24:25]
	s_cbranch_execnz .LBB52_224
; %bb.225:
	s_or_b64 exec, exec, s[24:25]
.LBB52_226:
	s_or_b64 exec, exec, s[22:23]
                                        ; implicit-def: $vgpr40
.LBB52_227:
	s_andn2_saveexec_b64 s[20:21], s[20:21]
; %bb.228:
	v_mov_b32_e32 v32, v40
; %bb.229:
	s_or_b64 exec, exec, s[20:21]
.LBB52_230:
	s_or_b64 exec, exec, s[14:15]
.LBB52_231:
	s_or_b64 exec, exec, s[10:11]
	v_trunc_f32_e32 v33, v33
	s_mov_b32 s10, 0x2f800000
	v_mul_f32_e64 v40, |v33|, s10
	v_floor_f32_e32 v40, v40
	s_mov_b32 s10, 0xcf800000
	v_cvt_u32_f32_e32 v42, v40
	v_fma_f32 v40, v40, s10, |v33|
	v_cvt_u32_f32_e32 v40, v40
	v_ashrrev_i32_e32 v33, 31, v33
	v_xor_b32_e32 v43, v42, v33
	v_xor_b32_e32 v40, v40, v33
	v_sub_co_u32_e32 v42, vcc, v40, v33
	v_subb_co_u32_e32 v43, vcc, v43, v33, vcc
	v_cmp_lt_i64_e32 vcc, -1, v[42:43]
	v_mov_b32_e32 v33, 0
	s_and_saveexec_b64 s[10:11], vcc
	s_cbranch_execz .LBB52_243
; %bb.232:
	v_cmp_lt_i64_e32 vcc, 0, v[42:43]
	v_mov_b32_e32 v33, 1.0
	s_and_saveexec_b64 s[14:15], vcc
	s_cbranch_execz .LBB52_242
; %bb.233:
	v_and_b32_e32 v40, 0xffff0000, v41
	v_cmp_ne_u64_e32 vcc, 1, v[42:43]
	s_and_saveexec_b64 s[20:21], vcc
	s_xor_b64 s[20:21], exec, s[20:21]
	s_cbranch_execz .LBB52_239
; %bb.234:
	s_mov_b64 s[22:23], 0x81
	v_cmp_gt_u64_e32 vcc, s[22:23], v[42:43]
	v_mov_b32_e32 v33, 0x7fc00000
	s_and_saveexec_b64 s[22:23], vcc
	s_cbranch_execz .LBB52_238
; %bb.235:
	s_mov_b64 s[26:27], 1
	s_mov_b64 s[24:25], 0
	v_mov_b32_e32 v41, 1.0
	v_mov_b32_e32 v33, v40
.LBB52_236:                             ; =>This Inner Loop Header: Depth=1
	s_flbit_i32_b32 s28, s27
	s_min_u32 s30, s28, 32
	s_lshl_b64 s[28:29], s[26:27], s30
	s_min_u32 s28, s28, 1
	s_or_b32 s28, s29, s28
	v_cvt_f32_u32_e32 v44, s28
	s_sub_i32 s30, 32, s30
	s_add_u32 s26, s26, 1
	s_addc_u32 s27, s27, 0
	v_ldexp_f32 v44, v44, s30
	v_cmp_eq_u64_e32 vcc, s[26:27], v[42:43]
	v_mul_f32_e32 v44, v41, v44
	s_or_b64 s[24:25], vcc, s[24:25]
	v_mov_b32_e32 v41, v33
	v_fma_f32 v33, v33, v40, -v44
	s_andn2_b64 exec, exec, s[24:25]
	s_cbranch_execnz .LBB52_236
; %bb.237:
	s_or_b64 exec, exec, s[24:25]
.LBB52_238:
	s_or_b64 exec, exec, s[22:23]
                                        ; implicit-def: $vgpr40
.LBB52_239:
	s_andn2_saveexec_b64 s[20:21], s[20:21]
; %bb.240:
	v_mov_b32_e32 v33, v40
; %bb.241:
	s_or_b64 exec, exec, s[20:21]
.LBB52_242:
	s_or_b64 exec, exec, s[14:15]
.LBB52_243:
	s_or_b64 exec, exec, s[10:11]
	s_waitcnt vmcnt(2)
	v_trunc_f32_e32 v22, v22
	s_mov_b32 s10, 0x2f800000
	v_mul_f32_e64 v40, |v22|, s10
	v_floor_f32_e32 v40, v40
	s_mov_b32 s10, 0xcf800000
	v_cvt_u32_f32_e32 v41, v40
	v_fma_f32 v40, v40, s10, |v22|
	v_cvt_u32_f32_e32 v40, v40
	v_ashrrev_i32_e32 v22, 31, v22
	v_xor_b32_e32 v41, v41, v22
	v_xor_b32_e32 v40, v40, v22
	v_sub_co_u32_e32 v40, vcc, v40, v22
	v_subb_co_u32_e32 v41, vcc, v41, v22, vcc
	v_cmp_lt_i64_e32 vcc, -1, v[40:41]
	v_mov_b32_e32 v22, 0
	s_and_saveexec_b64 s[10:11], vcc
	s_cbranch_execz .LBB52_255
; %bb.244:
	v_cmp_lt_i64_e32 vcc, 0, v[40:41]
	v_mov_b32_e32 v22, 1.0
	s_and_saveexec_b64 s[14:15], vcc
	s_cbranch_execz .LBB52_254
; %bb.245:
	v_lshlrev_b32_e32 v42, 16, v38
	v_cmp_ne_u64_e32 vcc, 1, v[40:41]
                                        ; implicit-def: $vgpr22
	s_and_saveexec_b64 s[20:21], vcc
	s_xor_b64 s[20:21], exec, s[20:21]
	s_cbranch_execz .LBB52_251
; %bb.246:
	s_mov_b64 s[22:23], 0x81
	v_cmp_gt_u64_e32 vcc, s[22:23], v[40:41]
	v_mov_b32_e32 v22, 0x7fc00000
	s_and_saveexec_b64 s[22:23], vcc
	s_cbranch_execz .LBB52_250
; %bb.247:
	s_mov_b64 s[26:27], 1
	s_mov_b64 s[24:25], 0
	v_mov_b32_e32 v43, 1.0
	v_mov_b32_e32 v22, v42
.LBB52_248:                             ; =>This Inner Loop Header: Depth=1
	s_flbit_i32_b32 s28, s27
	s_min_u32 s30, s28, 32
	s_lshl_b64 s[28:29], s[26:27], s30
	s_min_u32 s28, s28, 1
	s_or_b32 s28, s29, s28
	v_cvt_f32_u32_e32 v44, s28
	s_sub_i32 s30, 32, s30
	s_add_u32 s26, s26, 1
	s_addc_u32 s27, s27, 0
	v_ldexp_f32 v44, v44, s30
	v_cmp_eq_u64_e32 vcc, s[26:27], v[40:41]
	v_mul_f32_e32 v44, v43, v44
	s_or_b64 s[24:25], vcc, s[24:25]
	v_mov_b32_e32 v43, v22
	v_fma_f32 v22, v22, v42, -v44
	s_andn2_b64 exec, exec, s[24:25]
	s_cbranch_execnz .LBB52_248
; %bb.249:
	s_or_b64 exec, exec, s[24:25]
.LBB52_250:
	s_or_b64 exec, exec, s[22:23]
                                        ; implicit-def: $vgpr42
.LBB52_251:
	s_andn2_saveexec_b64 s[20:21], s[20:21]
; %bb.252:
	v_mov_b32_e32 v22, v42
; %bb.253:
	s_or_b64 exec, exec, s[20:21]
.LBB52_254:
	s_or_b64 exec, exec, s[14:15]
.LBB52_255:
	s_or_b64 exec, exec, s[10:11]
	v_trunc_f32_e32 v23, v23
	s_mov_b32 s10, 0x2f800000
	v_mul_f32_e64 v40, |v23|, s10
	v_floor_f32_e32 v40, v40
	s_mov_b32 s10, 0xcf800000
	v_cvt_u32_f32_e32 v41, v40
	v_fma_f32 v40, v40, s10, |v23|
	v_cvt_u32_f32_e32 v40, v40
	v_ashrrev_i32_e32 v23, 31, v23
	v_xor_b32_e32 v41, v41, v23
	v_xor_b32_e32 v40, v40, v23
	v_sub_co_u32_e32 v40, vcc, v40, v23
	v_subb_co_u32_e32 v41, vcc, v41, v23, vcc
	v_cmp_lt_i64_e32 vcc, -1, v[40:41]
	v_mov_b32_e32 v23, 0
	s_and_saveexec_b64 s[10:11], vcc
	s_cbranch_execz .LBB52_267
; %bb.256:
	v_cmp_lt_i64_e32 vcc, 0, v[40:41]
	v_mov_b32_e32 v23, 1.0
	s_and_saveexec_b64 s[14:15], vcc
	s_cbranch_execz .LBB52_266
; %bb.257:
	v_and_b32_e32 v38, 0xffff0000, v38
	v_cmp_ne_u64_e32 vcc, 1, v[40:41]
	s_and_saveexec_b64 s[20:21], vcc
	s_xor_b64 s[20:21], exec, s[20:21]
	s_cbranch_execz .LBB52_263
; %bb.258:
	s_mov_b64 s[22:23], 0x81
	v_cmp_gt_u64_e32 vcc, s[22:23], v[40:41]
	v_mov_b32_e32 v23, 0x7fc00000
	s_and_saveexec_b64 s[22:23], vcc
	s_cbranch_execz .LBB52_262
; %bb.259:
	s_mov_b64 s[26:27], 1
	s_mov_b64 s[24:25], 0
	v_mov_b32_e32 v42, 1.0
	v_mov_b32_e32 v23, v38
.LBB52_260:                             ; =>This Inner Loop Header: Depth=1
	s_flbit_i32_b32 s28, s27
	s_min_u32 s30, s28, 32
	s_lshl_b64 s[28:29], s[26:27], s30
	s_min_u32 s28, s28, 1
	s_or_b32 s28, s29, s28
	v_cvt_f32_u32_e32 v43, s28
	s_sub_i32 s30, 32, s30
	s_add_u32 s26, s26, 1
	s_addc_u32 s27, s27, 0
	v_ldexp_f32 v43, v43, s30
	v_cmp_eq_u64_e32 vcc, s[26:27], v[40:41]
	v_mul_f32_e32 v43, v42, v43
	s_or_b64 s[24:25], vcc, s[24:25]
	v_mov_b32_e32 v42, v23
	v_fma_f32 v23, v23, v38, -v43
	s_andn2_b64 exec, exec, s[24:25]
	s_cbranch_execnz .LBB52_260
; %bb.261:
	s_or_b64 exec, exec, s[24:25]
.LBB52_262:
	s_or_b64 exec, exec, s[22:23]
                                        ; implicit-def: $vgpr38
.LBB52_263:
	s_andn2_saveexec_b64 s[20:21], s[20:21]
; %bb.264:
	v_mov_b32_e32 v23, v38
; %bb.265:
	s_or_b64 exec, exec, s[20:21]
.LBB52_266:
	s_or_b64 exec, exec, s[14:15]
.LBB52_267:
	s_or_b64 exec, exec, s[10:11]
	v_trunc_f32_e32 v24, v24
	s_mov_b32 s10, 0x2f800000
	v_mul_f32_e64 v38, |v24|, s10
	v_floor_f32_e32 v38, v38
	s_mov_b32 s10, 0xcf800000
	v_cvt_u32_f32_e32 v40, v38
	v_fma_f32 v38, v38, s10, |v24|
	v_cvt_u32_f32_e32 v38, v38
	v_ashrrev_i32_e32 v24, 31, v24
	v_xor_b32_e32 v41, v40, v24
	v_xor_b32_e32 v38, v38, v24
	v_sub_co_u32_e32 v40, vcc, v38, v24
	v_subb_co_u32_e32 v41, vcc, v41, v24, vcc
	v_cmp_lt_i64_e32 vcc, -1, v[40:41]
	v_mov_b32_e32 v24, 0
	s_and_saveexec_b64 s[10:11], vcc
	s_cbranch_execz .LBB52_279
; %bb.268:
	v_cmp_lt_i64_e32 vcc, 0, v[40:41]
	v_mov_b32_e32 v24, 1.0
	s_and_saveexec_b64 s[14:15], vcc
	s_cbranch_execz .LBB52_278
; %bb.269:
	v_lshlrev_b32_e32 v38, 16, v39
	v_cmp_ne_u64_e32 vcc, 1, v[40:41]
	s_and_saveexec_b64 s[20:21], vcc
	s_xor_b64 s[20:21], exec, s[20:21]
	s_cbranch_execz .LBB52_275
; %bb.270:
	s_mov_b64 s[22:23], 0x81
	v_cmp_gt_u64_e32 vcc, s[22:23], v[40:41]
	v_mov_b32_e32 v24, 0x7fc00000
	s_and_saveexec_b64 s[22:23], vcc
	s_cbranch_execz .LBB52_274
; %bb.271:
	s_mov_b64 s[26:27], 1
	s_mov_b64 s[24:25], 0
	v_mov_b32_e32 v42, 1.0
	v_mov_b32_e32 v24, v38
.LBB52_272:                             ; =>This Inner Loop Header: Depth=1
	s_flbit_i32_b32 s28, s27
	s_min_u32 s30, s28, 32
	s_lshl_b64 s[28:29], s[26:27], s30
	s_min_u32 s28, s28, 1
	s_or_b32 s28, s29, s28
	v_cvt_f32_u32_e32 v43, s28
	s_sub_i32 s30, 32, s30
	s_add_u32 s26, s26, 1
	s_addc_u32 s27, s27, 0
	v_ldexp_f32 v43, v43, s30
	v_cmp_eq_u64_e32 vcc, s[26:27], v[40:41]
	v_mul_f32_e32 v43, v42, v43
	s_or_b64 s[24:25], vcc, s[24:25]
	v_mov_b32_e32 v42, v24
	v_fma_f32 v24, v24, v38, -v43
	s_andn2_b64 exec, exec, s[24:25]
	s_cbranch_execnz .LBB52_272
; %bb.273:
	s_or_b64 exec, exec, s[24:25]
.LBB52_274:
	s_or_b64 exec, exec, s[22:23]
                                        ; implicit-def: $vgpr38
.LBB52_275:
	s_andn2_saveexec_b64 s[20:21], s[20:21]
; %bb.276:
	v_mov_b32_e32 v24, v38
; %bb.277:
	s_or_b64 exec, exec, s[20:21]
.LBB52_278:
	s_or_b64 exec, exec, s[14:15]
.LBB52_279:
	s_or_b64 exec, exec, s[10:11]
	v_trunc_f32_e32 v25, v25
	s_mov_b32 s10, 0x2f800000
	v_mul_f32_e64 v38, |v25|, s10
	v_floor_f32_e32 v38, v38
	s_mov_b32 s10, 0xcf800000
	v_cvt_u32_f32_e32 v40, v38
	v_fma_f32 v38, v38, s10, |v25|
	v_cvt_u32_f32_e32 v38, v38
	v_ashrrev_i32_e32 v25, 31, v25
	v_xor_b32_e32 v41, v40, v25
	v_xor_b32_e32 v38, v38, v25
	v_sub_co_u32_e32 v40, vcc, v38, v25
	v_subb_co_u32_e32 v41, vcc, v41, v25, vcc
	v_cmp_lt_i64_e32 vcc, -1, v[40:41]
	v_mov_b32_e32 v25, 0
	s_and_saveexec_b64 s[10:11], vcc
	s_cbranch_execz .LBB52_291
; %bb.280:
	v_cmp_lt_i64_e32 vcc, 0, v[40:41]
	v_mov_b32_e32 v25, 1.0
	s_and_saveexec_b64 s[14:15], vcc
	s_cbranch_execz .LBB52_290
; %bb.281:
	v_and_b32_e32 v38, 0xffff0000, v39
	v_cmp_ne_u64_e32 vcc, 1, v[40:41]
	s_and_saveexec_b64 s[20:21], vcc
	s_xor_b64 s[20:21], exec, s[20:21]
	s_cbranch_execz .LBB52_287
; %bb.282:
	s_mov_b64 s[22:23], 0x81
	v_cmp_gt_u64_e32 vcc, s[22:23], v[40:41]
	v_mov_b32_e32 v25, 0x7fc00000
	s_and_saveexec_b64 s[22:23], vcc
	s_cbranch_execz .LBB52_286
; %bb.283:
	s_mov_b64 s[26:27], 1
	s_mov_b64 s[24:25], 0
	v_mov_b32_e32 v39, 1.0
	v_mov_b32_e32 v25, v38
.LBB52_284:                             ; =>This Inner Loop Header: Depth=1
	s_flbit_i32_b32 s28, s27
	s_min_u32 s30, s28, 32
	s_lshl_b64 s[28:29], s[26:27], s30
	s_min_u32 s28, s28, 1
	s_or_b32 s28, s29, s28
	v_cvt_f32_u32_e32 v42, s28
	s_sub_i32 s30, 32, s30
	s_add_u32 s26, s26, 1
	s_addc_u32 s27, s27, 0
	v_ldexp_f32 v42, v42, s30
	v_cmp_eq_u64_e32 vcc, s[26:27], v[40:41]
	v_mul_f32_e32 v42, v39, v42
	s_or_b64 s[24:25], vcc, s[24:25]
	v_mov_b32_e32 v39, v25
	v_fma_f32 v25, v25, v38, -v42
	s_andn2_b64 exec, exec, s[24:25]
	s_cbranch_execnz .LBB52_284
; %bb.285:
	s_or_b64 exec, exec, s[24:25]
.LBB52_286:
	s_or_b64 exec, exec, s[22:23]
                                        ; implicit-def: $vgpr38
.LBB52_287:
	s_andn2_saveexec_b64 s[20:21], s[20:21]
; %bb.288:
	v_mov_b32_e32 v25, v38
; %bb.289:
	s_or_b64 exec, exec, s[20:21]
.LBB52_290:
	s_or_b64 exec, exec, s[14:15]
.LBB52_291:
	s_or_b64 exec, exec, s[10:11]
	s_waitcnt vmcnt(1)
	v_trunc_f32_e32 v14, v14
	s_mov_b32 s10, 0x2f800000
	v_mul_f32_e64 v38, |v14|, s10
	v_floor_f32_e32 v38, v38
	s_mov_b32 s10, 0xcf800000
	v_cvt_u32_f32_e32 v39, v38
	v_fma_f32 v38, v38, s10, |v14|
	v_cvt_u32_f32_e32 v38, v38
	v_ashrrev_i32_e32 v14, 31, v14
	v_xor_b32_e32 v39, v39, v14
	v_xor_b32_e32 v38, v38, v14
	v_sub_co_u32_e32 v38, vcc, v38, v14
	v_subb_co_u32_e32 v39, vcc, v39, v14, vcc
	v_cmp_lt_i64_e32 vcc, -1, v[38:39]
	v_mov_b32_e32 v14, 0
	s_and_saveexec_b64 s[10:11], vcc
	s_cbranch_execz .LBB52_303
; %bb.292:
	v_cmp_lt_i64_e32 vcc, 0, v[38:39]
	v_mov_b32_e32 v14, 1.0
	s_and_saveexec_b64 s[14:15], vcc
	s_cbranch_execz .LBB52_302
; %bb.293:
	v_lshlrev_b32_e32 v40, 16, v36
	v_cmp_ne_u64_e32 vcc, 1, v[38:39]
                                        ; implicit-def: $vgpr14
	s_and_saveexec_b64 s[20:21], vcc
	s_xor_b64 s[20:21], exec, s[20:21]
	s_cbranch_execz .LBB52_299
; %bb.294:
	s_mov_b64 s[22:23], 0x81
	v_cmp_gt_u64_e32 vcc, s[22:23], v[38:39]
	v_mov_b32_e32 v14, 0x7fc00000
	s_and_saveexec_b64 s[22:23], vcc
	s_cbranch_execz .LBB52_298
; %bb.295:
	s_mov_b64 s[26:27], 1
	s_mov_b64 s[24:25], 0
	v_mov_b32_e32 v41, 1.0
	v_mov_b32_e32 v14, v40
.LBB52_296:                             ; =>This Inner Loop Header: Depth=1
	s_flbit_i32_b32 s28, s27
	s_min_u32 s30, s28, 32
	s_lshl_b64 s[28:29], s[26:27], s30
	s_min_u32 s28, s28, 1
	s_or_b32 s28, s29, s28
	v_cvt_f32_u32_e32 v42, s28
	s_sub_i32 s30, 32, s30
	s_add_u32 s26, s26, 1
	s_addc_u32 s27, s27, 0
	v_ldexp_f32 v42, v42, s30
	v_cmp_eq_u64_e32 vcc, s[26:27], v[38:39]
	v_mul_f32_e32 v42, v41, v42
	s_or_b64 s[24:25], vcc, s[24:25]
	v_mov_b32_e32 v41, v14
	v_fma_f32 v14, v14, v40, -v42
	s_andn2_b64 exec, exec, s[24:25]
	s_cbranch_execnz .LBB52_296
; %bb.297:
	s_or_b64 exec, exec, s[24:25]
.LBB52_298:
	s_or_b64 exec, exec, s[22:23]
                                        ; implicit-def: $vgpr40
.LBB52_299:
	s_andn2_saveexec_b64 s[20:21], s[20:21]
; %bb.300:
	v_mov_b32_e32 v14, v40
; %bb.301:
	s_or_b64 exec, exec, s[20:21]
.LBB52_302:
	s_or_b64 exec, exec, s[14:15]
.LBB52_303:
	s_or_b64 exec, exec, s[10:11]
	v_trunc_f32_e32 v15, v15
	s_mov_b32 s10, 0x2f800000
	v_mul_f32_e64 v38, |v15|, s10
	v_floor_f32_e32 v38, v38
	s_mov_b32 s10, 0xcf800000
	v_cvt_u32_f32_e32 v39, v38
	v_fma_f32 v38, v38, s10, |v15|
	v_cvt_u32_f32_e32 v38, v38
	v_ashrrev_i32_e32 v15, 31, v15
	v_xor_b32_e32 v39, v39, v15
	v_xor_b32_e32 v38, v38, v15
	v_sub_co_u32_e32 v38, vcc, v38, v15
	v_subb_co_u32_e32 v39, vcc, v39, v15, vcc
	v_cmp_lt_i64_e32 vcc, -1, v[38:39]
	v_mov_b32_e32 v15, 0
	s_and_saveexec_b64 s[10:11], vcc
	s_cbranch_execz .LBB52_315
; %bb.304:
	v_cmp_lt_i64_e32 vcc, 0, v[38:39]
	v_mov_b32_e32 v15, 1.0
	s_and_saveexec_b64 s[14:15], vcc
	s_cbranch_execz .LBB52_314
; %bb.305:
	v_and_b32_e32 v36, 0xffff0000, v36
	v_cmp_ne_u64_e32 vcc, 1, v[38:39]
	s_and_saveexec_b64 s[20:21], vcc
	s_xor_b64 s[20:21], exec, s[20:21]
	s_cbranch_execz .LBB52_311
; %bb.306:
	s_mov_b64 s[22:23], 0x81
	v_cmp_gt_u64_e32 vcc, s[22:23], v[38:39]
	v_mov_b32_e32 v15, 0x7fc00000
	s_and_saveexec_b64 s[22:23], vcc
	s_cbranch_execz .LBB52_310
; %bb.307:
	s_mov_b64 s[26:27], 1
	s_mov_b64 s[24:25], 0
	v_mov_b32_e32 v40, 1.0
	v_mov_b32_e32 v15, v36
.LBB52_308:                             ; =>This Inner Loop Header: Depth=1
	s_flbit_i32_b32 s28, s27
	s_min_u32 s30, s28, 32
	s_lshl_b64 s[28:29], s[26:27], s30
	s_min_u32 s28, s28, 1
	s_or_b32 s28, s29, s28
	v_cvt_f32_u32_e32 v41, s28
	s_sub_i32 s30, 32, s30
	s_add_u32 s26, s26, 1
	s_addc_u32 s27, s27, 0
	v_ldexp_f32 v41, v41, s30
	v_cmp_eq_u64_e32 vcc, s[26:27], v[38:39]
	v_mul_f32_e32 v41, v40, v41
	s_or_b64 s[24:25], vcc, s[24:25]
	v_mov_b32_e32 v40, v15
	v_fma_f32 v15, v15, v36, -v41
	s_andn2_b64 exec, exec, s[24:25]
	s_cbranch_execnz .LBB52_308
; %bb.309:
	s_or_b64 exec, exec, s[24:25]
.LBB52_310:
	s_or_b64 exec, exec, s[22:23]
                                        ; implicit-def: $vgpr36
.LBB52_311:
	s_andn2_saveexec_b64 s[20:21], s[20:21]
; %bb.312:
	v_mov_b32_e32 v15, v36
; %bb.313:
	s_or_b64 exec, exec, s[20:21]
.LBB52_314:
	s_or_b64 exec, exec, s[14:15]
.LBB52_315:
	s_or_b64 exec, exec, s[10:11]
	v_trunc_f32_e32 v16, v16
	s_mov_b32 s10, 0x2f800000
	v_mul_f32_e64 v36, |v16|, s10
	v_floor_f32_e32 v36, v36
	s_mov_b32 s10, 0xcf800000
	v_cvt_u32_f32_e32 v38, v36
	v_fma_f32 v36, v36, s10, |v16|
	v_cvt_u32_f32_e32 v36, v36
	v_ashrrev_i32_e32 v16, 31, v16
	v_xor_b32_e32 v39, v38, v16
	v_xor_b32_e32 v36, v36, v16
	v_sub_co_u32_e32 v38, vcc, v36, v16
	v_subb_co_u32_e32 v39, vcc, v39, v16, vcc
	v_cmp_lt_i64_e32 vcc, -1, v[38:39]
	v_mov_b32_e32 v16, 0
	s_and_saveexec_b64 s[10:11], vcc
	s_cbranch_execz .LBB52_327
; %bb.316:
	v_cmp_lt_i64_e32 vcc, 0, v[38:39]
	v_mov_b32_e32 v16, 1.0
	s_and_saveexec_b64 s[14:15], vcc
	s_cbranch_execz .LBB52_326
; %bb.317:
	v_lshlrev_b32_e32 v36, 16, v37
	v_cmp_ne_u64_e32 vcc, 1, v[38:39]
	s_and_saveexec_b64 s[20:21], vcc
	s_xor_b64 s[20:21], exec, s[20:21]
	s_cbranch_execz .LBB52_323
; %bb.318:
	s_mov_b64 s[22:23], 0x81
	v_cmp_gt_u64_e32 vcc, s[22:23], v[38:39]
	v_mov_b32_e32 v16, 0x7fc00000
	s_and_saveexec_b64 s[22:23], vcc
	s_cbranch_execz .LBB52_322
; %bb.319:
	s_mov_b64 s[26:27], 1
	s_mov_b64 s[24:25], 0
	v_mov_b32_e32 v40, 1.0
	v_mov_b32_e32 v16, v36
.LBB52_320:                             ; =>This Inner Loop Header: Depth=1
	s_flbit_i32_b32 s28, s27
	s_min_u32 s30, s28, 32
	s_lshl_b64 s[28:29], s[26:27], s30
	s_min_u32 s28, s28, 1
	s_or_b32 s28, s29, s28
	v_cvt_f32_u32_e32 v41, s28
	s_sub_i32 s30, 32, s30
	s_add_u32 s26, s26, 1
	s_addc_u32 s27, s27, 0
	v_ldexp_f32 v41, v41, s30
	v_cmp_eq_u64_e32 vcc, s[26:27], v[38:39]
	v_mul_f32_e32 v41, v40, v41
	s_or_b64 s[24:25], vcc, s[24:25]
	v_mov_b32_e32 v40, v16
	v_fma_f32 v16, v16, v36, -v41
	s_andn2_b64 exec, exec, s[24:25]
	s_cbranch_execnz .LBB52_320
; %bb.321:
	s_or_b64 exec, exec, s[24:25]
.LBB52_322:
	s_or_b64 exec, exec, s[22:23]
                                        ; implicit-def: $vgpr36
.LBB52_323:
	s_andn2_saveexec_b64 s[20:21], s[20:21]
; %bb.324:
	v_mov_b32_e32 v16, v36
; %bb.325:
	s_or_b64 exec, exec, s[20:21]
.LBB52_326:
	s_or_b64 exec, exec, s[14:15]
.LBB52_327:
	s_or_b64 exec, exec, s[10:11]
	v_trunc_f32_e32 v17, v17
	s_mov_b32 s10, 0x2f800000
	v_mul_f32_e64 v36, |v17|, s10
	v_floor_f32_e32 v36, v36
	s_mov_b32 s10, 0xcf800000
	v_cvt_u32_f32_e32 v38, v36
	v_fma_f32 v36, v36, s10, |v17|
	v_cvt_u32_f32_e32 v36, v36
	v_ashrrev_i32_e32 v17, 31, v17
	v_xor_b32_e32 v39, v38, v17
	v_xor_b32_e32 v36, v36, v17
	v_sub_co_u32_e32 v38, vcc, v36, v17
	v_subb_co_u32_e32 v39, vcc, v39, v17, vcc
	v_cmp_lt_i64_e32 vcc, -1, v[38:39]
	v_mov_b32_e32 v17, 0
	s_and_saveexec_b64 s[10:11], vcc
	s_cbranch_execz .LBB52_339
; %bb.328:
	v_cmp_lt_i64_e32 vcc, 0, v[38:39]
	v_mov_b32_e32 v17, 1.0
	s_and_saveexec_b64 s[14:15], vcc
	s_cbranch_execz .LBB52_338
; %bb.329:
	v_and_b32_e32 v36, 0xffff0000, v37
	v_cmp_ne_u64_e32 vcc, 1, v[38:39]
	s_and_saveexec_b64 s[20:21], vcc
	s_xor_b64 s[20:21], exec, s[20:21]
	s_cbranch_execz .LBB52_335
; %bb.330:
	s_mov_b64 s[22:23], 0x81
	v_cmp_gt_u64_e32 vcc, s[22:23], v[38:39]
	v_mov_b32_e32 v17, 0x7fc00000
	s_and_saveexec_b64 s[22:23], vcc
	s_cbranch_execz .LBB52_334
; %bb.331:
	s_mov_b64 s[26:27], 1
	s_mov_b64 s[24:25], 0
	v_mov_b32_e32 v37, 1.0
	v_mov_b32_e32 v17, v36
.LBB52_332:                             ; =>This Inner Loop Header: Depth=1
	s_flbit_i32_b32 s28, s27
	s_min_u32 s30, s28, 32
	s_lshl_b64 s[28:29], s[26:27], s30
	s_min_u32 s28, s28, 1
	s_or_b32 s28, s29, s28
	v_cvt_f32_u32_e32 v40, s28
	s_sub_i32 s30, 32, s30
	s_add_u32 s26, s26, 1
	s_addc_u32 s27, s27, 0
	v_ldexp_f32 v40, v40, s30
	v_cmp_eq_u64_e32 vcc, s[26:27], v[38:39]
	v_mul_f32_e32 v40, v37, v40
	s_or_b64 s[24:25], vcc, s[24:25]
	v_mov_b32_e32 v37, v17
	v_fma_f32 v17, v17, v36, -v40
	s_andn2_b64 exec, exec, s[24:25]
	s_cbranch_execnz .LBB52_332
; %bb.333:
	s_or_b64 exec, exec, s[24:25]
.LBB52_334:
	s_or_b64 exec, exec, s[22:23]
                                        ; implicit-def: $vgpr36
.LBB52_335:
	s_andn2_saveexec_b64 s[20:21], s[20:21]
; %bb.336:
	v_mov_b32_e32 v17, v36
; %bb.337:
	s_or_b64 exec, exec, s[20:21]
.LBB52_338:
	s_or_b64 exec, exec, s[14:15]
.LBB52_339:
	s_or_b64 exec, exec, s[10:11]
	s_waitcnt vmcnt(0)
	v_trunc_f32_e32 v6, v6
	s_mov_b32 s10, 0x2f800000
	v_mul_f32_e64 v36, |v6|, s10
	v_floor_f32_e32 v36, v36
	s_mov_b32 s10, 0xcf800000
	v_cvt_u32_f32_e32 v37, v36
	v_fma_f32 v36, v36, s10, |v6|
	v_cvt_u32_f32_e32 v36, v36
	v_ashrrev_i32_e32 v6, 31, v6
	v_xor_b32_e32 v37, v37, v6
	v_xor_b32_e32 v36, v36, v6
	v_sub_co_u32_e32 v36, vcc, v36, v6
	v_subb_co_u32_e32 v37, vcc, v37, v6, vcc
	v_cmp_lt_i64_e32 vcc, -1, v[36:37]
	v_mov_b32_e32 v6, 0
	s_and_saveexec_b64 s[10:11], vcc
	s_cbranch_execz .LBB52_351
; %bb.340:
	v_cmp_lt_i64_e32 vcc, 0, v[36:37]
	v_mov_b32_e32 v6, 1.0
	s_and_saveexec_b64 s[14:15], vcc
	s_cbranch_execz .LBB52_350
; %bb.341:
	v_lshlrev_b32_e32 v38, 16, v34
	v_cmp_ne_u64_e32 vcc, 1, v[36:37]
                                        ; implicit-def: $vgpr6
	s_and_saveexec_b64 s[20:21], vcc
	s_xor_b64 s[20:21], exec, s[20:21]
	s_cbranch_execz .LBB52_347
; %bb.342:
	s_mov_b64 s[22:23], 0x81
	v_cmp_gt_u64_e32 vcc, s[22:23], v[36:37]
	v_mov_b32_e32 v6, 0x7fc00000
	s_and_saveexec_b64 s[22:23], vcc
	s_cbranch_execz .LBB52_346
; %bb.343:
	s_mov_b64 s[26:27], 1
	s_mov_b64 s[24:25], 0
	v_mov_b32_e32 v39, 1.0
	v_mov_b32_e32 v6, v38
.LBB52_344:                             ; =>This Inner Loop Header: Depth=1
	s_flbit_i32_b32 s28, s27
	s_min_u32 s30, s28, 32
	s_lshl_b64 s[28:29], s[26:27], s30
	s_min_u32 s28, s28, 1
	s_or_b32 s28, s29, s28
	v_cvt_f32_u32_e32 v40, s28
	s_sub_i32 s30, 32, s30
	s_add_u32 s26, s26, 1
	s_addc_u32 s27, s27, 0
	v_ldexp_f32 v40, v40, s30
	v_cmp_eq_u64_e32 vcc, s[26:27], v[36:37]
	v_mul_f32_e32 v40, v39, v40
	s_or_b64 s[24:25], vcc, s[24:25]
	v_mov_b32_e32 v39, v6
	v_fma_f32 v6, v6, v38, -v40
	s_andn2_b64 exec, exec, s[24:25]
	s_cbranch_execnz .LBB52_344
; %bb.345:
	s_or_b64 exec, exec, s[24:25]
.LBB52_346:
	s_or_b64 exec, exec, s[22:23]
                                        ; implicit-def: $vgpr38
.LBB52_347:
	s_andn2_saveexec_b64 s[20:21], s[20:21]
; %bb.348:
	v_mov_b32_e32 v6, v38
; %bb.349:
	s_or_b64 exec, exec, s[20:21]
.LBB52_350:
	s_or_b64 exec, exec, s[14:15]
.LBB52_351:
	s_or_b64 exec, exec, s[10:11]
	v_trunc_f32_e32 v7, v7
	s_mov_b32 s10, 0x2f800000
	v_mul_f32_e64 v36, |v7|, s10
	v_floor_f32_e32 v36, v36
	s_mov_b32 s10, 0xcf800000
	v_cvt_u32_f32_e32 v37, v36
	v_fma_f32 v36, v36, s10, |v7|
	v_cvt_u32_f32_e32 v36, v36
	v_ashrrev_i32_e32 v7, 31, v7
	v_xor_b32_e32 v37, v37, v7
	v_xor_b32_e32 v36, v36, v7
	v_sub_co_u32_e32 v36, vcc, v36, v7
	v_subb_co_u32_e32 v37, vcc, v37, v7, vcc
	v_cmp_lt_i64_e32 vcc, -1, v[36:37]
	v_mov_b32_e32 v7, 0
	s_and_saveexec_b64 s[10:11], vcc
	s_cbranch_execz .LBB52_363
; %bb.352:
	v_cmp_lt_i64_e32 vcc, 0, v[36:37]
	v_mov_b32_e32 v7, 1.0
	s_and_saveexec_b64 s[14:15], vcc
	s_cbranch_execz .LBB52_362
; %bb.353:
	v_and_b32_e32 v34, 0xffff0000, v34
	v_cmp_ne_u64_e32 vcc, 1, v[36:37]
	s_and_saveexec_b64 s[20:21], vcc
	s_xor_b64 s[20:21], exec, s[20:21]
	s_cbranch_execz .LBB52_359
; %bb.354:
	s_mov_b64 s[22:23], 0x81
	v_cmp_gt_u64_e32 vcc, s[22:23], v[36:37]
	v_mov_b32_e32 v7, 0x7fc00000
	s_and_saveexec_b64 s[22:23], vcc
	s_cbranch_execz .LBB52_358
; %bb.355:
	s_mov_b64 s[26:27], 1
	s_mov_b64 s[24:25], 0
	v_mov_b32_e32 v38, 1.0
	v_mov_b32_e32 v7, v34
.LBB52_356:                             ; =>This Inner Loop Header: Depth=1
	s_flbit_i32_b32 s28, s27
	s_min_u32 s30, s28, 32
	s_lshl_b64 s[28:29], s[26:27], s30
	s_min_u32 s28, s28, 1
	s_or_b32 s28, s29, s28
	v_cvt_f32_u32_e32 v39, s28
	s_sub_i32 s30, 32, s30
	s_add_u32 s26, s26, 1
	s_addc_u32 s27, s27, 0
	v_ldexp_f32 v39, v39, s30
	v_cmp_eq_u64_e32 vcc, s[26:27], v[36:37]
	v_mul_f32_e32 v39, v38, v39
	s_or_b64 s[24:25], vcc, s[24:25]
	v_mov_b32_e32 v38, v7
	v_fma_f32 v7, v7, v34, -v39
	s_andn2_b64 exec, exec, s[24:25]
	s_cbranch_execnz .LBB52_356
; %bb.357:
	s_or_b64 exec, exec, s[24:25]
.LBB52_358:
	s_or_b64 exec, exec, s[22:23]
                                        ; implicit-def: $vgpr34
.LBB52_359:
	s_andn2_saveexec_b64 s[20:21], s[20:21]
; %bb.360:
	v_mov_b32_e32 v7, v34
; %bb.361:
	s_or_b64 exec, exec, s[20:21]
.LBB52_362:
	s_or_b64 exec, exec, s[14:15]
.LBB52_363:
	s_or_b64 exec, exec, s[10:11]
	v_trunc_f32_e32 v8, v8
	s_mov_b32 s10, 0x2f800000
	v_mul_f32_e64 v34, |v8|, s10
	v_floor_f32_e32 v34, v34
	s_mov_b32 s10, 0xcf800000
	v_cvt_u32_f32_e32 v36, v34
	v_fma_f32 v34, v34, s10, |v8|
	v_cvt_u32_f32_e32 v34, v34
	v_ashrrev_i32_e32 v8, 31, v8
	v_xor_b32_e32 v37, v36, v8
	v_xor_b32_e32 v34, v34, v8
	v_sub_co_u32_e32 v36, vcc, v34, v8
	v_subb_co_u32_e32 v37, vcc, v37, v8, vcc
	v_cmp_lt_i64_e32 vcc, -1, v[36:37]
	v_mov_b32_e32 v8, 0
	s_and_saveexec_b64 s[10:11], vcc
	s_cbranch_execz .LBB52_375
; %bb.364:
	v_cmp_lt_i64_e32 vcc, 0, v[36:37]
	v_mov_b32_e32 v8, 1.0
	s_and_saveexec_b64 s[14:15], vcc
	s_cbranch_execz .LBB52_374
; %bb.365:
	v_lshlrev_b32_e32 v34, 16, v35
	v_cmp_ne_u64_e32 vcc, 1, v[36:37]
	s_and_saveexec_b64 s[20:21], vcc
	s_xor_b64 s[20:21], exec, s[20:21]
	s_cbranch_execz .LBB52_371
; %bb.366:
	s_mov_b64 s[22:23], 0x81
	v_cmp_gt_u64_e32 vcc, s[22:23], v[36:37]
	v_mov_b32_e32 v8, 0x7fc00000
	s_and_saveexec_b64 s[22:23], vcc
	s_cbranch_execz .LBB52_370
; %bb.367:
	s_mov_b64 s[26:27], 1
	s_mov_b64 s[24:25], 0
	v_mov_b32_e32 v38, 1.0
	v_mov_b32_e32 v8, v34
.LBB52_368:                             ; =>This Inner Loop Header: Depth=1
	s_flbit_i32_b32 s28, s27
	s_min_u32 s30, s28, 32
	s_lshl_b64 s[28:29], s[26:27], s30
	s_min_u32 s28, s28, 1
	s_or_b32 s28, s29, s28
	v_cvt_f32_u32_e32 v39, s28
	s_sub_i32 s30, 32, s30
	s_add_u32 s26, s26, 1
	s_addc_u32 s27, s27, 0
	v_ldexp_f32 v39, v39, s30
	v_cmp_eq_u64_e32 vcc, s[26:27], v[36:37]
	v_mul_f32_e32 v39, v38, v39
	s_or_b64 s[24:25], vcc, s[24:25]
	v_mov_b32_e32 v38, v8
	v_fma_f32 v8, v8, v34, -v39
	s_andn2_b64 exec, exec, s[24:25]
	s_cbranch_execnz .LBB52_368
; %bb.369:
	s_or_b64 exec, exec, s[24:25]
.LBB52_370:
	s_or_b64 exec, exec, s[22:23]
                                        ; implicit-def: $vgpr34
.LBB52_371:
	s_andn2_saveexec_b64 s[20:21], s[20:21]
; %bb.372:
	v_mov_b32_e32 v8, v34
; %bb.373:
	s_or_b64 exec, exec, s[20:21]
.LBB52_374:
	s_or_b64 exec, exec, s[14:15]
.LBB52_375:
	s_or_b64 exec, exec, s[10:11]
	v_trunc_f32_e32 v9, v9
	s_mov_b32 s10, 0x2f800000
	v_mul_f32_e64 v34, |v9|, s10
	v_floor_f32_e32 v34, v34
	s_mov_b32 s10, 0xcf800000
	v_cvt_u32_f32_e32 v36, v34
	v_fma_f32 v34, v34, s10, |v9|
	v_cvt_u32_f32_e32 v34, v34
	v_ashrrev_i32_e32 v9, 31, v9
	v_xor_b32_e32 v37, v36, v9
	v_xor_b32_e32 v34, v34, v9
	v_sub_co_u32_e32 v36, vcc, v34, v9
	v_subb_co_u32_e32 v37, vcc, v37, v9, vcc
	v_cmp_lt_i64_e32 vcc, -1, v[36:37]
	v_mov_b32_e32 v9, 0
	s_and_saveexec_b64 s[10:11], vcc
	s_cbranch_execz .LBB52_387
; %bb.376:
	v_cmp_lt_i64_e32 vcc, 0, v[36:37]
	v_mov_b32_e32 v9, 1.0
	s_and_saveexec_b64 s[14:15], vcc
	s_cbranch_execz .LBB52_386
; %bb.377:
	v_and_b32_e32 v34, 0xffff0000, v35
	v_cmp_ne_u64_e32 vcc, 1, v[36:37]
	s_and_saveexec_b64 s[20:21], vcc
	s_xor_b64 s[20:21], exec, s[20:21]
	s_cbranch_execz .LBB52_383
; %bb.378:
	s_mov_b64 s[22:23], 0x81
	v_cmp_gt_u64_e32 vcc, s[22:23], v[36:37]
	v_mov_b32_e32 v9, 0x7fc00000
	s_and_saveexec_b64 s[22:23], vcc
	s_cbranch_execz .LBB52_382
; %bb.379:
	s_mov_b64 s[26:27], 1
	s_mov_b64 s[24:25], 0
	v_mov_b32_e32 v35, 1.0
	v_mov_b32_e32 v9, v34
.LBB52_380:                             ; =>This Inner Loop Header: Depth=1
	s_flbit_i32_b32 s28, s27
	s_min_u32 s30, s28, 32
	s_lshl_b64 s[28:29], s[26:27], s30
	s_min_u32 s28, s28, 1
	s_or_b32 s28, s29, s28
	v_cvt_f32_u32_e32 v38, s28
	s_sub_i32 s30, 32, s30
	s_add_u32 s26, s26, 1
	s_addc_u32 s27, s27, 0
	v_ldexp_f32 v38, v38, s30
	v_cmp_eq_u64_e32 vcc, s[26:27], v[36:37]
	v_mul_f32_e32 v38, v35, v38
	s_or_b64 s[24:25], vcc, s[24:25]
	v_mov_b32_e32 v35, v9
	v_fma_f32 v9, v9, v34, -v38
	s_andn2_b64 exec, exec, s[24:25]
	s_cbranch_execnz .LBB52_380
; %bb.381:
	s_or_b64 exec, exec, s[24:25]
.LBB52_382:
	s_or_b64 exec, exec, s[22:23]
                                        ; implicit-def: $vgpr34
.LBB52_383:
	s_andn2_saveexec_b64 s[20:21], s[20:21]
; %bb.384:
	v_mov_b32_e32 v9, v34
; %bb.385:
	s_or_b64 exec, exec, s[20:21]
.LBB52_386:
	s_or_b64 exec, exec, s[14:15]
.LBB52_387:
	s_or_b64 exec, exec, s[10:11]
	s_add_u32 s8, s16, s8
	s_addc_u32 s9, s17, s9
	v_mov_b32_e32 v34, s9
	v_add_co_u32_e32 v35, vcc, s8, v54
	v_addc_co_u32_e32 v34, vcc, 0, v34, vcc
	global_store_dwordx4 v54, v[2:5], s[8:9]
	s_nop 0
	v_add_co_u32_e32 v2, vcc, 0x2000, v35
	v_addc_co_u32_e32 v3, vcc, 0, v34, vcc
	global_store_dwordx4 v[2:3], v[10:13], off
	global_store_dwordx4 v53, v[18:21], s[8:9]
	v_add_co_u32_e32 v2, vcc, 0x6000, v35
	v_addc_co_u32_e32 v3, vcc, 0, v34, vcc
	global_store_dwordx4 v[2:3], v[26:29], off
	global_store_dwordx4 v52, v[30:33], s[8:9]
	;; [unrolled: 4-line block ×3, first 2 shown]
	v_add_co_u32_e32 v2, vcc, 0xe000, v35
	v_addc_co_u32_e32 v3, vcc, 0, v34, vcc
	global_store_dwordx4 v[2:3], v[6:9], off
	s_branch .LBB52_2
.LBB52_388:
	s_load_dword s10, s[4:5], 0x24
	s_load_dwordx4 s[20:23], s[4:5], 0x28
	s_add_u32 s8, s4, 56
	s_addc_u32 s9, s5, 0
	v_mov_b32_e32 v31, v0
	s_waitcnt lgkmcnt(0)
	v_lshrrev_b16_e64 v8, 8, s10
	v_mov_b32_e32 v0, s16
	v_mov_b32_e32 v1, s17
	v_mov_b32_e32 v2, s18
	v_mov_b32_e32 v3, s19
	v_mov_b32_e32 v4, s6
	v_mov_b32_e32 v5, s7
	v_mov_b32_e32 v6, s13
	v_mov_b32_e32 v7, s10
	v_mov_b32_e32 v9, s20
	v_mov_b32_e32 v10, s21
	v_mov_b32_e32 v11, s22
	v_mov_b32_e32 v12, s23
	s_getpc_b64 s[4:5]
	s_add_u32 s4, s4, _ZN2at6native25elementwise_kernel_helperILb1ENS0_13BinaryFunctorIfffZZZNS0_12_GLOBAL__N_133hermite_polynomial_he_kernel_cudaERNS_18TensorIteratorBaseEENKUlvE_clEvENKUlvE0_clEvEUlffE_EENS0_6memory8policies11unroll_baseILi512ESt5arrayIPcLm3EE23TrivialOffsetCalculatorILi2EjESG_ILi1EjENSA_12LoadWithCastILi2EEENSA_13StoreWithCastILi1EEELi32ELi1EEEEEvT0_T1_@rel32@lo+4
	s_addc_u32 s5, s5, _ZN2at6native25elementwise_kernel_helperILb1ENS0_13BinaryFunctorIfffZZZNS0_12_GLOBAL__N_133hermite_polynomial_he_kernel_cudaERNS_18TensorIteratorBaseEENKUlvE_clEvENKUlvE0_clEvEUlffE_EENS0_6memory8policies11unroll_baseILi512ESt5arrayIPcLm3EE23TrivialOffsetCalculatorILi2EjESG_ILi1EjENSA_12LoadWithCastILi2EEENSA_13StoreWithCastILi1EEELi32ELi1EEEEEvT0_T1_@rel32@hi+12
	s_swappc_b64 s[30:31], s[4:5]
	s_endpgm
	.section	.rodata,"a",@progbits
	.p2align	6, 0x0
	.amdhsa_kernel _ZN2at6native39vectorized_templated_elementwise_kernelILi4ENS0_13BinaryFunctorIfffZZZNS0_12_GLOBAL__N_133hermite_polynomial_he_kernel_cudaERNS_18TensorIteratorBaseEENKUlvE_clEvENKUlvE0_clEvEUlffE_EESt5arrayIPcLm3EE23TrivialOffsetCalculatorILi2EjESD_ILi1EjENS0_6memory12LoadWithCastILi2EEENSG_13StoreWithCastILi1EEEfJN3c108BFloat16EfEEEviT0_T1_T2_T3_T4_T5_
		.amdhsa_group_segment_fixed_size 0
		.amdhsa_private_segment_fixed_size 288
		.amdhsa_kernarg_size 312
		.amdhsa_user_sgpr_count 8
		.amdhsa_user_sgpr_private_segment_buffer 1
		.amdhsa_user_sgpr_dispatch_ptr 0
		.amdhsa_user_sgpr_queue_ptr 0
		.amdhsa_user_sgpr_kernarg_segment_ptr 1
		.amdhsa_user_sgpr_dispatch_id 0
		.amdhsa_user_sgpr_flat_scratch_init 1
		.amdhsa_user_sgpr_kernarg_preload_length 0
		.amdhsa_user_sgpr_kernarg_preload_offset 0
		.amdhsa_user_sgpr_private_segment_size 0
		.amdhsa_uses_dynamic_stack 0
		.amdhsa_system_sgpr_private_segment_wavefront_offset 1
		.amdhsa_system_sgpr_workgroup_id_x 1
		.amdhsa_system_sgpr_workgroup_id_y 0
		.amdhsa_system_sgpr_workgroup_id_z 0
		.amdhsa_system_sgpr_workgroup_info 0
		.amdhsa_system_vgpr_workitem_id 0
		.amdhsa_next_free_vgpr 120
		.amdhsa_next_free_sgpr 98
		.amdhsa_accum_offset 120
		.amdhsa_reserve_vcc 1
		.amdhsa_reserve_flat_scratch 1
		.amdhsa_float_round_mode_32 0
		.amdhsa_float_round_mode_16_64 0
		.amdhsa_float_denorm_mode_32 3
		.amdhsa_float_denorm_mode_16_64 3
		.amdhsa_dx10_clamp 1
		.amdhsa_ieee_mode 1
		.amdhsa_fp16_overflow 0
		.amdhsa_tg_split 0
		.amdhsa_exception_fp_ieee_invalid_op 0
		.amdhsa_exception_fp_denorm_src 0
		.amdhsa_exception_fp_ieee_div_zero 0
		.amdhsa_exception_fp_ieee_overflow 0
		.amdhsa_exception_fp_ieee_underflow 0
		.amdhsa_exception_fp_ieee_inexact 0
		.amdhsa_exception_int_div_zero 0
	.end_amdhsa_kernel
	.section	.text._ZN2at6native39vectorized_templated_elementwise_kernelILi4ENS0_13BinaryFunctorIfffZZZNS0_12_GLOBAL__N_133hermite_polynomial_he_kernel_cudaERNS_18TensorIteratorBaseEENKUlvE_clEvENKUlvE0_clEvEUlffE_EESt5arrayIPcLm3EE23TrivialOffsetCalculatorILi2EjESD_ILi1EjENS0_6memory12LoadWithCastILi2EEENSG_13StoreWithCastILi1EEEfJN3c108BFloat16EfEEEviT0_T1_T2_T3_T4_T5_,"axG",@progbits,_ZN2at6native39vectorized_templated_elementwise_kernelILi4ENS0_13BinaryFunctorIfffZZZNS0_12_GLOBAL__N_133hermite_polynomial_he_kernel_cudaERNS_18TensorIteratorBaseEENKUlvE_clEvENKUlvE0_clEvEUlffE_EESt5arrayIPcLm3EE23TrivialOffsetCalculatorILi2EjESD_ILi1EjENS0_6memory12LoadWithCastILi2EEENSG_13StoreWithCastILi1EEEfJN3c108BFloat16EfEEEviT0_T1_T2_T3_T4_T5_,comdat
.Lfunc_end52:
	.size	_ZN2at6native39vectorized_templated_elementwise_kernelILi4ENS0_13BinaryFunctorIfffZZZNS0_12_GLOBAL__N_133hermite_polynomial_he_kernel_cudaERNS_18TensorIteratorBaseEENKUlvE_clEvENKUlvE0_clEvEUlffE_EESt5arrayIPcLm3EE23TrivialOffsetCalculatorILi2EjESD_ILi1EjENS0_6memory12LoadWithCastILi2EEENSG_13StoreWithCastILi1EEEfJN3c108BFloat16EfEEEviT0_T1_T2_T3_T4_T5_, .Lfunc_end52-_ZN2at6native39vectorized_templated_elementwise_kernelILi4ENS0_13BinaryFunctorIfffZZZNS0_12_GLOBAL__N_133hermite_polynomial_he_kernel_cudaERNS_18TensorIteratorBaseEENKUlvE_clEvENKUlvE0_clEvEUlffE_EESt5arrayIPcLm3EE23TrivialOffsetCalculatorILi2EjESD_ILi1EjENS0_6memory12LoadWithCastILi2EEENSG_13StoreWithCastILi1EEEfJN3c108BFloat16EfEEEviT0_T1_T2_T3_T4_T5_
                                        ; -- End function
	.section	.AMDGPU.csdata,"",@progbits
; Kernel info:
; codeLenInByte = 9360
; NumSgprs: 104
; NumVgprs: 120
; NumAgprs: 0
; TotalNumVgprs: 120
; ScratchSize: 288
; MemoryBound: 0
; FloatMode: 240
; IeeeMode: 1
; LDSByteSize: 0 bytes/workgroup (compile time only)
; SGPRBlocks: 12
; VGPRBlocks: 14
; NumSGPRsForWavesPerEU: 104
; NumVGPRsForWavesPerEU: 120
; AccumOffset: 120
; Occupancy: 4
; WaveLimiterHint : 0
; COMPUTE_PGM_RSRC2:SCRATCH_EN: 1
; COMPUTE_PGM_RSRC2:USER_SGPR: 8
; COMPUTE_PGM_RSRC2:TRAP_HANDLER: 0
; COMPUTE_PGM_RSRC2:TGID_X_EN: 1
; COMPUTE_PGM_RSRC2:TGID_Y_EN: 0
; COMPUTE_PGM_RSRC2:TGID_Z_EN: 0
; COMPUTE_PGM_RSRC2:TIDIG_COMP_CNT: 0
; COMPUTE_PGM_RSRC3_GFX90A:ACCUM_OFFSET: 29
; COMPUTE_PGM_RSRC3_GFX90A:TG_SPLIT: 0
	.section	.text._ZN2at6native39vectorized_templated_elementwise_kernelILi2ENS0_13BinaryFunctorIfffZZZNS0_12_GLOBAL__N_133hermite_polynomial_he_kernel_cudaERNS_18TensorIteratorBaseEENKUlvE_clEvENKUlvE0_clEvEUlffE_EESt5arrayIPcLm3EE23TrivialOffsetCalculatorILi2EjESD_ILi1EjENS0_6memory12LoadWithCastILi2EEENSG_13StoreWithCastILi1EEEfJN3c108BFloat16EfEEEviT0_T1_T2_T3_T4_T5_,"axG",@progbits,_ZN2at6native39vectorized_templated_elementwise_kernelILi2ENS0_13BinaryFunctorIfffZZZNS0_12_GLOBAL__N_133hermite_polynomial_he_kernel_cudaERNS_18TensorIteratorBaseEENKUlvE_clEvENKUlvE0_clEvEUlffE_EESt5arrayIPcLm3EE23TrivialOffsetCalculatorILi2EjESD_ILi1EjENS0_6memory12LoadWithCastILi2EEENSG_13StoreWithCastILi1EEEfJN3c108BFloat16EfEEEviT0_T1_T2_T3_T4_T5_,comdat
	.globl	_ZN2at6native39vectorized_templated_elementwise_kernelILi2ENS0_13BinaryFunctorIfffZZZNS0_12_GLOBAL__N_133hermite_polynomial_he_kernel_cudaERNS_18TensorIteratorBaseEENKUlvE_clEvENKUlvE0_clEvEUlffE_EESt5arrayIPcLm3EE23TrivialOffsetCalculatorILi2EjESD_ILi1EjENS0_6memory12LoadWithCastILi2EEENSG_13StoreWithCastILi1EEEfJN3c108BFloat16EfEEEviT0_T1_T2_T3_T4_T5_ ; -- Begin function _ZN2at6native39vectorized_templated_elementwise_kernelILi2ENS0_13BinaryFunctorIfffZZZNS0_12_GLOBAL__N_133hermite_polynomial_he_kernel_cudaERNS_18TensorIteratorBaseEENKUlvE_clEvENKUlvE0_clEvEUlffE_EESt5arrayIPcLm3EE23TrivialOffsetCalculatorILi2EjESD_ILi1EjENS0_6memory12LoadWithCastILi2EEENSG_13StoreWithCastILi1EEEfJN3c108BFloat16EfEEEviT0_T1_T2_T3_T4_T5_
	.p2align	8
	.type	_ZN2at6native39vectorized_templated_elementwise_kernelILi2ENS0_13BinaryFunctorIfffZZZNS0_12_GLOBAL__N_133hermite_polynomial_he_kernel_cudaERNS_18TensorIteratorBaseEENKUlvE_clEvENKUlvE0_clEvEUlffE_EESt5arrayIPcLm3EE23TrivialOffsetCalculatorILi2EjESD_ILi1EjENS0_6memory12LoadWithCastILi2EEENSG_13StoreWithCastILi1EEEfJN3c108BFloat16EfEEEviT0_T1_T2_T3_T4_T5_,@function
_ZN2at6native39vectorized_templated_elementwise_kernelILi2ENS0_13BinaryFunctorIfffZZZNS0_12_GLOBAL__N_133hermite_polynomial_he_kernel_cudaERNS_18TensorIteratorBaseEENKUlvE_clEvENKUlvE0_clEvEUlffE_EESt5arrayIPcLm3EE23TrivialOffsetCalculatorILi2EjESD_ILi1EjENS0_6memory12LoadWithCastILi2EEENSG_13StoreWithCastILi1EEEfJN3c108BFloat16EfEEEviT0_T1_T2_T3_T4_T5_: ; @_ZN2at6native39vectorized_templated_elementwise_kernelILi2ENS0_13BinaryFunctorIfffZZZNS0_12_GLOBAL__N_133hermite_polynomial_he_kernel_cudaERNS_18TensorIteratorBaseEENKUlvE_clEvENKUlvE0_clEvEUlffE_EESt5arrayIPcLm3EE23TrivialOffsetCalculatorILi2EjESD_ILi1EjENS0_6memory12LoadWithCastILi2EEENSG_13StoreWithCastILi1EEEfJN3c108BFloat16EfEEEviT0_T1_T2_T3_T4_T5_
; %bb.0:
	s_add_u32 flat_scratch_lo, s6, s9
	s_addc_u32 flat_scratch_hi, s7, 0
	s_add_u32 s0, s0, s9
	s_mov_b32 s12, s8
	s_load_dword s8, s[4:5], 0x38
	s_load_dwordx2 s[6:7], s[4:5], 0x18
	s_load_dword s9, s[4:5], 0x0
	s_load_dwordx4 s[16:19], s[4:5], 0x8
	s_addc_u32 s1, s1, 0
	s_not_b32 s10, s12
	s_waitcnt lgkmcnt(0)
	s_add_i32 s8, s8, s10
	s_lshl_b32 s8, s8, 14
	s_sub_i32 s13, s9, s8
	s_cmpk_gt_i32 s13, 0x3fff
	s_mov_b64 s[10:11], -1
	s_mov_b32 s32, 0
	s_cbranch_scc1 .LBB53_3
; %bb.1:
	s_and_b64 vcc, exec, s[10:11]
	s_cbranch_vccnz .LBB53_388
.LBB53_2:
	s_endpgm
.LBB53_3:
	s_ashr_i32 s9, s8, 31
	s_lshl_b64 s[10:11], s[8:9], 1
	s_add_u32 s14, s18, s10
	s_addc_u32 s15, s19, s11
	v_lshlrev_b32_e32 v1, 2, v0
	v_mov_b32_e32 v2, s15
	v_add_co_u32_e32 v10, vcc, s14, v1
	v_addc_co_u32_e32 v11, vcc, 0, v2, vcc
	s_movk_i32 s20, 0x1000
	v_add_co_u32_e32 v2, vcc, s20, v10
	v_addc_co_u32_e32 v3, vcc, 0, v11, vcc
	s_movk_i32 s10, 0x2000
	;; [unrolled: 3-line block ×3, first 2 shown]
	v_add_co_u32_e32 v6, vcc, s21, v10
	v_or_b32_e32 v12, 0x400, v0
	v_or_b32_e32 v13, 0x800, v0
	;; [unrolled: 1-line block ×3, first 2 shown]
	v_addc_co_u32_e32 v7, vcc, 0, v11, vcc
	s_movk_i32 s10, 0x4000
	s_lshl_b64 s[8:9], s[8:9], 2
	v_lshlrev_b32_e32 v8, 2, v12
	v_lshlrev_b32_e32 v9, 2, v13
	;; [unrolled: 1-line block ×3, first 2 shown]
	global_load_dword v58, v1, s[14:15]
	global_load_dword v57, v1, s[14:15] offset:2048
	global_load_dword v56, v8, s[14:15]
	global_load_dword v55, v[2:3], off offset:2048
	global_load_dword v54, v9, s[14:15]
	global_load_dword v53, v[4:5], off offset:2048
	;; [unrolled: 2-line block ×3, first 2 shown]
	v_add_co_u32_e32 v4, vcc, s10, v10
	s_add_u32 s10, s6, s8
	s_addc_u32 s11, s7, s9
	v_lshlrev_b32_e32 v1, 3, v0
	global_load_dwordx2 v[2:3], v1, s[10:11]
	v_addc_co_u32_e32 v5, vcc, 0, v11, vcc
	s_movk_i32 s22, 0x5000
	v_add_co_u32_e32 v6, vcc, s22, v10
	v_addc_co_u32_e32 v7, vcc, 0, v11, vcc
	s_movk_i32 s23, 0x6000
	v_add_co_u32_e32 v8, vcc, s23, v10
	v_addc_co_u32_e32 v9, vcc, 0, v11, vcc
	s_movk_i32 s23, 0x7000
	v_or_b32_e32 v17, 0x1000, v0
	v_add_co_u32_e32 v10, vcc, s23, v10
	v_lshlrev_b32_e32 v14, 2, v17
	v_or_b32_e32 v20, 0x1400, v0
	v_or_b32_e32 v34, 0x1800, v0
	;; [unrolled: 1-line block ×3, first 2 shown]
	v_addc_co_u32_e32 v11, vcc, 0, v11, vcc
	v_lshlrev_b32_e32 v15, 2, v20
	v_lshlrev_b32_e32 v18, 2, v34
	;; [unrolled: 1-line block ×3, first 2 shown]
	global_load_dword v50, v14, s[14:15]
	global_load_dword v49, v[4:5], off offset:2048
	global_load_dword v48, v15, s[14:15]
	global_load_dword v47, v[6:7], off offset:2048
	;; [unrolled: 2-line block ×4, first 2 shown]
	v_mov_b32_e32 v4, s11
	v_add_co_u32_e32 v59, vcc, s10, v1
	v_addc_co_u32_e32 v63, vcc, 0, v4, vcc
	v_add_co_u32_e32 v4, vcc, s20, v59
	v_addc_co_u32_e32 v5, vcc, 0, v63, vcc
	v_add_co_u32_e32 v8, vcc, s21, v59
	v_addc_co_u32_e32 v9, vcc, 0, v63, vcc
	v_lshlrev_b32_e32 v41, 3, v12
	global_load_dwordx2 v[6:7], v[4:5], off
	global_load_dwordx2 v[10:11], v41, s[10:11]
	global_load_dwordx2 v[14:15], v[8:9], off
	v_add_co_u32_e32 v4, vcc, s22, v59
	v_addc_co_u32_e32 v5, vcc, 0, v63, vcc
	v_add_co_u32_e32 v8, vcc, s23, v59
	v_lshlrev_b32_e32 v42, 3, v13
	v_addc_co_u32_e32 v9, vcc, 0, v63, vcc
	s_mov_b32 s14, 0x9000
	v_lshlrev_b32_e32 v38, 3, v16
	global_load_dwordx2 v[18:19], v42, s[10:11]
	global_load_dwordx2 v[22:23], v[4:5], off
	global_load_dwordx2 v[26:27], v38, s[10:11]
	global_load_dwordx2 v[30:31], v[8:9], off
	v_add_co_u32_e32 v4, vcc, s14, v59
	v_addc_co_u32_e32 v5, vcc, 0, v63, vcc
	s_mov_b32 s14, 0xb000
	v_lshlrev_b32_e32 v40, 3, v17
	v_add_co_u32_e32 v8, vcc, s14, v59
	s_mov_b32 s15, 0x2f800000
	v_lshlrev_b32_e32 v37, 3, v20
	v_addc_co_u32_e32 v9, vcc, 0, v63, vcc
	global_load_dwordx2 v[32:33], v40, s[10:11]
	global_load_dwordx2 v[28:29], v[4:5], off
	global_load_dwordx2 v[24:25], v37, s[10:11]
	global_load_dwordx2 v[20:21], v[8:9], off
	s_mov_b32 s14, 0xd000
	v_add_co_u32_e32 v60, vcc, s14, v59
	v_addc_co_u32_e32 v61, vcc, 0, v63, vcc
	s_mov_b32 s14, 0xf000
	v_add_co_u32_e32 v62, vcc, s14, v59
	v_addc_co_u32_e32 v63, vcc, 0, v63, vcc
	v_lshlrev_b32_e32 v39, 3, v34
	v_lshlrev_b32_e32 v36, 3, v35
	s_waitcnt vmcnt(19)
	v_trunc_f32_e32 v2, v2
	v_mul_f32_e64 v4, |v2|, s15
	v_floor_f32_e32 v4, v4
	s_mov_b32 s15, 0xcf800000
	v_fma_f32 v5, v4, s15, |v2|
	v_cvt_u32_f32_e32 v5, v5
	v_cvt_u32_f32_e32 v4, v4
	v_ashrrev_i32_e32 v2, 31, v2
	v_xor_b32_e32 v5, v5, v2
	v_xor_b32_e32 v4, v4, v2
	v_sub_co_u32_e32 v34, vcc, v5, v2
	v_subb_co_u32_e32 v35, vcc, v4, v2, vcc
	global_load_dwordx2 v[16:17], v39, s[10:11]
	global_load_dwordx2 v[12:13], v[60:61], off
	global_load_dwordx2 v[8:9], v36, s[10:11]
	global_load_dwordx2 v[4:5], v[62:63], off
	v_cmp_lt_i64_e32 vcc, -1, v[34:35]
	v_mov_b32_e32 v2, 0
	s_and_saveexec_b64 s[10:11], vcc
	s_cbranch_execz .LBB53_15
; %bb.4:
	v_cmp_lt_i64_e32 vcc, 0, v[34:35]
	v_mov_b32_e32 v2, 1.0
	s_and_saveexec_b64 s[14:15], vcc
	s_cbranch_execz .LBB53_14
; %bb.5:
	v_lshlrev_b32_e32 v59, 16, v58
	v_cmp_ne_u64_e32 vcc, 1, v[34:35]
                                        ; implicit-def: $vgpr2
	s_and_saveexec_b64 s[20:21], vcc
	s_xor_b64 s[20:21], exec, s[20:21]
	s_cbranch_execz .LBB53_11
; %bb.6:
	s_mov_b64 s[22:23], 0x81
	v_cmp_gt_u64_e32 vcc, s[22:23], v[34:35]
	v_mov_b32_e32 v2, 0x7fc00000
	s_and_saveexec_b64 s[22:23], vcc
	s_cbranch_execz .LBB53_10
; %bb.7:
	s_mov_b64 s[26:27], 1
	s_mov_b64 s[24:25], 0
	v_mov_b32_e32 v60, 1.0
	v_mov_b32_e32 v2, v59
.LBB53_8:                               ; =>This Inner Loop Header: Depth=1
	s_flbit_i32_b32 s28, s27
	s_min_u32 s30, s28, 32
	s_lshl_b64 s[28:29], s[26:27], s30
	s_min_u32 s28, s28, 1
	s_or_b32 s28, s29, s28
	v_cvt_f32_u32_e32 v61, s28
	s_sub_i32 s30, 32, s30
	s_add_u32 s26, s26, 1
	s_addc_u32 s27, s27, 0
	v_ldexp_f32 v61, v61, s30
	v_cmp_eq_u64_e32 vcc, s[26:27], v[34:35]
	v_mul_f32_e32 v61, v60, v61
	s_or_b64 s[24:25], vcc, s[24:25]
	v_mov_b32_e32 v60, v2
	v_fma_f32 v2, v2, v59, -v61
	s_andn2_b64 exec, exec, s[24:25]
	s_cbranch_execnz .LBB53_8
; %bb.9:
	s_or_b64 exec, exec, s[24:25]
.LBB53_10:
	s_or_b64 exec, exec, s[22:23]
                                        ; implicit-def: $vgpr59
.LBB53_11:
	s_andn2_saveexec_b64 s[20:21], s[20:21]
; %bb.12:
	v_mov_b32_e32 v2, v59
; %bb.13:
	s_or_b64 exec, exec, s[20:21]
.LBB53_14:
	s_or_b64 exec, exec, s[14:15]
.LBB53_15:
	s_or_b64 exec, exec, s[10:11]
	v_trunc_f32_e32 v3, v3
	s_mov_b32 s10, 0x2f800000
	v_mul_f32_e64 v34, |v3|, s10
	v_floor_f32_e32 v34, v34
	s_mov_b32 s10, 0xcf800000
	v_cvt_u32_f32_e32 v35, v34
	v_fma_f32 v34, v34, s10, |v3|
	v_cvt_u32_f32_e32 v34, v34
	v_ashrrev_i32_e32 v3, 31, v3
	v_xor_b32_e32 v35, v35, v3
	v_xor_b32_e32 v34, v34, v3
	v_sub_co_u32_e32 v34, vcc, v34, v3
	v_subb_co_u32_e32 v35, vcc, v35, v3, vcc
	v_cmp_lt_i64_e32 vcc, -1, v[34:35]
	v_mov_b32_e32 v3, 0
	s_and_saveexec_b64 s[10:11], vcc
	s_cbranch_execz .LBB53_27
; %bb.16:
	v_cmp_lt_i64_e32 vcc, 0, v[34:35]
	v_mov_b32_e32 v3, 1.0
	s_and_saveexec_b64 s[14:15], vcc
	s_cbranch_execz .LBB53_26
; %bb.17:
	v_and_b32_e32 v58, 0xffff0000, v58
	v_cmp_ne_u64_e32 vcc, 1, v[34:35]
	s_and_saveexec_b64 s[20:21], vcc
	s_xor_b64 s[20:21], exec, s[20:21]
	s_cbranch_execz .LBB53_23
; %bb.18:
	s_mov_b64 s[22:23], 0x81
	v_cmp_gt_u64_e32 vcc, s[22:23], v[34:35]
	v_mov_b32_e32 v3, 0x7fc00000
	s_and_saveexec_b64 s[22:23], vcc
	s_cbranch_execz .LBB53_22
; %bb.19:
	s_mov_b64 s[26:27], 1
	s_mov_b64 s[24:25], 0
	v_mov_b32_e32 v59, 1.0
	v_mov_b32_e32 v3, v58
.LBB53_20:                              ; =>This Inner Loop Header: Depth=1
	s_flbit_i32_b32 s28, s27
	s_min_u32 s30, s28, 32
	s_lshl_b64 s[28:29], s[26:27], s30
	s_min_u32 s28, s28, 1
	s_or_b32 s28, s29, s28
	v_cvt_f32_u32_e32 v60, s28
	s_sub_i32 s30, 32, s30
	s_add_u32 s26, s26, 1
	s_addc_u32 s27, s27, 0
	v_ldexp_f32 v60, v60, s30
	v_cmp_eq_u64_e32 vcc, s[26:27], v[34:35]
	v_mul_f32_e32 v60, v59, v60
	s_or_b64 s[24:25], vcc, s[24:25]
	v_mov_b32_e32 v59, v3
	v_fma_f32 v3, v3, v58, -v60
	s_andn2_b64 exec, exec, s[24:25]
	s_cbranch_execnz .LBB53_20
; %bb.21:
	s_or_b64 exec, exec, s[24:25]
.LBB53_22:
	s_or_b64 exec, exec, s[22:23]
                                        ; implicit-def: $vgpr58
.LBB53_23:
	s_andn2_saveexec_b64 s[20:21], s[20:21]
; %bb.24:
	v_mov_b32_e32 v3, v58
; %bb.25:
	s_or_b64 exec, exec, s[20:21]
.LBB53_26:
	s_or_b64 exec, exec, s[14:15]
.LBB53_27:
	s_or_b64 exec, exec, s[10:11]
	s_waitcnt vmcnt(14)
	v_trunc_f32_e32 v6, v6
	s_mov_b32 s10, 0x2f800000
	v_mul_f32_e64 v34, |v6|, s10
	v_floor_f32_e32 v34, v34
	s_mov_b32 s10, 0xcf800000
	v_cvt_u32_f32_e32 v35, v34
	v_fma_f32 v34, v34, s10, |v6|
	v_cvt_u32_f32_e32 v34, v34
	v_ashrrev_i32_e32 v6, 31, v6
	v_xor_b32_e32 v35, v35, v6
	v_xor_b32_e32 v34, v34, v6
	v_sub_co_u32_e32 v34, vcc, v34, v6
	v_subb_co_u32_e32 v35, vcc, v35, v6, vcc
	v_cmp_lt_i64_e32 vcc, -1, v[34:35]
	v_mov_b32_e32 v6, 0
	s_and_saveexec_b64 s[10:11], vcc
	s_cbranch_execz .LBB53_39
; %bb.28:
	v_cmp_lt_i64_e32 vcc, 0, v[34:35]
	v_mov_b32_e32 v6, 1.0
	s_and_saveexec_b64 s[14:15], vcc
	s_cbranch_execz .LBB53_38
; %bb.29:
	v_lshlrev_b32_e32 v58, 16, v57
	v_cmp_ne_u64_e32 vcc, 1, v[34:35]
                                        ; implicit-def: $vgpr6
	s_and_saveexec_b64 s[20:21], vcc
	s_xor_b64 s[20:21], exec, s[20:21]
	s_cbranch_execz .LBB53_35
; %bb.30:
	s_mov_b64 s[22:23], 0x81
	v_cmp_gt_u64_e32 vcc, s[22:23], v[34:35]
	v_mov_b32_e32 v6, 0x7fc00000
	s_and_saveexec_b64 s[22:23], vcc
	s_cbranch_execz .LBB53_34
; %bb.31:
	s_mov_b64 s[26:27], 1
	s_mov_b64 s[24:25], 0
	v_mov_b32_e32 v59, 1.0
	v_mov_b32_e32 v6, v58
.LBB53_32:                              ; =>This Inner Loop Header: Depth=1
	s_flbit_i32_b32 s28, s27
	s_min_u32 s30, s28, 32
	s_lshl_b64 s[28:29], s[26:27], s30
	s_min_u32 s28, s28, 1
	s_or_b32 s28, s29, s28
	v_cvt_f32_u32_e32 v60, s28
	s_sub_i32 s30, 32, s30
	s_add_u32 s26, s26, 1
	s_addc_u32 s27, s27, 0
	v_ldexp_f32 v60, v60, s30
	v_cmp_eq_u64_e32 vcc, s[26:27], v[34:35]
	v_mul_f32_e32 v60, v59, v60
	s_or_b64 s[24:25], vcc, s[24:25]
	v_mov_b32_e32 v59, v6
	v_fma_f32 v6, v6, v58, -v60
	s_andn2_b64 exec, exec, s[24:25]
	s_cbranch_execnz .LBB53_32
; %bb.33:
	s_or_b64 exec, exec, s[24:25]
.LBB53_34:
	s_or_b64 exec, exec, s[22:23]
                                        ; implicit-def: $vgpr58
.LBB53_35:
	s_andn2_saveexec_b64 s[20:21], s[20:21]
; %bb.36:
	v_mov_b32_e32 v6, v58
; %bb.37:
	s_or_b64 exec, exec, s[20:21]
.LBB53_38:
	s_or_b64 exec, exec, s[14:15]
.LBB53_39:
	s_or_b64 exec, exec, s[10:11]
	v_trunc_f32_e32 v7, v7
	s_mov_b32 s10, 0x2f800000
	v_mul_f32_e64 v34, |v7|, s10
	v_floor_f32_e32 v34, v34
	s_mov_b32 s10, 0xcf800000
	v_cvt_u32_f32_e32 v35, v34
	v_fma_f32 v34, v34, s10, |v7|
	v_cvt_u32_f32_e32 v34, v34
	v_ashrrev_i32_e32 v7, 31, v7
	v_xor_b32_e32 v35, v35, v7
	v_xor_b32_e32 v34, v34, v7
	v_sub_co_u32_e32 v34, vcc, v34, v7
	v_subb_co_u32_e32 v35, vcc, v35, v7, vcc
	v_cmp_lt_i64_e32 vcc, -1, v[34:35]
	v_mov_b32_e32 v7, 0
	s_and_saveexec_b64 s[10:11], vcc
	s_cbranch_execz .LBB53_51
; %bb.40:
	v_cmp_lt_i64_e32 vcc, 0, v[34:35]
	v_mov_b32_e32 v7, 1.0
	s_and_saveexec_b64 s[14:15], vcc
	s_cbranch_execz .LBB53_50
; %bb.41:
	v_and_b32_e32 v57, 0xffff0000, v57
	v_cmp_ne_u64_e32 vcc, 1, v[34:35]
	s_and_saveexec_b64 s[20:21], vcc
	s_xor_b64 s[20:21], exec, s[20:21]
	s_cbranch_execz .LBB53_47
; %bb.42:
	s_mov_b64 s[22:23], 0x81
	v_cmp_gt_u64_e32 vcc, s[22:23], v[34:35]
	v_mov_b32_e32 v7, 0x7fc00000
	s_and_saveexec_b64 s[22:23], vcc
	s_cbranch_execz .LBB53_46
; %bb.43:
	s_mov_b64 s[26:27], 1
	s_mov_b64 s[24:25], 0
	v_mov_b32_e32 v58, 1.0
	v_mov_b32_e32 v7, v57
.LBB53_44:                              ; =>This Inner Loop Header: Depth=1
	s_flbit_i32_b32 s28, s27
	s_min_u32 s30, s28, 32
	s_lshl_b64 s[28:29], s[26:27], s30
	s_min_u32 s28, s28, 1
	s_or_b32 s28, s29, s28
	v_cvt_f32_u32_e32 v59, s28
	s_sub_i32 s30, 32, s30
	s_add_u32 s26, s26, 1
	s_addc_u32 s27, s27, 0
	v_ldexp_f32 v59, v59, s30
	v_cmp_eq_u64_e32 vcc, s[26:27], v[34:35]
	v_mul_f32_e32 v59, v58, v59
	s_or_b64 s[24:25], vcc, s[24:25]
	v_mov_b32_e32 v58, v7
	v_fma_f32 v7, v7, v57, -v59
	s_andn2_b64 exec, exec, s[24:25]
	s_cbranch_execnz .LBB53_44
; %bb.45:
	s_or_b64 exec, exec, s[24:25]
.LBB53_46:
	s_or_b64 exec, exec, s[22:23]
                                        ; implicit-def: $vgpr57
.LBB53_47:
	s_andn2_saveexec_b64 s[20:21], s[20:21]
; %bb.48:
	v_mov_b32_e32 v7, v57
; %bb.49:
	s_or_b64 exec, exec, s[20:21]
.LBB53_50:
	s_or_b64 exec, exec, s[14:15]
.LBB53_51:
	s_or_b64 exec, exec, s[10:11]
	s_waitcnt vmcnt(13)
	v_trunc_f32_e32 v10, v10
	s_mov_b32 s10, 0x2f800000
	v_mul_f32_e64 v34, |v10|, s10
	v_floor_f32_e32 v34, v34
	s_mov_b32 s10, 0xcf800000
	v_cvt_u32_f32_e32 v35, v34
	v_fma_f32 v34, v34, s10, |v10|
	v_cvt_u32_f32_e32 v34, v34
	v_ashrrev_i32_e32 v10, 31, v10
	v_xor_b32_e32 v35, v35, v10
	v_xor_b32_e32 v34, v34, v10
	v_sub_co_u32_e32 v34, vcc, v34, v10
	v_subb_co_u32_e32 v35, vcc, v35, v10, vcc
	v_cmp_lt_i64_e32 vcc, -1, v[34:35]
	v_mov_b32_e32 v10, 0
	s_and_saveexec_b64 s[10:11], vcc
	s_cbranch_execz .LBB53_63
; %bb.52:
	v_cmp_lt_i64_e32 vcc, 0, v[34:35]
	v_mov_b32_e32 v10, 1.0
	s_and_saveexec_b64 s[14:15], vcc
	s_cbranch_execz .LBB53_62
; %bb.53:
	v_lshlrev_b32_e32 v57, 16, v56
	v_cmp_ne_u64_e32 vcc, 1, v[34:35]
                                        ; implicit-def: $vgpr10
	s_and_saveexec_b64 s[20:21], vcc
	s_xor_b64 s[20:21], exec, s[20:21]
	s_cbranch_execz .LBB53_59
; %bb.54:
	s_mov_b64 s[22:23], 0x81
	v_cmp_gt_u64_e32 vcc, s[22:23], v[34:35]
	v_mov_b32_e32 v10, 0x7fc00000
	s_and_saveexec_b64 s[22:23], vcc
	s_cbranch_execz .LBB53_58
; %bb.55:
	s_mov_b64 s[26:27], 1
	s_mov_b64 s[24:25], 0
	v_mov_b32_e32 v58, 1.0
	v_mov_b32_e32 v10, v57
.LBB53_56:                              ; =>This Inner Loop Header: Depth=1
	s_flbit_i32_b32 s28, s27
	s_min_u32 s30, s28, 32
	s_lshl_b64 s[28:29], s[26:27], s30
	s_min_u32 s28, s28, 1
	s_or_b32 s28, s29, s28
	v_cvt_f32_u32_e32 v59, s28
	s_sub_i32 s30, 32, s30
	s_add_u32 s26, s26, 1
	s_addc_u32 s27, s27, 0
	v_ldexp_f32 v59, v59, s30
	v_cmp_eq_u64_e32 vcc, s[26:27], v[34:35]
	v_mul_f32_e32 v59, v58, v59
	s_or_b64 s[24:25], vcc, s[24:25]
	v_mov_b32_e32 v58, v10
	v_fma_f32 v10, v10, v57, -v59
	s_andn2_b64 exec, exec, s[24:25]
	s_cbranch_execnz .LBB53_56
; %bb.57:
	s_or_b64 exec, exec, s[24:25]
.LBB53_58:
	s_or_b64 exec, exec, s[22:23]
                                        ; implicit-def: $vgpr57
.LBB53_59:
	s_andn2_saveexec_b64 s[20:21], s[20:21]
; %bb.60:
	v_mov_b32_e32 v10, v57
; %bb.61:
	s_or_b64 exec, exec, s[20:21]
.LBB53_62:
	s_or_b64 exec, exec, s[14:15]
.LBB53_63:
	s_or_b64 exec, exec, s[10:11]
	v_trunc_f32_e32 v11, v11
	s_mov_b32 s10, 0x2f800000
	v_mul_f32_e64 v34, |v11|, s10
	v_floor_f32_e32 v34, v34
	s_mov_b32 s10, 0xcf800000
	v_cvt_u32_f32_e32 v35, v34
	v_fma_f32 v34, v34, s10, |v11|
	v_cvt_u32_f32_e32 v34, v34
	v_ashrrev_i32_e32 v11, 31, v11
	v_xor_b32_e32 v35, v35, v11
	v_xor_b32_e32 v34, v34, v11
	v_sub_co_u32_e32 v34, vcc, v34, v11
	v_subb_co_u32_e32 v35, vcc, v35, v11, vcc
	v_cmp_lt_i64_e32 vcc, -1, v[34:35]
	v_mov_b32_e32 v11, 0
	s_and_saveexec_b64 s[10:11], vcc
	s_cbranch_execz .LBB53_75
; %bb.64:
	v_cmp_lt_i64_e32 vcc, 0, v[34:35]
	v_mov_b32_e32 v11, 1.0
	s_and_saveexec_b64 s[14:15], vcc
	s_cbranch_execz .LBB53_74
; %bb.65:
	v_and_b32_e32 v56, 0xffff0000, v56
	v_cmp_ne_u64_e32 vcc, 1, v[34:35]
	s_and_saveexec_b64 s[20:21], vcc
	s_xor_b64 s[20:21], exec, s[20:21]
	s_cbranch_execz .LBB53_71
; %bb.66:
	s_mov_b64 s[22:23], 0x81
	v_cmp_gt_u64_e32 vcc, s[22:23], v[34:35]
	v_mov_b32_e32 v11, 0x7fc00000
	s_and_saveexec_b64 s[22:23], vcc
	s_cbranch_execz .LBB53_70
; %bb.67:
	s_mov_b64 s[26:27], 1
	s_mov_b64 s[24:25], 0
	v_mov_b32_e32 v57, 1.0
	v_mov_b32_e32 v11, v56
.LBB53_68:                              ; =>This Inner Loop Header: Depth=1
	s_flbit_i32_b32 s28, s27
	s_min_u32 s30, s28, 32
	s_lshl_b64 s[28:29], s[26:27], s30
	s_min_u32 s28, s28, 1
	s_or_b32 s28, s29, s28
	v_cvt_f32_u32_e32 v58, s28
	s_sub_i32 s30, 32, s30
	s_add_u32 s26, s26, 1
	s_addc_u32 s27, s27, 0
	v_ldexp_f32 v58, v58, s30
	v_cmp_eq_u64_e32 vcc, s[26:27], v[34:35]
	v_mul_f32_e32 v58, v57, v58
	s_or_b64 s[24:25], vcc, s[24:25]
	v_mov_b32_e32 v57, v11
	v_fma_f32 v11, v11, v56, -v58
	s_andn2_b64 exec, exec, s[24:25]
	s_cbranch_execnz .LBB53_68
; %bb.69:
	s_or_b64 exec, exec, s[24:25]
.LBB53_70:
	s_or_b64 exec, exec, s[22:23]
                                        ; implicit-def: $vgpr56
.LBB53_71:
	s_andn2_saveexec_b64 s[20:21], s[20:21]
; %bb.72:
	v_mov_b32_e32 v11, v56
; %bb.73:
	s_or_b64 exec, exec, s[20:21]
.LBB53_74:
	s_or_b64 exec, exec, s[14:15]
.LBB53_75:
	s_or_b64 exec, exec, s[10:11]
	s_waitcnt vmcnt(12)
	v_trunc_f32_e32 v14, v14
	s_mov_b32 s10, 0x2f800000
	v_mul_f32_e64 v34, |v14|, s10
	v_floor_f32_e32 v34, v34
	s_mov_b32 s10, 0xcf800000
	v_cvt_u32_f32_e32 v35, v34
	v_fma_f32 v34, v34, s10, |v14|
	v_cvt_u32_f32_e32 v34, v34
	v_ashrrev_i32_e32 v14, 31, v14
	v_xor_b32_e32 v35, v35, v14
	v_xor_b32_e32 v34, v34, v14
	v_sub_co_u32_e32 v34, vcc, v34, v14
	v_subb_co_u32_e32 v35, vcc, v35, v14, vcc
	v_cmp_lt_i64_e32 vcc, -1, v[34:35]
	v_mov_b32_e32 v14, 0
	s_and_saveexec_b64 s[10:11], vcc
	s_cbranch_execz .LBB53_87
; %bb.76:
	v_cmp_lt_i64_e32 vcc, 0, v[34:35]
	v_mov_b32_e32 v14, 1.0
	s_and_saveexec_b64 s[14:15], vcc
	s_cbranch_execz .LBB53_86
; %bb.77:
	v_lshlrev_b32_e32 v56, 16, v55
	v_cmp_ne_u64_e32 vcc, 1, v[34:35]
                                        ; implicit-def: $vgpr14
	s_and_saveexec_b64 s[20:21], vcc
	s_xor_b64 s[20:21], exec, s[20:21]
	s_cbranch_execz .LBB53_83
; %bb.78:
	s_mov_b64 s[22:23], 0x81
	v_cmp_gt_u64_e32 vcc, s[22:23], v[34:35]
	v_mov_b32_e32 v14, 0x7fc00000
	s_and_saveexec_b64 s[22:23], vcc
	s_cbranch_execz .LBB53_82
; %bb.79:
	s_mov_b64 s[26:27], 1
	s_mov_b64 s[24:25], 0
	v_mov_b32_e32 v57, 1.0
	v_mov_b32_e32 v14, v56
.LBB53_80:                              ; =>This Inner Loop Header: Depth=1
	s_flbit_i32_b32 s28, s27
	s_min_u32 s30, s28, 32
	s_lshl_b64 s[28:29], s[26:27], s30
	s_min_u32 s28, s28, 1
	s_or_b32 s28, s29, s28
	v_cvt_f32_u32_e32 v58, s28
	s_sub_i32 s30, 32, s30
	s_add_u32 s26, s26, 1
	s_addc_u32 s27, s27, 0
	v_ldexp_f32 v58, v58, s30
	v_cmp_eq_u64_e32 vcc, s[26:27], v[34:35]
	v_mul_f32_e32 v58, v57, v58
	s_or_b64 s[24:25], vcc, s[24:25]
	v_mov_b32_e32 v57, v14
	v_fma_f32 v14, v14, v56, -v58
	s_andn2_b64 exec, exec, s[24:25]
	s_cbranch_execnz .LBB53_80
; %bb.81:
	s_or_b64 exec, exec, s[24:25]
.LBB53_82:
	s_or_b64 exec, exec, s[22:23]
                                        ; implicit-def: $vgpr56
.LBB53_83:
	s_andn2_saveexec_b64 s[20:21], s[20:21]
; %bb.84:
	v_mov_b32_e32 v14, v56
; %bb.85:
	s_or_b64 exec, exec, s[20:21]
.LBB53_86:
	s_or_b64 exec, exec, s[14:15]
.LBB53_87:
	s_or_b64 exec, exec, s[10:11]
	v_trunc_f32_e32 v15, v15
	s_mov_b32 s10, 0x2f800000
	v_mul_f32_e64 v34, |v15|, s10
	v_floor_f32_e32 v34, v34
	s_mov_b32 s10, 0xcf800000
	v_cvt_u32_f32_e32 v35, v34
	v_fma_f32 v34, v34, s10, |v15|
	v_cvt_u32_f32_e32 v34, v34
	v_ashrrev_i32_e32 v15, 31, v15
	v_xor_b32_e32 v35, v35, v15
	v_xor_b32_e32 v34, v34, v15
	v_sub_co_u32_e32 v34, vcc, v34, v15
	v_subb_co_u32_e32 v35, vcc, v35, v15, vcc
	v_cmp_lt_i64_e32 vcc, -1, v[34:35]
	v_mov_b32_e32 v15, 0
	s_and_saveexec_b64 s[10:11], vcc
	s_cbranch_execz .LBB53_99
; %bb.88:
	v_cmp_lt_i64_e32 vcc, 0, v[34:35]
	v_mov_b32_e32 v15, 1.0
	s_and_saveexec_b64 s[14:15], vcc
	s_cbranch_execz .LBB53_98
; %bb.89:
	v_and_b32_e32 v55, 0xffff0000, v55
	v_cmp_ne_u64_e32 vcc, 1, v[34:35]
	s_and_saveexec_b64 s[20:21], vcc
	s_xor_b64 s[20:21], exec, s[20:21]
	s_cbranch_execz .LBB53_95
; %bb.90:
	s_mov_b64 s[22:23], 0x81
	v_cmp_gt_u64_e32 vcc, s[22:23], v[34:35]
	v_mov_b32_e32 v15, 0x7fc00000
	s_and_saveexec_b64 s[22:23], vcc
	s_cbranch_execz .LBB53_94
; %bb.91:
	s_mov_b64 s[26:27], 1
	s_mov_b64 s[24:25], 0
	v_mov_b32_e32 v56, 1.0
	v_mov_b32_e32 v15, v55
.LBB53_92:                              ; =>This Inner Loop Header: Depth=1
	s_flbit_i32_b32 s28, s27
	s_min_u32 s30, s28, 32
	s_lshl_b64 s[28:29], s[26:27], s30
	s_min_u32 s28, s28, 1
	s_or_b32 s28, s29, s28
	v_cvt_f32_u32_e32 v57, s28
	s_sub_i32 s30, 32, s30
	s_add_u32 s26, s26, 1
	s_addc_u32 s27, s27, 0
	v_ldexp_f32 v57, v57, s30
	v_cmp_eq_u64_e32 vcc, s[26:27], v[34:35]
	v_mul_f32_e32 v57, v56, v57
	s_or_b64 s[24:25], vcc, s[24:25]
	v_mov_b32_e32 v56, v15
	v_fma_f32 v15, v15, v55, -v57
	s_andn2_b64 exec, exec, s[24:25]
	s_cbranch_execnz .LBB53_92
; %bb.93:
	s_or_b64 exec, exec, s[24:25]
.LBB53_94:
	s_or_b64 exec, exec, s[22:23]
                                        ; implicit-def: $vgpr55
.LBB53_95:
	s_andn2_saveexec_b64 s[20:21], s[20:21]
; %bb.96:
	v_mov_b32_e32 v15, v55
; %bb.97:
	s_or_b64 exec, exec, s[20:21]
.LBB53_98:
	s_or_b64 exec, exec, s[14:15]
.LBB53_99:
	s_or_b64 exec, exec, s[10:11]
	s_waitcnt vmcnt(11)
	v_trunc_f32_e32 v18, v18
	s_mov_b32 s10, 0x2f800000
	v_mul_f32_e64 v34, |v18|, s10
	v_floor_f32_e32 v34, v34
	s_mov_b32 s10, 0xcf800000
	v_cvt_u32_f32_e32 v35, v34
	v_fma_f32 v34, v34, s10, |v18|
	v_cvt_u32_f32_e32 v34, v34
	v_ashrrev_i32_e32 v18, 31, v18
	v_xor_b32_e32 v35, v35, v18
	v_xor_b32_e32 v34, v34, v18
	v_sub_co_u32_e32 v34, vcc, v34, v18
	v_subb_co_u32_e32 v35, vcc, v35, v18, vcc
	v_cmp_lt_i64_e32 vcc, -1, v[34:35]
	v_mov_b32_e32 v18, 0
	s_and_saveexec_b64 s[10:11], vcc
	s_cbranch_execz .LBB53_111
; %bb.100:
	v_cmp_lt_i64_e32 vcc, 0, v[34:35]
	v_mov_b32_e32 v18, 1.0
	s_and_saveexec_b64 s[14:15], vcc
	s_cbranch_execz .LBB53_110
; %bb.101:
	v_lshlrev_b32_e32 v55, 16, v54
	v_cmp_ne_u64_e32 vcc, 1, v[34:35]
                                        ; implicit-def: $vgpr18
	s_and_saveexec_b64 s[20:21], vcc
	s_xor_b64 s[20:21], exec, s[20:21]
	s_cbranch_execz .LBB53_107
; %bb.102:
	s_mov_b64 s[22:23], 0x81
	v_cmp_gt_u64_e32 vcc, s[22:23], v[34:35]
	v_mov_b32_e32 v18, 0x7fc00000
	s_and_saveexec_b64 s[22:23], vcc
	s_cbranch_execz .LBB53_106
; %bb.103:
	s_mov_b64 s[26:27], 1
	s_mov_b64 s[24:25], 0
	v_mov_b32_e32 v56, 1.0
	v_mov_b32_e32 v18, v55
.LBB53_104:                             ; =>This Inner Loop Header: Depth=1
	s_flbit_i32_b32 s28, s27
	s_min_u32 s30, s28, 32
	s_lshl_b64 s[28:29], s[26:27], s30
	s_min_u32 s28, s28, 1
	s_or_b32 s28, s29, s28
	v_cvt_f32_u32_e32 v57, s28
	s_sub_i32 s30, 32, s30
	s_add_u32 s26, s26, 1
	s_addc_u32 s27, s27, 0
	v_ldexp_f32 v57, v57, s30
	v_cmp_eq_u64_e32 vcc, s[26:27], v[34:35]
	v_mul_f32_e32 v57, v56, v57
	s_or_b64 s[24:25], vcc, s[24:25]
	v_mov_b32_e32 v56, v18
	v_fma_f32 v18, v18, v55, -v57
	s_andn2_b64 exec, exec, s[24:25]
	s_cbranch_execnz .LBB53_104
; %bb.105:
	s_or_b64 exec, exec, s[24:25]
.LBB53_106:
	s_or_b64 exec, exec, s[22:23]
                                        ; implicit-def: $vgpr55
.LBB53_107:
	s_andn2_saveexec_b64 s[20:21], s[20:21]
; %bb.108:
	v_mov_b32_e32 v18, v55
; %bb.109:
	s_or_b64 exec, exec, s[20:21]
.LBB53_110:
	s_or_b64 exec, exec, s[14:15]
.LBB53_111:
	s_or_b64 exec, exec, s[10:11]
	v_trunc_f32_e32 v19, v19
	s_mov_b32 s10, 0x2f800000
	v_mul_f32_e64 v34, |v19|, s10
	v_floor_f32_e32 v34, v34
	s_mov_b32 s10, 0xcf800000
	v_cvt_u32_f32_e32 v35, v34
	v_fma_f32 v34, v34, s10, |v19|
	v_cvt_u32_f32_e32 v34, v34
	v_ashrrev_i32_e32 v19, 31, v19
	v_xor_b32_e32 v35, v35, v19
	v_xor_b32_e32 v34, v34, v19
	v_sub_co_u32_e32 v34, vcc, v34, v19
	v_subb_co_u32_e32 v35, vcc, v35, v19, vcc
	v_cmp_lt_i64_e32 vcc, -1, v[34:35]
	v_mov_b32_e32 v19, 0
	s_and_saveexec_b64 s[10:11], vcc
	s_cbranch_execz .LBB53_123
; %bb.112:
	v_cmp_lt_i64_e32 vcc, 0, v[34:35]
	v_mov_b32_e32 v19, 1.0
	s_and_saveexec_b64 s[14:15], vcc
	s_cbranch_execz .LBB53_122
; %bb.113:
	v_and_b32_e32 v54, 0xffff0000, v54
	v_cmp_ne_u64_e32 vcc, 1, v[34:35]
	s_and_saveexec_b64 s[20:21], vcc
	s_xor_b64 s[20:21], exec, s[20:21]
	s_cbranch_execz .LBB53_119
; %bb.114:
	s_mov_b64 s[22:23], 0x81
	v_cmp_gt_u64_e32 vcc, s[22:23], v[34:35]
	v_mov_b32_e32 v19, 0x7fc00000
	s_and_saveexec_b64 s[22:23], vcc
	s_cbranch_execz .LBB53_118
; %bb.115:
	s_mov_b64 s[26:27], 1
	s_mov_b64 s[24:25], 0
	v_mov_b32_e32 v55, 1.0
	v_mov_b32_e32 v19, v54
.LBB53_116:                             ; =>This Inner Loop Header: Depth=1
	s_flbit_i32_b32 s28, s27
	s_min_u32 s30, s28, 32
	s_lshl_b64 s[28:29], s[26:27], s30
	s_min_u32 s28, s28, 1
	s_or_b32 s28, s29, s28
	v_cvt_f32_u32_e32 v56, s28
	s_sub_i32 s30, 32, s30
	s_add_u32 s26, s26, 1
	s_addc_u32 s27, s27, 0
	v_ldexp_f32 v56, v56, s30
	v_cmp_eq_u64_e32 vcc, s[26:27], v[34:35]
	v_mul_f32_e32 v56, v55, v56
	s_or_b64 s[24:25], vcc, s[24:25]
	v_mov_b32_e32 v55, v19
	v_fma_f32 v19, v19, v54, -v56
	s_andn2_b64 exec, exec, s[24:25]
	s_cbranch_execnz .LBB53_116
; %bb.117:
	s_or_b64 exec, exec, s[24:25]
.LBB53_118:
	s_or_b64 exec, exec, s[22:23]
                                        ; implicit-def: $vgpr54
.LBB53_119:
	s_andn2_saveexec_b64 s[20:21], s[20:21]
; %bb.120:
	v_mov_b32_e32 v19, v54
; %bb.121:
	s_or_b64 exec, exec, s[20:21]
.LBB53_122:
	s_or_b64 exec, exec, s[14:15]
.LBB53_123:
	s_or_b64 exec, exec, s[10:11]
	s_waitcnt vmcnt(10)
	v_trunc_f32_e32 v22, v22
	s_mov_b32 s10, 0x2f800000
	v_mul_f32_e64 v34, |v22|, s10
	v_floor_f32_e32 v34, v34
	s_mov_b32 s10, 0xcf800000
	v_cvt_u32_f32_e32 v35, v34
	v_fma_f32 v34, v34, s10, |v22|
	v_cvt_u32_f32_e32 v34, v34
	v_ashrrev_i32_e32 v22, 31, v22
	v_xor_b32_e32 v35, v35, v22
	v_xor_b32_e32 v34, v34, v22
	v_sub_co_u32_e32 v34, vcc, v34, v22
	v_subb_co_u32_e32 v35, vcc, v35, v22, vcc
	v_cmp_lt_i64_e32 vcc, -1, v[34:35]
	v_mov_b32_e32 v22, 0
	s_and_saveexec_b64 s[10:11], vcc
	s_cbranch_execz .LBB53_135
; %bb.124:
	v_cmp_lt_i64_e32 vcc, 0, v[34:35]
	v_mov_b32_e32 v22, 1.0
	s_and_saveexec_b64 s[14:15], vcc
	s_cbranch_execz .LBB53_134
; %bb.125:
	v_lshlrev_b32_e32 v54, 16, v53
	v_cmp_ne_u64_e32 vcc, 1, v[34:35]
                                        ; implicit-def: $vgpr22
	s_and_saveexec_b64 s[20:21], vcc
	s_xor_b64 s[20:21], exec, s[20:21]
	s_cbranch_execz .LBB53_131
; %bb.126:
	s_mov_b64 s[22:23], 0x81
	v_cmp_gt_u64_e32 vcc, s[22:23], v[34:35]
	v_mov_b32_e32 v22, 0x7fc00000
	s_and_saveexec_b64 s[22:23], vcc
	s_cbranch_execz .LBB53_130
; %bb.127:
	s_mov_b64 s[26:27], 1
	s_mov_b64 s[24:25], 0
	v_mov_b32_e32 v55, 1.0
	v_mov_b32_e32 v22, v54
.LBB53_128:                             ; =>This Inner Loop Header: Depth=1
	s_flbit_i32_b32 s28, s27
	s_min_u32 s30, s28, 32
	s_lshl_b64 s[28:29], s[26:27], s30
	s_min_u32 s28, s28, 1
	s_or_b32 s28, s29, s28
	v_cvt_f32_u32_e32 v56, s28
	s_sub_i32 s30, 32, s30
	s_add_u32 s26, s26, 1
	s_addc_u32 s27, s27, 0
	v_ldexp_f32 v56, v56, s30
	v_cmp_eq_u64_e32 vcc, s[26:27], v[34:35]
	v_mul_f32_e32 v56, v55, v56
	s_or_b64 s[24:25], vcc, s[24:25]
	v_mov_b32_e32 v55, v22
	v_fma_f32 v22, v22, v54, -v56
	s_andn2_b64 exec, exec, s[24:25]
	s_cbranch_execnz .LBB53_128
; %bb.129:
	s_or_b64 exec, exec, s[24:25]
.LBB53_130:
	s_or_b64 exec, exec, s[22:23]
                                        ; implicit-def: $vgpr54
.LBB53_131:
	s_andn2_saveexec_b64 s[20:21], s[20:21]
; %bb.132:
	v_mov_b32_e32 v22, v54
; %bb.133:
	s_or_b64 exec, exec, s[20:21]
.LBB53_134:
	s_or_b64 exec, exec, s[14:15]
.LBB53_135:
	s_or_b64 exec, exec, s[10:11]
	v_trunc_f32_e32 v23, v23
	s_mov_b32 s10, 0x2f800000
	v_mul_f32_e64 v34, |v23|, s10
	v_floor_f32_e32 v34, v34
	s_mov_b32 s10, 0xcf800000
	v_cvt_u32_f32_e32 v35, v34
	v_fma_f32 v34, v34, s10, |v23|
	v_cvt_u32_f32_e32 v34, v34
	v_ashrrev_i32_e32 v23, 31, v23
	v_xor_b32_e32 v35, v35, v23
	v_xor_b32_e32 v34, v34, v23
	v_sub_co_u32_e32 v34, vcc, v34, v23
	v_subb_co_u32_e32 v35, vcc, v35, v23, vcc
	v_cmp_lt_i64_e32 vcc, -1, v[34:35]
	v_mov_b32_e32 v23, 0
	s_and_saveexec_b64 s[10:11], vcc
	s_cbranch_execz .LBB53_147
; %bb.136:
	v_cmp_lt_i64_e32 vcc, 0, v[34:35]
	v_mov_b32_e32 v23, 1.0
	s_and_saveexec_b64 s[14:15], vcc
	s_cbranch_execz .LBB53_146
; %bb.137:
	v_and_b32_e32 v53, 0xffff0000, v53
	v_cmp_ne_u64_e32 vcc, 1, v[34:35]
	s_and_saveexec_b64 s[20:21], vcc
	s_xor_b64 s[20:21], exec, s[20:21]
	s_cbranch_execz .LBB53_143
; %bb.138:
	s_mov_b64 s[22:23], 0x81
	v_cmp_gt_u64_e32 vcc, s[22:23], v[34:35]
	v_mov_b32_e32 v23, 0x7fc00000
	s_and_saveexec_b64 s[22:23], vcc
	s_cbranch_execz .LBB53_142
; %bb.139:
	s_mov_b64 s[26:27], 1
	s_mov_b64 s[24:25], 0
	v_mov_b32_e32 v54, 1.0
	v_mov_b32_e32 v23, v53
.LBB53_140:                             ; =>This Inner Loop Header: Depth=1
	s_flbit_i32_b32 s28, s27
	s_min_u32 s30, s28, 32
	s_lshl_b64 s[28:29], s[26:27], s30
	s_min_u32 s28, s28, 1
	s_or_b32 s28, s29, s28
	v_cvt_f32_u32_e32 v55, s28
	s_sub_i32 s30, 32, s30
	s_add_u32 s26, s26, 1
	s_addc_u32 s27, s27, 0
	v_ldexp_f32 v55, v55, s30
	v_cmp_eq_u64_e32 vcc, s[26:27], v[34:35]
	v_mul_f32_e32 v55, v54, v55
	s_or_b64 s[24:25], vcc, s[24:25]
	v_mov_b32_e32 v54, v23
	v_fma_f32 v23, v23, v53, -v55
	s_andn2_b64 exec, exec, s[24:25]
	s_cbranch_execnz .LBB53_140
; %bb.141:
	s_or_b64 exec, exec, s[24:25]
.LBB53_142:
	s_or_b64 exec, exec, s[22:23]
                                        ; implicit-def: $vgpr53
.LBB53_143:
	s_andn2_saveexec_b64 s[20:21], s[20:21]
; %bb.144:
	v_mov_b32_e32 v23, v53
; %bb.145:
	s_or_b64 exec, exec, s[20:21]
.LBB53_146:
	s_or_b64 exec, exec, s[14:15]
.LBB53_147:
	s_or_b64 exec, exec, s[10:11]
	s_waitcnt vmcnt(9)
	v_trunc_f32_e32 v26, v26
	s_mov_b32 s10, 0x2f800000
	v_mul_f32_e64 v34, |v26|, s10
	v_floor_f32_e32 v34, v34
	s_mov_b32 s10, 0xcf800000
	v_cvt_u32_f32_e32 v35, v34
	v_fma_f32 v34, v34, s10, |v26|
	v_cvt_u32_f32_e32 v34, v34
	v_ashrrev_i32_e32 v26, 31, v26
	v_xor_b32_e32 v35, v35, v26
	v_xor_b32_e32 v34, v34, v26
	v_sub_co_u32_e32 v34, vcc, v34, v26
	v_subb_co_u32_e32 v35, vcc, v35, v26, vcc
	v_cmp_lt_i64_e32 vcc, -1, v[34:35]
	v_mov_b32_e32 v26, 0
	s_and_saveexec_b64 s[10:11], vcc
	s_cbranch_execz .LBB53_159
; %bb.148:
	v_cmp_lt_i64_e32 vcc, 0, v[34:35]
	v_mov_b32_e32 v26, 1.0
	s_and_saveexec_b64 s[14:15], vcc
	s_cbranch_execz .LBB53_158
; %bb.149:
	v_lshlrev_b32_e32 v53, 16, v52
	v_cmp_ne_u64_e32 vcc, 1, v[34:35]
                                        ; implicit-def: $vgpr26
	s_and_saveexec_b64 s[20:21], vcc
	s_xor_b64 s[20:21], exec, s[20:21]
	s_cbranch_execz .LBB53_155
; %bb.150:
	s_mov_b64 s[22:23], 0x81
	v_cmp_gt_u64_e32 vcc, s[22:23], v[34:35]
	v_mov_b32_e32 v26, 0x7fc00000
	s_and_saveexec_b64 s[22:23], vcc
	s_cbranch_execz .LBB53_154
; %bb.151:
	s_mov_b64 s[26:27], 1
	s_mov_b64 s[24:25], 0
	v_mov_b32_e32 v54, 1.0
	v_mov_b32_e32 v26, v53
.LBB53_152:                             ; =>This Inner Loop Header: Depth=1
	s_flbit_i32_b32 s28, s27
	s_min_u32 s30, s28, 32
	s_lshl_b64 s[28:29], s[26:27], s30
	s_min_u32 s28, s28, 1
	s_or_b32 s28, s29, s28
	v_cvt_f32_u32_e32 v55, s28
	s_sub_i32 s30, 32, s30
	s_add_u32 s26, s26, 1
	s_addc_u32 s27, s27, 0
	v_ldexp_f32 v55, v55, s30
	v_cmp_eq_u64_e32 vcc, s[26:27], v[34:35]
	v_mul_f32_e32 v55, v54, v55
	s_or_b64 s[24:25], vcc, s[24:25]
	v_mov_b32_e32 v54, v26
	v_fma_f32 v26, v26, v53, -v55
	s_andn2_b64 exec, exec, s[24:25]
	s_cbranch_execnz .LBB53_152
; %bb.153:
	s_or_b64 exec, exec, s[24:25]
.LBB53_154:
	s_or_b64 exec, exec, s[22:23]
                                        ; implicit-def: $vgpr53
.LBB53_155:
	s_andn2_saveexec_b64 s[20:21], s[20:21]
; %bb.156:
	v_mov_b32_e32 v26, v53
; %bb.157:
	s_or_b64 exec, exec, s[20:21]
.LBB53_158:
	s_or_b64 exec, exec, s[14:15]
.LBB53_159:
	s_or_b64 exec, exec, s[10:11]
	v_trunc_f32_e32 v27, v27
	s_mov_b32 s10, 0x2f800000
	v_mul_f32_e64 v34, |v27|, s10
	v_floor_f32_e32 v34, v34
	s_mov_b32 s10, 0xcf800000
	v_cvt_u32_f32_e32 v35, v34
	v_fma_f32 v34, v34, s10, |v27|
	v_cvt_u32_f32_e32 v34, v34
	v_ashrrev_i32_e32 v27, 31, v27
	v_xor_b32_e32 v35, v35, v27
	v_xor_b32_e32 v34, v34, v27
	v_sub_co_u32_e32 v34, vcc, v34, v27
	v_subb_co_u32_e32 v35, vcc, v35, v27, vcc
	v_cmp_lt_i64_e32 vcc, -1, v[34:35]
	v_mov_b32_e32 v27, 0
	s_and_saveexec_b64 s[10:11], vcc
	s_cbranch_execz .LBB53_171
; %bb.160:
	v_cmp_lt_i64_e32 vcc, 0, v[34:35]
	v_mov_b32_e32 v27, 1.0
	s_and_saveexec_b64 s[14:15], vcc
	s_cbranch_execz .LBB53_170
; %bb.161:
	v_and_b32_e32 v52, 0xffff0000, v52
	v_cmp_ne_u64_e32 vcc, 1, v[34:35]
	s_and_saveexec_b64 s[20:21], vcc
	s_xor_b64 s[20:21], exec, s[20:21]
	s_cbranch_execz .LBB53_167
; %bb.162:
	s_mov_b64 s[22:23], 0x81
	v_cmp_gt_u64_e32 vcc, s[22:23], v[34:35]
	v_mov_b32_e32 v27, 0x7fc00000
	s_and_saveexec_b64 s[22:23], vcc
	s_cbranch_execz .LBB53_166
; %bb.163:
	s_mov_b64 s[26:27], 1
	s_mov_b64 s[24:25], 0
	v_mov_b32_e32 v53, 1.0
	v_mov_b32_e32 v27, v52
.LBB53_164:                             ; =>This Inner Loop Header: Depth=1
	s_flbit_i32_b32 s28, s27
	s_min_u32 s30, s28, 32
	s_lshl_b64 s[28:29], s[26:27], s30
	s_min_u32 s28, s28, 1
	s_or_b32 s28, s29, s28
	v_cvt_f32_u32_e32 v54, s28
	s_sub_i32 s30, 32, s30
	s_add_u32 s26, s26, 1
	s_addc_u32 s27, s27, 0
	v_ldexp_f32 v54, v54, s30
	v_cmp_eq_u64_e32 vcc, s[26:27], v[34:35]
	v_mul_f32_e32 v54, v53, v54
	s_or_b64 s[24:25], vcc, s[24:25]
	v_mov_b32_e32 v53, v27
	v_fma_f32 v27, v27, v52, -v54
	s_andn2_b64 exec, exec, s[24:25]
	s_cbranch_execnz .LBB53_164
; %bb.165:
	s_or_b64 exec, exec, s[24:25]
.LBB53_166:
	s_or_b64 exec, exec, s[22:23]
                                        ; implicit-def: $vgpr52
.LBB53_167:
	s_andn2_saveexec_b64 s[20:21], s[20:21]
; %bb.168:
	v_mov_b32_e32 v27, v52
; %bb.169:
	s_or_b64 exec, exec, s[20:21]
.LBB53_170:
	s_or_b64 exec, exec, s[14:15]
.LBB53_171:
	s_or_b64 exec, exec, s[10:11]
	s_waitcnt vmcnt(8)
	v_trunc_f32_e32 v30, v30
	s_mov_b32 s10, 0x2f800000
	v_mul_f32_e64 v34, |v30|, s10
	v_floor_f32_e32 v34, v34
	s_mov_b32 s10, 0xcf800000
	v_cvt_u32_f32_e32 v35, v34
	v_fma_f32 v34, v34, s10, |v30|
	v_cvt_u32_f32_e32 v34, v34
	v_ashrrev_i32_e32 v30, 31, v30
	v_xor_b32_e32 v35, v35, v30
	v_xor_b32_e32 v34, v34, v30
	v_sub_co_u32_e32 v34, vcc, v34, v30
	v_subb_co_u32_e32 v35, vcc, v35, v30, vcc
	v_cmp_lt_i64_e32 vcc, -1, v[34:35]
	v_mov_b32_e32 v30, 0
	s_and_saveexec_b64 s[10:11], vcc
	s_cbranch_execz .LBB53_183
; %bb.172:
	v_cmp_lt_i64_e32 vcc, 0, v[34:35]
	v_mov_b32_e32 v30, 1.0
	s_and_saveexec_b64 s[14:15], vcc
	s_cbranch_execz .LBB53_182
; %bb.173:
	v_lshlrev_b32_e32 v52, 16, v51
	v_cmp_ne_u64_e32 vcc, 1, v[34:35]
                                        ; implicit-def: $vgpr30
	s_and_saveexec_b64 s[20:21], vcc
	s_xor_b64 s[20:21], exec, s[20:21]
	s_cbranch_execz .LBB53_179
; %bb.174:
	s_mov_b64 s[22:23], 0x81
	v_cmp_gt_u64_e32 vcc, s[22:23], v[34:35]
	v_mov_b32_e32 v30, 0x7fc00000
	s_and_saveexec_b64 s[22:23], vcc
	s_cbranch_execz .LBB53_178
; %bb.175:
	s_mov_b64 s[26:27], 1
	s_mov_b64 s[24:25], 0
	v_mov_b32_e32 v53, 1.0
	v_mov_b32_e32 v30, v52
.LBB53_176:                             ; =>This Inner Loop Header: Depth=1
	s_flbit_i32_b32 s28, s27
	s_min_u32 s30, s28, 32
	s_lshl_b64 s[28:29], s[26:27], s30
	s_min_u32 s28, s28, 1
	s_or_b32 s28, s29, s28
	v_cvt_f32_u32_e32 v54, s28
	s_sub_i32 s30, 32, s30
	s_add_u32 s26, s26, 1
	s_addc_u32 s27, s27, 0
	v_ldexp_f32 v54, v54, s30
	v_cmp_eq_u64_e32 vcc, s[26:27], v[34:35]
	v_mul_f32_e32 v54, v53, v54
	s_or_b64 s[24:25], vcc, s[24:25]
	v_mov_b32_e32 v53, v30
	v_fma_f32 v30, v30, v52, -v54
	s_andn2_b64 exec, exec, s[24:25]
	s_cbranch_execnz .LBB53_176
; %bb.177:
	s_or_b64 exec, exec, s[24:25]
.LBB53_178:
	s_or_b64 exec, exec, s[22:23]
                                        ; implicit-def: $vgpr52
.LBB53_179:
	s_andn2_saveexec_b64 s[20:21], s[20:21]
; %bb.180:
	v_mov_b32_e32 v30, v52
; %bb.181:
	s_or_b64 exec, exec, s[20:21]
.LBB53_182:
	s_or_b64 exec, exec, s[14:15]
.LBB53_183:
	s_or_b64 exec, exec, s[10:11]
	v_trunc_f32_e32 v31, v31
	s_mov_b32 s10, 0x2f800000
	v_mul_f32_e64 v34, |v31|, s10
	v_floor_f32_e32 v34, v34
	s_mov_b32 s10, 0xcf800000
	v_cvt_u32_f32_e32 v35, v34
	v_fma_f32 v34, v34, s10, |v31|
	v_cvt_u32_f32_e32 v34, v34
	v_ashrrev_i32_e32 v31, 31, v31
	v_xor_b32_e32 v35, v35, v31
	v_xor_b32_e32 v34, v34, v31
	v_sub_co_u32_e32 v34, vcc, v34, v31
	v_subb_co_u32_e32 v35, vcc, v35, v31, vcc
	v_cmp_lt_i64_e32 vcc, -1, v[34:35]
	v_mov_b32_e32 v31, 0
	s_and_saveexec_b64 s[10:11], vcc
	s_cbranch_execz .LBB53_195
; %bb.184:
	v_cmp_lt_i64_e32 vcc, 0, v[34:35]
	v_mov_b32_e32 v31, 1.0
	s_and_saveexec_b64 s[14:15], vcc
	s_cbranch_execz .LBB53_194
; %bb.185:
	v_and_b32_e32 v51, 0xffff0000, v51
	v_cmp_ne_u64_e32 vcc, 1, v[34:35]
	s_and_saveexec_b64 s[20:21], vcc
	s_xor_b64 s[20:21], exec, s[20:21]
	s_cbranch_execz .LBB53_191
; %bb.186:
	s_mov_b64 s[22:23], 0x81
	v_cmp_gt_u64_e32 vcc, s[22:23], v[34:35]
	v_mov_b32_e32 v31, 0x7fc00000
	s_and_saveexec_b64 s[22:23], vcc
	s_cbranch_execz .LBB53_190
; %bb.187:
	s_mov_b64 s[26:27], 1
	s_mov_b64 s[24:25], 0
	v_mov_b32_e32 v52, 1.0
	v_mov_b32_e32 v31, v51
.LBB53_188:                             ; =>This Inner Loop Header: Depth=1
	s_flbit_i32_b32 s28, s27
	s_min_u32 s30, s28, 32
	s_lshl_b64 s[28:29], s[26:27], s30
	s_min_u32 s28, s28, 1
	s_or_b32 s28, s29, s28
	v_cvt_f32_u32_e32 v53, s28
	s_sub_i32 s30, 32, s30
	s_add_u32 s26, s26, 1
	s_addc_u32 s27, s27, 0
	v_ldexp_f32 v53, v53, s30
	v_cmp_eq_u64_e32 vcc, s[26:27], v[34:35]
	v_mul_f32_e32 v53, v52, v53
	s_or_b64 s[24:25], vcc, s[24:25]
	v_mov_b32_e32 v52, v31
	v_fma_f32 v31, v31, v51, -v53
	s_andn2_b64 exec, exec, s[24:25]
	s_cbranch_execnz .LBB53_188
; %bb.189:
	s_or_b64 exec, exec, s[24:25]
.LBB53_190:
	s_or_b64 exec, exec, s[22:23]
                                        ; implicit-def: $vgpr51
.LBB53_191:
	s_andn2_saveexec_b64 s[20:21], s[20:21]
; %bb.192:
	v_mov_b32_e32 v31, v51
; %bb.193:
	s_or_b64 exec, exec, s[20:21]
.LBB53_194:
	s_or_b64 exec, exec, s[14:15]
.LBB53_195:
	s_or_b64 exec, exec, s[10:11]
	s_waitcnt vmcnt(7)
	v_trunc_f32_e32 v32, v32
	s_mov_b32 s10, 0x2f800000
	v_mul_f32_e64 v34, |v32|, s10
	v_floor_f32_e32 v34, v34
	s_mov_b32 s10, 0xcf800000
	v_cvt_u32_f32_e32 v35, v34
	v_fma_f32 v34, v34, s10, |v32|
	v_cvt_u32_f32_e32 v34, v34
	v_ashrrev_i32_e32 v32, 31, v32
	v_xor_b32_e32 v35, v35, v32
	v_xor_b32_e32 v34, v34, v32
	v_sub_co_u32_e32 v34, vcc, v34, v32
	v_subb_co_u32_e32 v35, vcc, v35, v32, vcc
	v_cmp_lt_i64_e32 vcc, -1, v[34:35]
	v_mov_b32_e32 v32, 0
	s_and_saveexec_b64 s[10:11], vcc
	s_cbranch_execz .LBB53_207
; %bb.196:
	v_cmp_lt_i64_e32 vcc, 0, v[34:35]
	v_mov_b32_e32 v32, 1.0
	s_and_saveexec_b64 s[14:15], vcc
	s_cbranch_execz .LBB53_206
; %bb.197:
	v_lshlrev_b32_e32 v51, 16, v50
	v_cmp_ne_u64_e32 vcc, 1, v[34:35]
                                        ; implicit-def: $vgpr32
	s_and_saveexec_b64 s[20:21], vcc
	s_xor_b64 s[20:21], exec, s[20:21]
	s_cbranch_execz .LBB53_203
; %bb.198:
	s_mov_b64 s[22:23], 0x81
	v_cmp_gt_u64_e32 vcc, s[22:23], v[34:35]
	v_mov_b32_e32 v32, 0x7fc00000
	s_and_saveexec_b64 s[22:23], vcc
	s_cbranch_execz .LBB53_202
; %bb.199:
	s_mov_b64 s[26:27], 1
	s_mov_b64 s[24:25], 0
	v_mov_b32_e32 v52, 1.0
	v_mov_b32_e32 v32, v51
.LBB53_200:                             ; =>This Inner Loop Header: Depth=1
	s_flbit_i32_b32 s28, s27
	s_min_u32 s30, s28, 32
	s_lshl_b64 s[28:29], s[26:27], s30
	s_min_u32 s28, s28, 1
	s_or_b32 s28, s29, s28
	v_cvt_f32_u32_e32 v53, s28
	s_sub_i32 s30, 32, s30
	s_add_u32 s26, s26, 1
	s_addc_u32 s27, s27, 0
	v_ldexp_f32 v53, v53, s30
	v_cmp_eq_u64_e32 vcc, s[26:27], v[34:35]
	v_mul_f32_e32 v53, v52, v53
	s_or_b64 s[24:25], vcc, s[24:25]
	v_mov_b32_e32 v52, v32
	v_fma_f32 v32, v32, v51, -v53
	s_andn2_b64 exec, exec, s[24:25]
	s_cbranch_execnz .LBB53_200
; %bb.201:
	s_or_b64 exec, exec, s[24:25]
.LBB53_202:
	s_or_b64 exec, exec, s[22:23]
                                        ; implicit-def: $vgpr51
.LBB53_203:
	s_andn2_saveexec_b64 s[20:21], s[20:21]
; %bb.204:
	v_mov_b32_e32 v32, v51
; %bb.205:
	s_or_b64 exec, exec, s[20:21]
.LBB53_206:
	s_or_b64 exec, exec, s[14:15]
.LBB53_207:
	s_or_b64 exec, exec, s[10:11]
	v_trunc_f32_e32 v33, v33
	s_mov_b32 s10, 0x2f800000
	v_mul_f32_e64 v34, |v33|, s10
	v_floor_f32_e32 v34, v34
	s_mov_b32 s10, 0xcf800000
	v_cvt_u32_f32_e32 v35, v34
	v_fma_f32 v34, v34, s10, |v33|
	v_cvt_u32_f32_e32 v34, v34
	v_ashrrev_i32_e32 v33, 31, v33
	v_xor_b32_e32 v35, v35, v33
	v_xor_b32_e32 v34, v34, v33
	v_sub_co_u32_e32 v34, vcc, v34, v33
	v_subb_co_u32_e32 v35, vcc, v35, v33, vcc
	v_cmp_lt_i64_e32 vcc, -1, v[34:35]
	v_mov_b32_e32 v33, 0
	s_and_saveexec_b64 s[10:11], vcc
	s_cbranch_execz .LBB53_219
; %bb.208:
	v_cmp_lt_i64_e32 vcc, 0, v[34:35]
	v_mov_b32_e32 v33, 1.0
	s_and_saveexec_b64 s[14:15], vcc
	s_cbranch_execz .LBB53_218
; %bb.209:
	v_and_b32_e32 v50, 0xffff0000, v50
	v_cmp_ne_u64_e32 vcc, 1, v[34:35]
	s_and_saveexec_b64 s[20:21], vcc
	s_xor_b64 s[20:21], exec, s[20:21]
	s_cbranch_execz .LBB53_215
; %bb.210:
	s_mov_b64 s[22:23], 0x81
	v_cmp_gt_u64_e32 vcc, s[22:23], v[34:35]
	v_mov_b32_e32 v33, 0x7fc00000
	s_and_saveexec_b64 s[22:23], vcc
	s_cbranch_execz .LBB53_214
; %bb.211:
	s_mov_b64 s[26:27], 1
	s_mov_b64 s[24:25], 0
	v_mov_b32_e32 v51, 1.0
	v_mov_b32_e32 v33, v50
.LBB53_212:                             ; =>This Inner Loop Header: Depth=1
	s_flbit_i32_b32 s28, s27
	s_min_u32 s30, s28, 32
	s_lshl_b64 s[28:29], s[26:27], s30
	s_min_u32 s28, s28, 1
	s_or_b32 s28, s29, s28
	v_cvt_f32_u32_e32 v52, s28
	s_sub_i32 s30, 32, s30
	s_add_u32 s26, s26, 1
	s_addc_u32 s27, s27, 0
	v_ldexp_f32 v52, v52, s30
	v_cmp_eq_u64_e32 vcc, s[26:27], v[34:35]
	v_mul_f32_e32 v52, v51, v52
	s_or_b64 s[24:25], vcc, s[24:25]
	v_mov_b32_e32 v51, v33
	v_fma_f32 v33, v33, v50, -v52
	s_andn2_b64 exec, exec, s[24:25]
	s_cbranch_execnz .LBB53_212
; %bb.213:
	s_or_b64 exec, exec, s[24:25]
.LBB53_214:
	s_or_b64 exec, exec, s[22:23]
                                        ; implicit-def: $vgpr50
.LBB53_215:
	s_andn2_saveexec_b64 s[20:21], s[20:21]
; %bb.216:
	v_mov_b32_e32 v33, v50
; %bb.217:
	s_or_b64 exec, exec, s[20:21]
.LBB53_218:
	s_or_b64 exec, exec, s[14:15]
.LBB53_219:
	s_or_b64 exec, exec, s[10:11]
	s_waitcnt vmcnt(6)
	v_trunc_f32_e32 v28, v28
	s_mov_b32 s10, 0x2f800000
	v_mul_f32_e64 v34, |v28|, s10
	v_floor_f32_e32 v34, v34
	s_mov_b32 s10, 0xcf800000
	v_cvt_u32_f32_e32 v35, v34
	v_fma_f32 v34, v34, s10, |v28|
	v_cvt_u32_f32_e32 v34, v34
	v_ashrrev_i32_e32 v28, 31, v28
	v_xor_b32_e32 v35, v35, v28
	v_xor_b32_e32 v34, v34, v28
	v_sub_co_u32_e32 v34, vcc, v34, v28
	v_subb_co_u32_e32 v35, vcc, v35, v28, vcc
	v_cmp_lt_i64_e32 vcc, -1, v[34:35]
	v_mov_b32_e32 v28, 0
	s_and_saveexec_b64 s[10:11], vcc
	s_cbranch_execz .LBB53_231
; %bb.220:
	v_cmp_lt_i64_e32 vcc, 0, v[34:35]
	v_mov_b32_e32 v28, 1.0
	s_and_saveexec_b64 s[14:15], vcc
	s_cbranch_execz .LBB53_230
; %bb.221:
	v_lshlrev_b32_e32 v50, 16, v49
	v_cmp_ne_u64_e32 vcc, 1, v[34:35]
                                        ; implicit-def: $vgpr28
	s_and_saveexec_b64 s[20:21], vcc
	s_xor_b64 s[20:21], exec, s[20:21]
	s_cbranch_execz .LBB53_227
; %bb.222:
	s_mov_b64 s[22:23], 0x81
	v_cmp_gt_u64_e32 vcc, s[22:23], v[34:35]
	v_mov_b32_e32 v28, 0x7fc00000
	s_and_saveexec_b64 s[22:23], vcc
	s_cbranch_execz .LBB53_226
; %bb.223:
	s_mov_b64 s[26:27], 1
	s_mov_b64 s[24:25], 0
	v_mov_b32_e32 v51, 1.0
	v_mov_b32_e32 v28, v50
.LBB53_224:                             ; =>This Inner Loop Header: Depth=1
	s_flbit_i32_b32 s28, s27
	s_min_u32 s30, s28, 32
	s_lshl_b64 s[28:29], s[26:27], s30
	s_min_u32 s28, s28, 1
	s_or_b32 s28, s29, s28
	v_cvt_f32_u32_e32 v52, s28
	s_sub_i32 s30, 32, s30
	s_add_u32 s26, s26, 1
	s_addc_u32 s27, s27, 0
	v_ldexp_f32 v52, v52, s30
	v_cmp_eq_u64_e32 vcc, s[26:27], v[34:35]
	v_mul_f32_e32 v52, v51, v52
	s_or_b64 s[24:25], vcc, s[24:25]
	v_mov_b32_e32 v51, v28
	v_fma_f32 v28, v28, v50, -v52
	s_andn2_b64 exec, exec, s[24:25]
	s_cbranch_execnz .LBB53_224
; %bb.225:
	s_or_b64 exec, exec, s[24:25]
.LBB53_226:
	s_or_b64 exec, exec, s[22:23]
                                        ; implicit-def: $vgpr50
.LBB53_227:
	s_andn2_saveexec_b64 s[20:21], s[20:21]
; %bb.228:
	v_mov_b32_e32 v28, v50
; %bb.229:
	s_or_b64 exec, exec, s[20:21]
.LBB53_230:
	s_or_b64 exec, exec, s[14:15]
.LBB53_231:
	s_or_b64 exec, exec, s[10:11]
	v_trunc_f32_e32 v29, v29
	s_mov_b32 s10, 0x2f800000
	v_mul_f32_e64 v34, |v29|, s10
	v_floor_f32_e32 v34, v34
	s_mov_b32 s10, 0xcf800000
	v_cvt_u32_f32_e32 v35, v34
	v_fma_f32 v34, v34, s10, |v29|
	v_cvt_u32_f32_e32 v34, v34
	v_ashrrev_i32_e32 v29, 31, v29
	v_xor_b32_e32 v35, v35, v29
	v_xor_b32_e32 v34, v34, v29
	v_sub_co_u32_e32 v34, vcc, v34, v29
	v_subb_co_u32_e32 v35, vcc, v35, v29, vcc
	v_cmp_lt_i64_e32 vcc, -1, v[34:35]
	v_mov_b32_e32 v29, 0
	s_and_saveexec_b64 s[10:11], vcc
	s_cbranch_execz .LBB53_243
; %bb.232:
	v_cmp_lt_i64_e32 vcc, 0, v[34:35]
	v_mov_b32_e32 v29, 1.0
	s_and_saveexec_b64 s[14:15], vcc
	s_cbranch_execz .LBB53_242
; %bb.233:
	v_and_b32_e32 v49, 0xffff0000, v49
	v_cmp_ne_u64_e32 vcc, 1, v[34:35]
	s_and_saveexec_b64 s[20:21], vcc
	s_xor_b64 s[20:21], exec, s[20:21]
	s_cbranch_execz .LBB53_239
; %bb.234:
	s_mov_b64 s[22:23], 0x81
	v_cmp_gt_u64_e32 vcc, s[22:23], v[34:35]
	v_mov_b32_e32 v29, 0x7fc00000
	s_and_saveexec_b64 s[22:23], vcc
	s_cbranch_execz .LBB53_238
; %bb.235:
	s_mov_b64 s[26:27], 1
	s_mov_b64 s[24:25], 0
	v_mov_b32_e32 v50, 1.0
	v_mov_b32_e32 v29, v49
.LBB53_236:                             ; =>This Inner Loop Header: Depth=1
	s_flbit_i32_b32 s28, s27
	s_min_u32 s30, s28, 32
	s_lshl_b64 s[28:29], s[26:27], s30
	s_min_u32 s28, s28, 1
	s_or_b32 s28, s29, s28
	v_cvt_f32_u32_e32 v51, s28
	s_sub_i32 s30, 32, s30
	s_add_u32 s26, s26, 1
	s_addc_u32 s27, s27, 0
	v_ldexp_f32 v51, v51, s30
	v_cmp_eq_u64_e32 vcc, s[26:27], v[34:35]
	v_mul_f32_e32 v51, v50, v51
	s_or_b64 s[24:25], vcc, s[24:25]
	v_mov_b32_e32 v50, v29
	v_fma_f32 v29, v29, v49, -v51
	s_andn2_b64 exec, exec, s[24:25]
	s_cbranch_execnz .LBB53_236
; %bb.237:
	s_or_b64 exec, exec, s[24:25]
.LBB53_238:
	s_or_b64 exec, exec, s[22:23]
                                        ; implicit-def: $vgpr49
.LBB53_239:
	s_andn2_saveexec_b64 s[20:21], s[20:21]
; %bb.240:
	v_mov_b32_e32 v29, v49
; %bb.241:
	s_or_b64 exec, exec, s[20:21]
.LBB53_242:
	s_or_b64 exec, exec, s[14:15]
.LBB53_243:
	s_or_b64 exec, exec, s[10:11]
	s_waitcnt vmcnt(5)
	v_trunc_f32_e32 v24, v24
	s_mov_b32 s10, 0x2f800000
	v_mul_f32_e64 v34, |v24|, s10
	v_floor_f32_e32 v34, v34
	s_mov_b32 s10, 0xcf800000
	v_cvt_u32_f32_e32 v35, v34
	v_fma_f32 v34, v34, s10, |v24|
	v_cvt_u32_f32_e32 v34, v34
	v_ashrrev_i32_e32 v24, 31, v24
	v_xor_b32_e32 v35, v35, v24
	v_xor_b32_e32 v34, v34, v24
	v_sub_co_u32_e32 v34, vcc, v34, v24
	v_subb_co_u32_e32 v35, vcc, v35, v24, vcc
	v_cmp_lt_i64_e32 vcc, -1, v[34:35]
	v_mov_b32_e32 v24, 0
	s_and_saveexec_b64 s[10:11], vcc
	s_cbranch_execz .LBB53_255
; %bb.244:
	v_cmp_lt_i64_e32 vcc, 0, v[34:35]
	v_mov_b32_e32 v24, 1.0
	s_and_saveexec_b64 s[14:15], vcc
	s_cbranch_execz .LBB53_254
; %bb.245:
	v_lshlrev_b32_e32 v49, 16, v48
	v_cmp_ne_u64_e32 vcc, 1, v[34:35]
                                        ; implicit-def: $vgpr24
	s_and_saveexec_b64 s[20:21], vcc
	s_xor_b64 s[20:21], exec, s[20:21]
	s_cbranch_execz .LBB53_251
; %bb.246:
	s_mov_b64 s[22:23], 0x81
	v_cmp_gt_u64_e32 vcc, s[22:23], v[34:35]
	v_mov_b32_e32 v24, 0x7fc00000
	s_and_saveexec_b64 s[22:23], vcc
	s_cbranch_execz .LBB53_250
; %bb.247:
	s_mov_b64 s[26:27], 1
	s_mov_b64 s[24:25], 0
	v_mov_b32_e32 v50, 1.0
	v_mov_b32_e32 v24, v49
.LBB53_248:                             ; =>This Inner Loop Header: Depth=1
	s_flbit_i32_b32 s28, s27
	s_min_u32 s30, s28, 32
	s_lshl_b64 s[28:29], s[26:27], s30
	s_min_u32 s28, s28, 1
	s_or_b32 s28, s29, s28
	v_cvt_f32_u32_e32 v51, s28
	s_sub_i32 s30, 32, s30
	s_add_u32 s26, s26, 1
	s_addc_u32 s27, s27, 0
	v_ldexp_f32 v51, v51, s30
	v_cmp_eq_u64_e32 vcc, s[26:27], v[34:35]
	v_mul_f32_e32 v51, v50, v51
	s_or_b64 s[24:25], vcc, s[24:25]
	v_mov_b32_e32 v50, v24
	v_fma_f32 v24, v24, v49, -v51
	s_andn2_b64 exec, exec, s[24:25]
	s_cbranch_execnz .LBB53_248
; %bb.249:
	s_or_b64 exec, exec, s[24:25]
.LBB53_250:
	s_or_b64 exec, exec, s[22:23]
                                        ; implicit-def: $vgpr49
.LBB53_251:
	s_andn2_saveexec_b64 s[20:21], s[20:21]
; %bb.252:
	v_mov_b32_e32 v24, v49
; %bb.253:
	s_or_b64 exec, exec, s[20:21]
.LBB53_254:
	s_or_b64 exec, exec, s[14:15]
.LBB53_255:
	s_or_b64 exec, exec, s[10:11]
	v_trunc_f32_e32 v25, v25
	s_mov_b32 s10, 0x2f800000
	v_mul_f32_e64 v34, |v25|, s10
	v_floor_f32_e32 v34, v34
	s_mov_b32 s10, 0xcf800000
	v_cvt_u32_f32_e32 v35, v34
	v_fma_f32 v34, v34, s10, |v25|
	v_cvt_u32_f32_e32 v34, v34
	v_ashrrev_i32_e32 v25, 31, v25
	v_xor_b32_e32 v35, v35, v25
	v_xor_b32_e32 v34, v34, v25
	v_sub_co_u32_e32 v34, vcc, v34, v25
	v_subb_co_u32_e32 v35, vcc, v35, v25, vcc
	v_cmp_lt_i64_e32 vcc, -1, v[34:35]
	v_mov_b32_e32 v25, 0
	s_and_saveexec_b64 s[10:11], vcc
	s_cbranch_execz .LBB53_267
; %bb.256:
	v_cmp_lt_i64_e32 vcc, 0, v[34:35]
	v_mov_b32_e32 v25, 1.0
	s_and_saveexec_b64 s[14:15], vcc
	s_cbranch_execz .LBB53_266
; %bb.257:
	v_and_b32_e32 v48, 0xffff0000, v48
	v_cmp_ne_u64_e32 vcc, 1, v[34:35]
	s_and_saveexec_b64 s[20:21], vcc
	s_xor_b64 s[20:21], exec, s[20:21]
	s_cbranch_execz .LBB53_263
; %bb.258:
	s_mov_b64 s[22:23], 0x81
	v_cmp_gt_u64_e32 vcc, s[22:23], v[34:35]
	v_mov_b32_e32 v25, 0x7fc00000
	s_and_saveexec_b64 s[22:23], vcc
	s_cbranch_execz .LBB53_262
; %bb.259:
	s_mov_b64 s[26:27], 1
	s_mov_b64 s[24:25], 0
	v_mov_b32_e32 v49, 1.0
	v_mov_b32_e32 v25, v48
.LBB53_260:                             ; =>This Inner Loop Header: Depth=1
	s_flbit_i32_b32 s28, s27
	s_min_u32 s30, s28, 32
	s_lshl_b64 s[28:29], s[26:27], s30
	s_min_u32 s28, s28, 1
	s_or_b32 s28, s29, s28
	v_cvt_f32_u32_e32 v50, s28
	s_sub_i32 s30, 32, s30
	s_add_u32 s26, s26, 1
	s_addc_u32 s27, s27, 0
	v_ldexp_f32 v50, v50, s30
	v_cmp_eq_u64_e32 vcc, s[26:27], v[34:35]
	v_mul_f32_e32 v50, v49, v50
	s_or_b64 s[24:25], vcc, s[24:25]
	v_mov_b32_e32 v49, v25
	v_fma_f32 v25, v25, v48, -v50
	s_andn2_b64 exec, exec, s[24:25]
	s_cbranch_execnz .LBB53_260
; %bb.261:
	s_or_b64 exec, exec, s[24:25]
.LBB53_262:
	s_or_b64 exec, exec, s[22:23]
                                        ; implicit-def: $vgpr48
.LBB53_263:
	s_andn2_saveexec_b64 s[20:21], s[20:21]
; %bb.264:
	v_mov_b32_e32 v25, v48
; %bb.265:
	s_or_b64 exec, exec, s[20:21]
.LBB53_266:
	s_or_b64 exec, exec, s[14:15]
.LBB53_267:
	s_or_b64 exec, exec, s[10:11]
	s_waitcnt vmcnt(4)
	v_trunc_f32_e32 v20, v20
	s_mov_b32 s10, 0x2f800000
	v_mul_f32_e64 v34, |v20|, s10
	v_floor_f32_e32 v34, v34
	s_mov_b32 s10, 0xcf800000
	v_cvt_u32_f32_e32 v35, v34
	v_fma_f32 v34, v34, s10, |v20|
	v_cvt_u32_f32_e32 v34, v34
	v_ashrrev_i32_e32 v20, 31, v20
	v_xor_b32_e32 v35, v35, v20
	v_xor_b32_e32 v34, v34, v20
	v_sub_co_u32_e32 v34, vcc, v34, v20
	v_subb_co_u32_e32 v35, vcc, v35, v20, vcc
	v_cmp_lt_i64_e32 vcc, -1, v[34:35]
	v_mov_b32_e32 v20, 0
	s_and_saveexec_b64 s[10:11], vcc
	s_cbranch_execz .LBB53_279
; %bb.268:
	v_cmp_lt_i64_e32 vcc, 0, v[34:35]
	v_mov_b32_e32 v20, 1.0
	s_and_saveexec_b64 s[14:15], vcc
	s_cbranch_execz .LBB53_278
; %bb.269:
	v_lshlrev_b32_e32 v48, 16, v47
	v_cmp_ne_u64_e32 vcc, 1, v[34:35]
                                        ; implicit-def: $vgpr20
	s_and_saveexec_b64 s[20:21], vcc
	s_xor_b64 s[20:21], exec, s[20:21]
	s_cbranch_execz .LBB53_275
; %bb.270:
	s_mov_b64 s[22:23], 0x81
	v_cmp_gt_u64_e32 vcc, s[22:23], v[34:35]
	v_mov_b32_e32 v20, 0x7fc00000
	s_and_saveexec_b64 s[22:23], vcc
	s_cbranch_execz .LBB53_274
; %bb.271:
	s_mov_b64 s[26:27], 1
	s_mov_b64 s[24:25], 0
	v_mov_b32_e32 v49, 1.0
	v_mov_b32_e32 v20, v48
.LBB53_272:                             ; =>This Inner Loop Header: Depth=1
	s_flbit_i32_b32 s28, s27
	s_min_u32 s30, s28, 32
	s_lshl_b64 s[28:29], s[26:27], s30
	s_min_u32 s28, s28, 1
	s_or_b32 s28, s29, s28
	v_cvt_f32_u32_e32 v50, s28
	s_sub_i32 s30, 32, s30
	s_add_u32 s26, s26, 1
	s_addc_u32 s27, s27, 0
	v_ldexp_f32 v50, v50, s30
	v_cmp_eq_u64_e32 vcc, s[26:27], v[34:35]
	v_mul_f32_e32 v50, v49, v50
	s_or_b64 s[24:25], vcc, s[24:25]
	v_mov_b32_e32 v49, v20
	v_fma_f32 v20, v20, v48, -v50
	s_andn2_b64 exec, exec, s[24:25]
	s_cbranch_execnz .LBB53_272
; %bb.273:
	s_or_b64 exec, exec, s[24:25]
.LBB53_274:
	s_or_b64 exec, exec, s[22:23]
                                        ; implicit-def: $vgpr48
.LBB53_275:
	s_andn2_saveexec_b64 s[20:21], s[20:21]
; %bb.276:
	v_mov_b32_e32 v20, v48
; %bb.277:
	s_or_b64 exec, exec, s[20:21]
.LBB53_278:
	s_or_b64 exec, exec, s[14:15]
.LBB53_279:
	s_or_b64 exec, exec, s[10:11]
	v_trunc_f32_e32 v21, v21
	s_mov_b32 s10, 0x2f800000
	v_mul_f32_e64 v34, |v21|, s10
	v_floor_f32_e32 v34, v34
	s_mov_b32 s10, 0xcf800000
	v_cvt_u32_f32_e32 v35, v34
	v_fma_f32 v34, v34, s10, |v21|
	v_cvt_u32_f32_e32 v34, v34
	v_ashrrev_i32_e32 v21, 31, v21
	v_xor_b32_e32 v35, v35, v21
	v_xor_b32_e32 v34, v34, v21
	v_sub_co_u32_e32 v34, vcc, v34, v21
	v_subb_co_u32_e32 v35, vcc, v35, v21, vcc
	v_cmp_lt_i64_e32 vcc, -1, v[34:35]
	v_mov_b32_e32 v21, 0
	s_and_saveexec_b64 s[10:11], vcc
	s_cbranch_execz .LBB53_291
; %bb.280:
	v_cmp_lt_i64_e32 vcc, 0, v[34:35]
	v_mov_b32_e32 v21, 1.0
	s_and_saveexec_b64 s[14:15], vcc
	s_cbranch_execz .LBB53_290
; %bb.281:
	v_and_b32_e32 v47, 0xffff0000, v47
	v_cmp_ne_u64_e32 vcc, 1, v[34:35]
	s_and_saveexec_b64 s[20:21], vcc
	s_xor_b64 s[20:21], exec, s[20:21]
	s_cbranch_execz .LBB53_287
; %bb.282:
	s_mov_b64 s[22:23], 0x81
	v_cmp_gt_u64_e32 vcc, s[22:23], v[34:35]
	v_mov_b32_e32 v21, 0x7fc00000
	s_and_saveexec_b64 s[22:23], vcc
	s_cbranch_execz .LBB53_286
; %bb.283:
	s_mov_b64 s[26:27], 1
	s_mov_b64 s[24:25], 0
	v_mov_b32_e32 v48, 1.0
	v_mov_b32_e32 v21, v47
.LBB53_284:                             ; =>This Inner Loop Header: Depth=1
	s_flbit_i32_b32 s28, s27
	s_min_u32 s30, s28, 32
	s_lshl_b64 s[28:29], s[26:27], s30
	s_min_u32 s28, s28, 1
	s_or_b32 s28, s29, s28
	v_cvt_f32_u32_e32 v49, s28
	s_sub_i32 s30, 32, s30
	s_add_u32 s26, s26, 1
	s_addc_u32 s27, s27, 0
	v_ldexp_f32 v49, v49, s30
	v_cmp_eq_u64_e32 vcc, s[26:27], v[34:35]
	v_mul_f32_e32 v49, v48, v49
	s_or_b64 s[24:25], vcc, s[24:25]
	v_mov_b32_e32 v48, v21
	v_fma_f32 v21, v21, v47, -v49
	s_andn2_b64 exec, exec, s[24:25]
	s_cbranch_execnz .LBB53_284
; %bb.285:
	s_or_b64 exec, exec, s[24:25]
.LBB53_286:
	s_or_b64 exec, exec, s[22:23]
                                        ; implicit-def: $vgpr47
.LBB53_287:
	s_andn2_saveexec_b64 s[20:21], s[20:21]
; %bb.288:
	v_mov_b32_e32 v21, v47
; %bb.289:
	s_or_b64 exec, exec, s[20:21]
.LBB53_290:
	s_or_b64 exec, exec, s[14:15]
.LBB53_291:
	s_or_b64 exec, exec, s[10:11]
	s_waitcnt vmcnt(3)
	v_trunc_f32_e32 v16, v16
	s_mov_b32 s10, 0x2f800000
	v_mul_f32_e64 v34, |v16|, s10
	v_floor_f32_e32 v34, v34
	s_mov_b32 s10, 0xcf800000
	v_cvt_u32_f32_e32 v35, v34
	v_fma_f32 v34, v34, s10, |v16|
	v_cvt_u32_f32_e32 v34, v34
	v_ashrrev_i32_e32 v16, 31, v16
	v_xor_b32_e32 v35, v35, v16
	v_xor_b32_e32 v34, v34, v16
	v_sub_co_u32_e32 v34, vcc, v34, v16
	v_subb_co_u32_e32 v35, vcc, v35, v16, vcc
	v_cmp_lt_i64_e32 vcc, -1, v[34:35]
	v_mov_b32_e32 v16, 0
	s_and_saveexec_b64 s[10:11], vcc
	s_cbranch_execz .LBB53_303
; %bb.292:
	v_cmp_lt_i64_e32 vcc, 0, v[34:35]
	v_mov_b32_e32 v16, 1.0
	s_and_saveexec_b64 s[14:15], vcc
	s_cbranch_execz .LBB53_302
; %bb.293:
	v_lshlrev_b32_e32 v47, 16, v46
	v_cmp_ne_u64_e32 vcc, 1, v[34:35]
                                        ; implicit-def: $vgpr16
	s_and_saveexec_b64 s[20:21], vcc
	s_xor_b64 s[20:21], exec, s[20:21]
	s_cbranch_execz .LBB53_299
; %bb.294:
	s_mov_b64 s[22:23], 0x81
	v_cmp_gt_u64_e32 vcc, s[22:23], v[34:35]
	v_mov_b32_e32 v16, 0x7fc00000
	s_and_saveexec_b64 s[22:23], vcc
	s_cbranch_execz .LBB53_298
; %bb.295:
	s_mov_b64 s[26:27], 1
	s_mov_b64 s[24:25], 0
	v_mov_b32_e32 v48, 1.0
	v_mov_b32_e32 v16, v47
.LBB53_296:                             ; =>This Inner Loop Header: Depth=1
	s_flbit_i32_b32 s28, s27
	s_min_u32 s30, s28, 32
	s_lshl_b64 s[28:29], s[26:27], s30
	s_min_u32 s28, s28, 1
	s_or_b32 s28, s29, s28
	v_cvt_f32_u32_e32 v49, s28
	s_sub_i32 s30, 32, s30
	s_add_u32 s26, s26, 1
	s_addc_u32 s27, s27, 0
	v_ldexp_f32 v49, v49, s30
	v_cmp_eq_u64_e32 vcc, s[26:27], v[34:35]
	v_mul_f32_e32 v49, v48, v49
	s_or_b64 s[24:25], vcc, s[24:25]
	v_mov_b32_e32 v48, v16
	v_fma_f32 v16, v16, v47, -v49
	s_andn2_b64 exec, exec, s[24:25]
	s_cbranch_execnz .LBB53_296
; %bb.297:
	s_or_b64 exec, exec, s[24:25]
.LBB53_298:
	s_or_b64 exec, exec, s[22:23]
                                        ; implicit-def: $vgpr47
.LBB53_299:
	s_andn2_saveexec_b64 s[20:21], s[20:21]
; %bb.300:
	v_mov_b32_e32 v16, v47
; %bb.301:
	s_or_b64 exec, exec, s[20:21]
.LBB53_302:
	s_or_b64 exec, exec, s[14:15]
.LBB53_303:
	s_or_b64 exec, exec, s[10:11]
	v_trunc_f32_e32 v17, v17
	s_mov_b32 s10, 0x2f800000
	v_mul_f32_e64 v34, |v17|, s10
	v_floor_f32_e32 v34, v34
	s_mov_b32 s10, 0xcf800000
	v_cvt_u32_f32_e32 v35, v34
	v_fma_f32 v34, v34, s10, |v17|
	v_cvt_u32_f32_e32 v34, v34
	v_ashrrev_i32_e32 v17, 31, v17
	v_xor_b32_e32 v35, v35, v17
	v_xor_b32_e32 v34, v34, v17
	v_sub_co_u32_e32 v34, vcc, v34, v17
	v_subb_co_u32_e32 v35, vcc, v35, v17, vcc
	v_cmp_lt_i64_e32 vcc, -1, v[34:35]
	v_mov_b32_e32 v17, 0
	s_and_saveexec_b64 s[10:11], vcc
	s_cbranch_execz .LBB53_315
; %bb.304:
	v_cmp_lt_i64_e32 vcc, 0, v[34:35]
	v_mov_b32_e32 v17, 1.0
	s_and_saveexec_b64 s[14:15], vcc
	s_cbranch_execz .LBB53_314
; %bb.305:
	v_and_b32_e32 v46, 0xffff0000, v46
	v_cmp_ne_u64_e32 vcc, 1, v[34:35]
	s_and_saveexec_b64 s[20:21], vcc
	s_xor_b64 s[20:21], exec, s[20:21]
	s_cbranch_execz .LBB53_311
; %bb.306:
	s_mov_b64 s[22:23], 0x81
	v_cmp_gt_u64_e32 vcc, s[22:23], v[34:35]
	v_mov_b32_e32 v17, 0x7fc00000
	s_and_saveexec_b64 s[22:23], vcc
	s_cbranch_execz .LBB53_310
; %bb.307:
	s_mov_b64 s[26:27], 1
	s_mov_b64 s[24:25], 0
	v_mov_b32_e32 v47, 1.0
	v_mov_b32_e32 v17, v46
.LBB53_308:                             ; =>This Inner Loop Header: Depth=1
	s_flbit_i32_b32 s28, s27
	s_min_u32 s30, s28, 32
	s_lshl_b64 s[28:29], s[26:27], s30
	s_min_u32 s28, s28, 1
	s_or_b32 s28, s29, s28
	v_cvt_f32_u32_e32 v48, s28
	s_sub_i32 s30, 32, s30
	s_add_u32 s26, s26, 1
	s_addc_u32 s27, s27, 0
	v_ldexp_f32 v48, v48, s30
	v_cmp_eq_u64_e32 vcc, s[26:27], v[34:35]
	v_mul_f32_e32 v48, v47, v48
	s_or_b64 s[24:25], vcc, s[24:25]
	v_mov_b32_e32 v47, v17
	v_fma_f32 v17, v17, v46, -v48
	s_andn2_b64 exec, exec, s[24:25]
	s_cbranch_execnz .LBB53_308
; %bb.309:
	s_or_b64 exec, exec, s[24:25]
.LBB53_310:
	s_or_b64 exec, exec, s[22:23]
                                        ; implicit-def: $vgpr46
.LBB53_311:
	s_andn2_saveexec_b64 s[20:21], s[20:21]
; %bb.312:
	v_mov_b32_e32 v17, v46
; %bb.313:
	s_or_b64 exec, exec, s[20:21]
.LBB53_314:
	s_or_b64 exec, exec, s[14:15]
.LBB53_315:
	s_or_b64 exec, exec, s[10:11]
	s_waitcnt vmcnt(2)
	v_trunc_f32_e32 v12, v12
	s_mov_b32 s10, 0x2f800000
	v_mul_f32_e64 v34, |v12|, s10
	v_floor_f32_e32 v34, v34
	s_mov_b32 s10, 0xcf800000
	v_cvt_u32_f32_e32 v35, v34
	v_fma_f32 v34, v34, s10, |v12|
	v_cvt_u32_f32_e32 v34, v34
	v_ashrrev_i32_e32 v12, 31, v12
	v_xor_b32_e32 v35, v35, v12
	v_xor_b32_e32 v34, v34, v12
	v_sub_co_u32_e32 v34, vcc, v34, v12
	v_subb_co_u32_e32 v35, vcc, v35, v12, vcc
	v_cmp_lt_i64_e32 vcc, -1, v[34:35]
	v_mov_b32_e32 v12, 0
	s_and_saveexec_b64 s[10:11], vcc
	s_cbranch_execz .LBB53_327
; %bb.316:
	v_cmp_lt_i64_e32 vcc, 0, v[34:35]
	v_mov_b32_e32 v12, 1.0
	s_and_saveexec_b64 s[14:15], vcc
	s_cbranch_execz .LBB53_326
; %bb.317:
	v_lshlrev_b32_e32 v46, 16, v45
	v_cmp_ne_u64_e32 vcc, 1, v[34:35]
                                        ; implicit-def: $vgpr12
	s_and_saveexec_b64 s[20:21], vcc
	s_xor_b64 s[20:21], exec, s[20:21]
	s_cbranch_execz .LBB53_323
; %bb.318:
	s_mov_b64 s[22:23], 0x81
	v_cmp_gt_u64_e32 vcc, s[22:23], v[34:35]
	v_mov_b32_e32 v12, 0x7fc00000
	s_and_saveexec_b64 s[22:23], vcc
	s_cbranch_execz .LBB53_322
; %bb.319:
	s_mov_b64 s[26:27], 1
	s_mov_b64 s[24:25], 0
	v_mov_b32_e32 v47, 1.0
	v_mov_b32_e32 v12, v46
.LBB53_320:                             ; =>This Inner Loop Header: Depth=1
	s_flbit_i32_b32 s28, s27
	s_min_u32 s30, s28, 32
	s_lshl_b64 s[28:29], s[26:27], s30
	s_min_u32 s28, s28, 1
	s_or_b32 s28, s29, s28
	v_cvt_f32_u32_e32 v48, s28
	s_sub_i32 s30, 32, s30
	s_add_u32 s26, s26, 1
	s_addc_u32 s27, s27, 0
	v_ldexp_f32 v48, v48, s30
	v_cmp_eq_u64_e32 vcc, s[26:27], v[34:35]
	v_mul_f32_e32 v48, v47, v48
	s_or_b64 s[24:25], vcc, s[24:25]
	v_mov_b32_e32 v47, v12
	v_fma_f32 v12, v12, v46, -v48
	s_andn2_b64 exec, exec, s[24:25]
	s_cbranch_execnz .LBB53_320
; %bb.321:
	s_or_b64 exec, exec, s[24:25]
.LBB53_322:
	s_or_b64 exec, exec, s[22:23]
                                        ; implicit-def: $vgpr46
.LBB53_323:
	s_andn2_saveexec_b64 s[20:21], s[20:21]
; %bb.324:
	v_mov_b32_e32 v12, v46
; %bb.325:
	s_or_b64 exec, exec, s[20:21]
.LBB53_326:
	s_or_b64 exec, exec, s[14:15]
.LBB53_327:
	s_or_b64 exec, exec, s[10:11]
	v_trunc_f32_e32 v13, v13
	s_mov_b32 s10, 0x2f800000
	v_mul_f32_e64 v34, |v13|, s10
	v_floor_f32_e32 v34, v34
	s_mov_b32 s10, 0xcf800000
	v_cvt_u32_f32_e32 v35, v34
	v_fma_f32 v34, v34, s10, |v13|
	v_cvt_u32_f32_e32 v34, v34
	v_ashrrev_i32_e32 v13, 31, v13
	v_xor_b32_e32 v35, v35, v13
	v_xor_b32_e32 v34, v34, v13
	v_sub_co_u32_e32 v34, vcc, v34, v13
	v_subb_co_u32_e32 v35, vcc, v35, v13, vcc
	v_cmp_lt_i64_e32 vcc, -1, v[34:35]
	v_mov_b32_e32 v13, 0
	s_and_saveexec_b64 s[10:11], vcc
	s_cbranch_execz .LBB53_339
; %bb.328:
	v_cmp_lt_i64_e32 vcc, 0, v[34:35]
	v_mov_b32_e32 v13, 1.0
	s_and_saveexec_b64 s[14:15], vcc
	s_cbranch_execz .LBB53_338
; %bb.329:
	v_and_b32_e32 v45, 0xffff0000, v45
	v_cmp_ne_u64_e32 vcc, 1, v[34:35]
	s_and_saveexec_b64 s[20:21], vcc
	s_xor_b64 s[20:21], exec, s[20:21]
	s_cbranch_execz .LBB53_335
; %bb.330:
	s_mov_b64 s[22:23], 0x81
	v_cmp_gt_u64_e32 vcc, s[22:23], v[34:35]
	v_mov_b32_e32 v13, 0x7fc00000
	s_and_saveexec_b64 s[22:23], vcc
	s_cbranch_execz .LBB53_334
; %bb.331:
	s_mov_b64 s[26:27], 1
	s_mov_b64 s[24:25], 0
	v_mov_b32_e32 v46, 1.0
	v_mov_b32_e32 v13, v45
.LBB53_332:                             ; =>This Inner Loop Header: Depth=1
	s_flbit_i32_b32 s28, s27
	s_min_u32 s30, s28, 32
	s_lshl_b64 s[28:29], s[26:27], s30
	s_min_u32 s28, s28, 1
	s_or_b32 s28, s29, s28
	v_cvt_f32_u32_e32 v47, s28
	s_sub_i32 s30, 32, s30
	s_add_u32 s26, s26, 1
	s_addc_u32 s27, s27, 0
	v_ldexp_f32 v47, v47, s30
	v_cmp_eq_u64_e32 vcc, s[26:27], v[34:35]
	v_mul_f32_e32 v47, v46, v47
	s_or_b64 s[24:25], vcc, s[24:25]
	v_mov_b32_e32 v46, v13
	v_fma_f32 v13, v13, v45, -v47
	s_andn2_b64 exec, exec, s[24:25]
	s_cbranch_execnz .LBB53_332
; %bb.333:
	s_or_b64 exec, exec, s[24:25]
.LBB53_334:
	s_or_b64 exec, exec, s[22:23]
                                        ; implicit-def: $vgpr45
.LBB53_335:
	s_andn2_saveexec_b64 s[20:21], s[20:21]
; %bb.336:
	v_mov_b32_e32 v13, v45
; %bb.337:
	s_or_b64 exec, exec, s[20:21]
.LBB53_338:
	s_or_b64 exec, exec, s[14:15]
.LBB53_339:
	s_or_b64 exec, exec, s[10:11]
	s_waitcnt vmcnt(1)
	v_trunc_f32_e32 v8, v8
	s_mov_b32 s10, 0x2f800000
	v_mul_f32_e64 v34, |v8|, s10
	v_floor_f32_e32 v34, v34
	s_mov_b32 s10, 0xcf800000
	v_cvt_u32_f32_e32 v35, v34
	v_fma_f32 v34, v34, s10, |v8|
	v_cvt_u32_f32_e32 v34, v34
	v_ashrrev_i32_e32 v8, 31, v8
	v_xor_b32_e32 v35, v35, v8
	v_xor_b32_e32 v34, v34, v8
	v_sub_co_u32_e32 v34, vcc, v34, v8
	v_subb_co_u32_e32 v35, vcc, v35, v8, vcc
	v_cmp_lt_i64_e32 vcc, -1, v[34:35]
	v_mov_b32_e32 v8, 0
	s_and_saveexec_b64 s[10:11], vcc
	s_cbranch_execz .LBB53_351
; %bb.340:
	v_cmp_lt_i64_e32 vcc, 0, v[34:35]
	v_mov_b32_e32 v8, 1.0
	s_and_saveexec_b64 s[14:15], vcc
	s_cbranch_execz .LBB53_350
; %bb.341:
	v_lshlrev_b32_e32 v45, 16, v44
	v_cmp_ne_u64_e32 vcc, 1, v[34:35]
                                        ; implicit-def: $vgpr8
	s_and_saveexec_b64 s[20:21], vcc
	s_xor_b64 s[20:21], exec, s[20:21]
	s_cbranch_execz .LBB53_347
; %bb.342:
	s_mov_b64 s[22:23], 0x81
	v_cmp_gt_u64_e32 vcc, s[22:23], v[34:35]
	v_mov_b32_e32 v8, 0x7fc00000
	s_and_saveexec_b64 s[22:23], vcc
	s_cbranch_execz .LBB53_346
; %bb.343:
	s_mov_b64 s[26:27], 1
	s_mov_b64 s[24:25], 0
	v_mov_b32_e32 v46, 1.0
	v_mov_b32_e32 v8, v45
.LBB53_344:                             ; =>This Inner Loop Header: Depth=1
	s_flbit_i32_b32 s28, s27
	s_min_u32 s30, s28, 32
	s_lshl_b64 s[28:29], s[26:27], s30
	s_min_u32 s28, s28, 1
	s_or_b32 s28, s29, s28
	v_cvt_f32_u32_e32 v47, s28
	s_sub_i32 s30, 32, s30
	s_add_u32 s26, s26, 1
	s_addc_u32 s27, s27, 0
	v_ldexp_f32 v47, v47, s30
	v_cmp_eq_u64_e32 vcc, s[26:27], v[34:35]
	v_mul_f32_e32 v47, v46, v47
	s_or_b64 s[24:25], vcc, s[24:25]
	v_mov_b32_e32 v46, v8
	v_fma_f32 v8, v8, v45, -v47
	s_andn2_b64 exec, exec, s[24:25]
	s_cbranch_execnz .LBB53_344
; %bb.345:
	s_or_b64 exec, exec, s[24:25]
.LBB53_346:
	s_or_b64 exec, exec, s[22:23]
                                        ; implicit-def: $vgpr45
.LBB53_347:
	s_andn2_saveexec_b64 s[20:21], s[20:21]
; %bb.348:
	v_mov_b32_e32 v8, v45
; %bb.349:
	s_or_b64 exec, exec, s[20:21]
.LBB53_350:
	s_or_b64 exec, exec, s[14:15]
.LBB53_351:
	s_or_b64 exec, exec, s[10:11]
	v_trunc_f32_e32 v9, v9
	s_mov_b32 s10, 0x2f800000
	v_mul_f32_e64 v34, |v9|, s10
	v_floor_f32_e32 v34, v34
	s_mov_b32 s10, 0xcf800000
	v_cvt_u32_f32_e32 v35, v34
	v_fma_f32 v34, v34, s10, |v9|
	v_cvt_u32_f32_e32 v34, v34
	v_ashrrev_i32_e32 v9, 31, v9
	v_xor_b32_e32 v35, v35, v9
	v_xor_b32_e32 v34, v34, v9
	v_sub_co_u32_e32 v34, vcc, v34, v9
	v_subb_co_u32_e32 v35, vcc, v35, v9, vcc
	v_cmp_lt_i64_e32 vcc, -1, v[34:35]
	v_mov_b32_e32 v9, 0
	s_and_saveexec_b64 s[10:11], vcc
	s_cbranch_execz .LBB53_363
; %bb.352:
	v_cmp_lt_i64_e32 vcc, 0, v[34:35]
	v_mov_b32_e32 v9, 1.0
	s_and_saveexec_b64 s[14:15], vcc
	s_cbranch_execz .LBB53_362
; %bb.353:
	v_and_b32_e32 v44, 0xffff0000, v44
	v_cmp_ne_u64_e32 vcc, 1, v[34:35]
	s_and_saveexec_b64 s[20:21], vcc
	s_xor_b64 s[20:21], exec, s[20:21]
	s_cbranch_execz .LBB53_359
; %bb.354:
	s_mov_b64 s[22:23], 0x81
	v_cmp_gt_u64_e32 vcc, s[22:23], v[34:35]
	v_mov_b32_e32 v9, 0x7fc00000
	s_and_saveexec_b64 s[22:23], vcc
	s_cbranch_execz .LBB53_358
; %bb.355:
	s_mov_b64 s[26:27], 1
	s_mov_b64 s[24:25], 0
	v_mov_b32_e32 v45, 1.0
	v_mov_b32_e32 v9, v44
.LBB53_356:                             ; =>This Inner Loop Header: Depth=1
	s_flbit_i32_b32 s28, s27
	s_min_u32 s30, s28, 32
	s_lshl_b64 s[28:29], s[26:27], s30
	s_min_u32 s28, s28, 1
	s_or_b32 s28, s29, s28
	v_cvt_f32_u32_e32 v46, s28
	s_sub_i32 s30, 32, s30
	s_add_u32 s26, s26, 1
	s_addc_u32 s27, s27, 0
	v_ldexp_f32 v46, v46, s30
	v_cmp_eq_u64_e32 vcc, s[26:27], v[34:35]
	v_mul_f32_e32 v46, v45, v46
	s_or_b64 s[24:25], vcc, s[24:25]
	v_mov_b32_e32 v45, v9
	v_fma_f32 v9, v9, v44, -v46
	s_andn2_b64 exec, exec, s[24:25]
	s_cbranch_execnz .LBB53_356
; %bb.357:
	s_or_b64 exec, exec, s[24:25]
.LBB53_358:
	s_or_b64 exec, exec, s[22:23]
                                        ; implicit-def: $vgpr44
.LBB53_359:
	s_andn2_saveexec_b64 s[20:21], s[20:21]
; %bb.360:
	v_mov_b32_e32 v9, v44
; %bb.361:
	s_or_b64 exec, exec, s[20:21]
.LBB53_362:
	s_or_b64 exec, exec, s[14:15]
.LBB53_363:
	s_or_b64 exec, exec, s[10:11]
	s_waitcnt vmcnt(0)
	v_trunc_f32_e32 v4, v4
	s_mov_b32 s10, 0x2f800000
	v_mul_f32_e64 v34, |v4|, s10
	v_floor_f32_e32 v34, v34
	s_mov_b32 s10, 0xcf800000
	v_cvt_u32_f32_e32 v35, v34
	v_fma_f32 v34, v34, s10, |v4|
	v_cvt_u32_f32_e32 v34, v34
	v_ashrrev_i32_e32 v4, 31, v4
	v_xor_b32_e32 v35, v35, v4
	v_xor_b32_e32 v34, v34, v4
	v_sub_co_u32_e32 v34, vcc, v34, v4
	v_subb_co_u32_e32 v35, vcc, v35, v4, vcc
	v_cmp_lt_i64_e32 vcc, -1, v[34:35]
	v_mov_b32_e32 v4, 0
	s_and_saveexec_b64 s[10:11], vcc
	s_cbranch_execz .LBB53_375
; %bb.364:
	v_cmp_lt_i64_e32 vcc, 0, v[34:35]
	v_mov_b32_e32 v4, 1.0
	s_and_saveexec_b64 s[14:15], vcc
	s_cbranch_execz .LBB53_374
; %bb.365:
	v_lshlrev_b32_e32 v44, 16, v43
	v_cmp_ne_u64_e32 vcc, 1, v[34:35]
                                        ; implicit-def: $vgpr4
	s_and_saveexec_b64 s[20:21], vcc
	s_xor_b64 s[20:21], exec, s[20:21]
	s_cbranch_execz .LBB53_371
; %bb.366:
	s_mov_b64 s[22:23], 0x81
	v_cmp_gt_u64_e32 vcc, s[22:23], v[34:35]
	v_mov_b32_e32 v4, 0x7fc00000
	s_and_saveexec_b64 s[22:23], vcc
	s_cbranch_execz .LBB53_370
; %bb.367:
	s_mov_b64 s[26:27], 1
	s_mov_b64 s[24:25], 0
	v_mov_b32_e32 v45, 1.0
	v_mov_b32_e32 v4, v44
.LBB53_368:                             ; =>This Inner Loop Header: Depth=1
	s_flbit_i32_b32 s28, s27
	s_min_u32 s30, s28, 32
	s_lshl_b64 s[28:29], s[26:27], s30
	s_min_u32 s28, s28, 1
	s_or_b32 s28, s29, s28
	v_cvt_f32_u32_e32 v46, s28
	s_sub_i32 s30, 32, s30
	s_add_u32 s26, s26, 1
	s_addc_u32 s27, s27, 0
	v_ldexp_f32 v46, v46, s30
	v_cmp_eq_u64_e32 vcc, s[26:27], v[34:35]
	v_mul_f32_e32 v46, v45, v46
	s_or_b64 s[24:25], vcc, s[24:25]
	v_mov_b32_e32 v45, v4
	v_fma_f32 v4, v4, v44, -v46
	s_andn2_b64 exec, exec, s[24:25]
	s_cbranch_execnz .LBB53_368
; %bb.369:
	s_or_b64 exec, exec, s[24:25]
.LBB53_370:
	s_or_b64 exec, exec, s[22:23]
                                        ; implicit-def: $vgpr44
.LBB53_371:
	s_andn2_saveexec_b64 s[20:21], s[20:21]
; %bb.372:
	v_mov_b32_e32 v4, v44
; %bb.373:
	s_or_b64 exec, exec, s[20:21]
.LBB53_374:
	s_or_b64 exec, exec, s[14:15]
.LBB53_375:
	s_or_b64 exec, exec, s[10:11]
	v_trunc_f32_e32 v5, v5
	s_mov_b32 s10, 0x2f800000
	v_mul_f32_e64 v34, |v5|, s10
	v_floor_f32_e32 v34, v34
	s_mov_b32 s10, 0xcf800000
	v_cvt_u32_f32_e32 v35, v34
	v_fma_f32 v34, v34, s10, |v5|
	v_cvt_u32_f32_e32 v34, v34
	v_ashrrev_i32_e32 v5, 31, v5
	v_xor_b32_e32 v35, v35, v5
	v_xor_b32_e32 v34, v34, v5
	v_sub_co_u32_e32 v34, vcc, v34, v5
	v_subb_co_u32_e32 v35, vcc, v35, v5, vcc
	v_cmp_lt_i64_e32 vcc, -1, v[34:35]
	v_mov_b32_e32 v5, 0
	s_and_saveexec_b64 s[10:11], vcc
	s_cbranch_execz .LBB53_387
; %bb.376:
	v_cmp_lt_i64_e32 vcc, 0, v[34:35]
	v_mov_b32_e32 v5, 1.0
	s_and_saveexec_b64 s[14:15], vcc
	s_cbranch_execz .LBB53_386
; %bb.377:
	v_and_b32_e32 v43, 0xffff0000, v43
	v_cmp_ne_u64_e32 vcc, 1, v[34:35]
	s_and_saveexec_b64 s[20:21], vcc
	s_xor_b64 s[20:21], exec, s[20:21]
	s_cbranch_execz .LBB53_383
; %bb.378:
	s_mov_b64 s[22:23], 0x81
	v_cmp_gt_u64_e32 vcc, s[22:23], v[34:35]
	v_mov_b32_e32 v5, 0x7fc00000
	s_and_saveexec_b64 s[22:23], vcc
	s_cbranch_execz .LBB53_382
; %bb.379:
	s_mov_b64 s[26:27], 1
	s_mov_b64 s[24:25], 0
	v_mov_b32_e32 v44, 1.0
	v_mov_b32_e32 v5, v43
.LBB53_380:                             ; =>This Inner Loop Header: Depth=1
	s_flbit_i32_b32 s28, s27
	s_min_u32 s30, s28, 32
	s_lshl_b64 s[28:29], s[26:27], s30
	s_min_u32 s28, s28, 1
	s_or_b32 s28, s29, s28
	v_cvt_f32_u32_e32 v45, s28
	s_sub_i32 s30, 32, s30
	s_add_u32 s26, s26, 1
	s_addc_u32 s27, s27, 0
	v_ldexp_f32 v45, v45, s30
	v_cmp_eq_u64_e32 vcc, s[26:27], v[34:35]
	v_mul_f32_e32 v45, v44, v45
	s_or_b64 s[24:25], vcc, s[24:25]
	v_mov_b32_e32 v44, v5
	v_fma_f32 v5, v5, v43, -v45
	s_andn2_b64 exec, exec, s[24:25]
	s_cbranch_execnz .LBB53_380
; %bb.381:
	s_or_b64 exec, exec, s[24:25]
.LBB53_382:
	s_or_b64 exec, exec, s[22:23]
                                        ; implicit-def: $vgpr43
.LBB53_383:
	s_andn2_saveexec_b64 s[20:21], s[20:21]
; %bb.384:
	v_mov_b32_e32 v5, v43
; %bb.385:
	s_or_b64 exec, exec, s[20:21]
.LBB53_386:
	s_or_b64 exec, exec, s[14:15]
.LBB53_387:
	s_or_b64 exec, exec, s[10:11]
	s_add_u32 s8, s16, s8
	s_addc_u32 s9, s17, s9
	v_mov_b32_e32 v34, s9
	v_add_co_u32_e32 v35, vcc, s8, v1
	v_addc_co_u32_e32 v34, vcc, 0, v34, vcc
	global_store_dwordx2 v1, v[2:3], s[8:9]
	v_add_co_u32_e32 v2, vcc, 0x1000, v35
	v_addc_co_u32_e32 v3, vcc, 0, v34, vcc
	global_store_dwordx2 v[2:3], v[6:7], off
	global_store_dwordx2 v41, v[10:11], s[8:9]
	v_add_co_u32_e32 v2, vcc, 0x3000, v35
	v_addc_co_u32_e32 v3, vcc, 0, v34, vcc
	global_store_dwordx2 v[2:3], v[14:15], off
	;; [unrolled: 4-line block ×8, first 2 shown]
	s_branch .LBB53_2
.LBB53_388:
	s_load_dword s10, s[4:5], 0x24
	s_load_dwordx4 s[20:23], s[4:5], 0x28
	s_add_u32 s8, s4, 56
	s_addc_u32 s9, s5, 0
	v_mov_b32_e32 v31, v0
	s_waitcnt lgkmcnt(0)
	v_lshrrev_b16_e64 v8, 8, s10
	v_mov_b32_e32 v0, s16
	v_mov_b32_e32 v1, s17
	;; [unrolled: 1-line block ×12, first 2 shown]
	s_getpc_b64 s[4:5]
	s_add_u32 s4, s4, _ZN2at6native25elementwise_kernel_helperILb1ENS0_13BinaryFunctorIfffZZZNS0_12_GLOBAL__N_133hermite_polynomial_he_kernel_cudaERNS_18TensorIteratorBaseEENKUlvE_clEvENKUlvE0_clEvEUlffE_EENS0_6memory8policies11unroll_baseILi512ESt5arrayIPcLm3EE23TrivialOffsetCalculatorILi2EjESG_ILi1EjENSA_12LoadWithCastILi2EEENSA_13StoreWithCastILi1EEELi32ELi1EEEEEvT0_T1_@rel32@lo+4
	s_addc_u32 s5, s5, _ZN2at6native25elementwise_kernel_helperILb1ENS0_13BinaryFunctorIfffZZZNS0_12_GLOBAL__N_133hermite_polynomial_he_kernel_cudaERNS_18TensorIteratorBaseEENKUlvE_clEvENKUlvE0_clEvEUlffE_EENS0_6memory8policies11unroll_baseILi512ESt5arrayIPcLm3EE23TrivialOffsetCalculatorILi2EjESG_ILi1EjENSA_12LoadWithCastILi2EEENSA_13StoreWithCastILi1EEELi32ELi1EEEEEvT0_T1_@rel32@hi+12
	s_swappc_b64 s[30:31], s[4:5]
	s_endpgm
	.section	.rodata,"a",@progbits
	.p2align	6, 0x0
	.amdhsa_kernel _ZN2at6native39vectorized_templated_elementwise_kernelILi2ENS0_13BinaryFunctorIfffZZZNS0_12_GLOBAL__N_133hermite_polynomial_he_kernel_cudaERNS_18TensorIteratorBaseEENKUlvE_clEvENKUlvE0_clEvEUlffE_EESt5arrayIPcLm3EE23TrivialOffsetCalculatorILi2EjESD_ILi1EjENS0_6memory12LoadWithCastILi2EEENSG_13StoreWithCastILi1EEEfJN3c108BFloat16EfEEEviT0_T1_T2_T3_T4_T5_
		.amdhsa_group_segment_fixed_size 0
		.amdhsa_private_segment_fixed_size 288
		.amdhsa_kernarg_size 312
		.amdhsa_user_sgpr_count 8
		.amdhsa_user_sgpr_private_segment_buffer 1
		.amdhsa_user_sgpr_dispatch_ptr 0
		.amdhsa_user_sgpr_queue_ptr 0
		.amdhsa_user_sgpr_kernarg_segment_ptr 1
		.amdhsa_user_sgpr_dispatch_id 0
		.amdhsa_user_sgpr_flat_scratch_init 1
		.amdhsa_user_sgpr_kernarg_preload_length 0
		.amdhsa_user_sgpr_kernarg_preload_offset 0
		.amdhsa_user_sgpr_private_segment_size 0
		.amdhsa_uses_dynamic_stack 0
		.amdhsa_system_sgpr_private_segment_wavefront_offset 1
		.amdhsa_system_sgpr_workgroup_id_x 1
		.amdhsa_system_sgpr_workgroup_id_y 0
		.amdhsa_system_sgpr_workgroup_id_z 0
		.amdhsa_system_sgpr_workgroup_info 0
		.amdhsa_system_vgpr_workitem_id 0
		.amdhsa_next_free_vgpr 120
		.amdhsa_next_free_sgpr 98
		.amdhsa_accum_offset 120
		.amdhsa_reserve_vcc 1
		.amdhsa_reserve_flat_scratch 1
		.amdhsa_float_round_mode_32 0
		.amdhsa_float_round_mode_16_64 0
		.amdhsa_float_denorm_mode_32 3
		.amdhsa_float_denorm_mode_16_64 3
		.amdhsa_dx10_clamp 1
		.amdhsa_ieee_mode 1
		.amdhsa_fp16_overflow 0
		.amdhsa_tg_split 0
		.amdhsa_exception_fp_ieee_invalid_op 0
		.amdhsa_exception_fp_denorm_src 0
		.amdhsa_exception_fp_ieee_div_zero 0
		.amdhsa_exception_fp_ieee_overflow 0
		.amdhsa_exception_fp_ieee_underflow 0
		.amdhsa_exception_fp_ieee_inexact 0
		.amdhsa_exception_int_div_zero 0
	.end_amdhsa_kernel
	.section	.text._ZN2at6native39vectorized_templated_elementwise_kernelILi2ENS0_13BinaryFunctorIfffZZZNS0_12_GLOBAL__N_133hermite_polynomial_he_kernel_cudaERNS_18TensorIteratorBaseEENKUlvE_clEvENKUlvE0_clEvEUlffE_EESt5arrayIPcLm3EE23TrivialOffsetCalculatorILi2EjESD_ILi1EjENS0_6memory12LoadWithCastILi2EEENSG_13StoreWithCastILi1EEEfJN3c108BFloat16EfEEEviT0_T1_T2_T3_T4_T5_,"axG",@progbits,_ZN2at6native39vectorized_templated_elementwise_kernelILi2ENS0_13BinaryFunctorIfffZZZNS0_12_GLOBAL__N_133hermite_polynomial_he_kernel_cudaERNS_18TensorIteratorBaseEENKUlvE_clEvENKUlvE0_clEvEUlffE_EESt5arrayIPcLm3EE23TrivialOffsetCalculatorILi2EjESD_ILi1EjENS0_6memory12LoadWithCastILi2EEENSG_13StoreWithCastILi1EEEfJN3c108BFloat16EfEEEviT0_T1_T2_T3_T4_T5_,comdat
.Lfunc_end53:
	.size	_ZN2at6native39vectorized_templated_elementwise_kernelILi2ENS0_13BinaryFunctorIfffZZZNS0_12_GLOBAL__N_133hermite_polynomial_he_kernel_cudaERNS_18TensorIteratorBaseEENKUlvE_clEvENKUlvE0_clEvEUlffE_EESt5arrayIPcLm3EE23TrivialOffsetCalculatorILi2EjESD_ILi1EjENS0_6memory12LoadWithCastILi2EEENSG_13StoreWithCastILi1EEEfJN3c108BFloat16EfEEEviT0_T1_T2_T3_T4_T5_, .Lfunc_end53-_ZN2at6native39vectorized_templated_elementwise_kernelILi2ENS0_13BinaryFunctorIfffZZZNS0_12_GLOBAL__N_133hermite_polynomial_he_kernel_cudaERNS_18TensorIteratorBaseEENKUlvE_clEvENKUlvE0_clEvEUlffE_EESt5arrayIPcLm3EE23TrivialOffsetCalculatorILi2EjESD_ILi1EjENS0_6memory12LoadWithCastILi2EEENSG_13StoreWithCastILi1EEEfJN3c108BFloat16EfEEEviT0_T1_T2_T3_T4_T5_
                                        ; -- End function
	.section	.AMDGPU.csdata,"",@progbits
; Kernel info:
; codeLenInByte = 9776
; NumSgprs: 104
; NumVgprs: 120
; NumAgprs: 0
; TotalNumVgprs: 120
; ScratchSize: 288
; MemoryBound: 0
; FloatMode: 240
; IeeeMode: 1
; LDSByteSize: 0 bytes/workgroup (compile time only)
; SGPRBlocks: 12
; VGPRBlocks: 14
; NumSGPRsForWavesPerEU: 104
; NumVGPRsForWavesPerEU: 120
; AccumOffset: 120
; Occupancy: 4
; WaveLimiterHint : 0
; COMPUTE_PGM_RSRC2:SCRATCH_EN: 1
; COMPUTE_PGM_RSRC2:USER_SGPR: 8
; COMPUTE_PGM_RSRC2:TRAP_HANDLER: 0
; COMPUTE_PGM_RSRC2:TGID_X_EN: 1
; COMPUTE_PGM_RSRC2:TGID_Y_EN: 0
; COMPUTE_PGM_RSRC2:TGID_Z_EN: 0
; COMPUTE_PGM_RSRC2:TIDIG_COMP_CNT: 0
; COMPUTE_PGM_RSRC3_GFX90A:ACCUM_OFFSET: 29
; COMPUTE_PGM_RSRC3_GFX90A:TG_SPLIT: 0
	.section	.text._ZN2at6native39vectorized_templated_elementwise_kernelILi8ENS0_13BinaryFunctorIfffZZZNS0_12_GLOBAL__N_133hermite_polynomial_he_kernel_cudaERNS_18TensorIteratorBaseEENKUlvE_clEvENKUlvE0_clEvEUlffE_EESt5arrayIPcLm3EE23TrivialOffsetCalculatorILi2EjESD_ILi1EjENS0_6memory12LoadWithCastILi2EEENSG_13StoreWithCastILi1EEEN3c108BFloat16EJSM_fEEEviT0_T1_T2_T3_T4_T5_,"axG",@progbits,_ZN2at6native39vectorized_templated_elementwise_kernelILi8ENS0_13BinaryFunctorIfffZZZNS0_12_GLOBAL__N_133hermite_polynomial_he_kernel_cudaERNS_18TensorIteratorBaseEENKUlvE_clEvENKUlvE0_clEvEUlffE_EESt5arrayIPcLm3EE23TrivialOffsetCalculatorILi2EjESD_ILi1EjENS0_6memory12LoadWithCastILi2EEENSG_13StoreWithCastILi1EEEN3c108BFloat16EJSM_fEEEviT0_T1_T2_T3_T4_T5_,comdat
	.globl	_ZN2at6native39vectorized_templated_elementwise_kernelILi8ENS0_13BinaryFunctorIfffZZZNS0_12_GLOBAL__N_133hermite_polynomial_he_kernel_cudaERNS_18TensorIteratorBaseEENKUlvE_clEvENKUlvE0_clEvEUlffE_EESt5arrayIPcLm3EE23TrivialOffsetCalculatorILi2EjESD_ILi1EjENS0_6memory12LoadWithCastILi2EEENSG_13StoreWithCastILi1EEEN3c108BFloat16EJSM_fEEEviT0_T1_T2_T3_T4_T5_ ; -- Begin function _ZN2at6native39vectorized_templated_elementwise_kernelILi8ENS0_13BinaryFunctorIfffZZZNS0_12_GLOBAL__N_133hermite_polynomial_he_kernel_cudaERNS_18TensorIteratorBaseEENKUlvE_clEvENKUlvE0_clEvEUlffE_EESt5arrayIPcLm3EE23TrivialOffsetCalculatorILi2EjESD_ILi1EjENS0_6memory12LoadWithCastILi2EEENSG_13StoreWithCastILi1EEEN3c108BFloat16EJSM_fEEEviT0_T1_T2_T3_T4_T5_
	.p2align	8
	.type	_ZN2at6native39vectorized_templated_elementwise_kernelILi8ENS0_13BinaryFunctorIfffZZZNS0_12_GLOBAL__N_133hermite_polynomial_he_kernel_cudaERNS_18TensorIteratorBaseEENKUlvE_clEvENKUlvE0_clEvEUlffE_EESt5arrayIPcLm3EE23TrivialOffsetCalculatorILi2EjESD_ILi1EjENS0_6memory12LoadWithCastILi2EEENSG_13StoreWithCastILi1EEEN3c108BFloat16EJSM_fEEEviT0_T1_T2_T3_T4_T5_,@function
_ZN2at6native39vectorized_templated_elementwise_kernelILi8ENS0_13BinaryFunctorIfffZZZNS0_12_GLOBAL__N_133hermite_polynomial_he_kernel_cudaERNS_18TensorIteratorBaseEENKUlvE_clEvENKUlvE0_clEvEUlffE_EESt5arrayIPcLm3EE23TrivialOffsetCalculatorILi2EjESD_ILi1EjENS0_6memory12LoadWithCastILi2EEENSG_13StoreWithCastILi1EEEN3c108BFloat16EJSM_fEEEviT0_T1_T2_T3_T4_T5_: ; @_ZN2at6native39vectorized_templated_elementwise_kernelILi8ENS0_13BinaryFunctorIfffZZZNS0_12_GLOBAL__N_133hermite_polynomial_he_kernel_cudaERNS_18TensorIteratorBaseEENKUlvE_clEvENKUlvE0_clEvEUlffE_EESt5arrayIPcLm3EE23TrivialOffsetCalculatorILi2EjESD_ILi1EjENS0_6memory12LoadWithCastILi2EEENSG_13StoreWithCastILi1EEEN3c108BFloat16EJSM_fEEEviT0_T1_T2_T3_T4_T5_
; %bb.0:
	s_add_u32 flat_scratch_lo, s6, s9
	s_addc_u32 flat_scratch_hi, s7, 0
	s_add_u32 s0, s0, s9
	s_mov_b32 s12, s8
	s_load_dword s8, s[4:5], 0x38
	s_load_dwordx2 s[6:7], s[4:5], 0x18
	s_load_dword s9, s[4:5], 0x0
	s_load_dwordx4 s[16:19], s[4:5], 0x8
	s_addc_u32 s1, s1, 0
	s_not_b32 s10, s12
	s_waitcnt lgkmcnt(0)
	s_add_i32 s8, s8, s10
	s_lshl_b32 s10, s8, 14
	s_sub_i32 s13, s9, s10
	s_cmpk_gt_i32 s13, 0x3fff
	s_mov_b64 s[8:9], -1
	s_mov_b32 s32, 0
	s_cbranch_scc1 .LBB54_3
; %bb.1:
	s_and_b64 vcc, exec, s[8:9]
	s_cbranch_vccnz .LBB54_388
.LBB54_2:
	s_endpgm
.LBB54_3:
	s_ashr_i32 s11, s10, 31
	s_lshl_b64 s[8:9], s[10:11], 1
	s_add_u32 s14, s18, s8
	s_addc_u32 s15, s19, s9
	v_lshlrev_b32_e32 v52, 4, v0
	v_mov_b32_e32 v1, s15
	v_add_co_u32_e32 v4, vcc, s14, v52
	v_addc_co_u32_e32 v5, vcc, 0, v1, vcc
	v_add_co_u32_e32 v2, vcc, 0x2000, v4
	v_addc_co_u32_e32 v3, vcc, 0, v5, vcc
	v_or_b32_e32 v8, 0x400, v0
	s_lshl_b64 s[10:11], s[10:11], 2
	v_lshlrev_b32_e32 v1, 4, v8
	v_add_co_u32_e32 v6, vcc, 0x6000, v4
	s_add_u32 s10, s6, s10
	global_load_dwordx4 v[38:41], v52, s[14:15]
	global_load_dwordx4 v[26:29], v[2:3], off
	v_addc_co_u32_e32 v7, vcc, 0, v5, vcc
	global_load_dwordx4 v[14:17], v1, s[14:15]
	global_load_dwordx4 v[2:5], v[6:7], off
	s_addc_u32 s11, s7, s11
	v_lshlrev_b32_e32 v6, 5, v0
	global_load_dwordx4 v[42:45], v6, s[10:11] offset:16
	global_load_dwordx4 v[46:49], v6, s[10:11]
	v_mov_b32_e32 v7, s11
	v_add_co_u32_e32 v9, vcc, s10, v6
	v_addc_co_u32_e32 v10, vcc, 0, v7, vcc
	s_movk_i32 s14, 0x4000
	v_add_co_u32_e32 v6, vcc, s14, v9
	v_addc_co_u32_e32 v7, vcc, 0, v10, vcc
	global_load_dwordx4 v[34:37], v[6:7], off
	global_load_dwordx4 v[30:33], v[6:7], off offset:16
	v_lshlrev_b32_e32 v6, 5, v8
	global_load_dwordx4 v[18:21], v6, s[10:11] offset:16
	global_load_dwordx4 v[22:25], v6, s[10:11]
	s_mov_b32 s10, 0xc000
	v_add_co_u32_e32 v50, vcc, s10, v9
	v_addc_co_u32_e32 v51, vcc, 0, v10, vcc
	global_load_dwordx4 v[10:13], v[50:51], off
	global_load_dwordx4 v[6:9], v[50:51], off offset:16
	s_movk_i32 s10, 0x7fff
	v_mov_b32_e32 v50, 0x7fc00000
	s_mov_b32 s11, 0x2f800000
	s_mov_b32 s14, 0xcf800000
	s_waitcnt vmcnt(6)
	v_bfe_u32 v51, v46, 16, 1
	v_add3_u32 v51, v46, v51, s10
	v_and_b32_e32 v51, 0xffff0000, v51
	v_cmp_o_f32_e32 vcc, v46, v46
	v_cndmask_b32_e32 v46, v50, v51, vcc
	v_trunc_f32_e32 v46, v46
	v_mul_f32_e64 v50, |v46|, s11
	v_floor_f32_e32 v50, v50
	v_fma_f32 v51, v50, s14, |v46|
	v_cvt_u32_f32_e32 v50, v50
	v_cvt_u32_f32_e32 v51, v51
	v_ashrrev_i32_e32 v46, 31, v46
	v_xor_b32_e32 v53, v50, v46
	v_xor_b32_e32 v50, v51, v46
	v_sub_co_u32_e32 v50, vcc, v50, v46
	v_subb_co_u32_e32 v51, vcc, v53, v46, vcc
	v_cmp_lt_i64_e32 vcc, -1, v[50:51]
	v_mov_b32_e32 v53, 0
	s_and_saveexec_b64 s[10:11], vcc
	s_cbranch_execz .LBB54_15
; %bb.4:
	v_cmp_lt_i64_e32 vcc, 0, v[50:51]
	v_mov_b32_e32 v53, 1.0
	s_and_saveexec_b64 s[14:15], vcc
	s_cbranch_execz .LBB54_14
; %bb.5:
	v_lshlrev_b32_e32 v46, 16, v38
	v_cmp_ne_u64_e32 vcc, 1, v[50:51]
                                        ; implicit-def: $vgpr53
	s_and_saveexec_b64 s[20:21], vcc
	s_xor_b64 s[20:21], exec, s[20:21]
	s_cbranch_execz .LBB54_11
; %bb.6:
	s_mov_b64 s[22:23], 0x81
	v_cmp_gt_u64_e32 vcc, s[22:23], v[50:51]
	v_mov_b32_e32 v53, 0x7fc00000
	s_and_saveexec_b64 s[22:23], vcc
	s_cbranch_execz .LBB54_10
; %bb.7:
	s_mov_b64 s[26:27], 1
	s_mov_b64 s[24:25], 0
	v_mov_b32_e32 v54, 1.0
	v_mov_b32_e32 v53, v46
.LBB54_8:                               ; =>This Inner Loop Header: Depth=1
	s_flbit_i32_b32 s28, s27
	s_min_u32 s30, s28, 32
	s_lshl_b64 s[28:29], s[26:27], s30
	s_min_u32 s28, s28, 1
	s_or_b32 s28, s29, s28
	v_cvt_f32_u32_e32 v55, s28
	s_sub_i32 s30, 32, s30
	s_add_u32 s26, s26, 1
	s_addc_u32 s27, s27, 0
	v_ldexp_f32 v55, v55, s30
	v_cmp_eq_u64_e32 vcc, s[26:27], v[50:51]
	v_mul_f32_e32 v55, v54, v55
	s_or_b64 s[24:25], vcc, s[24:25]
	v_mov_b32_e32 v54, v53
	v_fma_f32 v53, v53, v46, -v55
	s_andn2_b64 exec, exec, s[24:25]
	s_cbranch_execnz .LBB54_8
; %bb.9:
	s_or_b64 exec, exec, s[24:25]
.LBB54_10:
	s_or_b64 exec, exec, s[22:23]
                                        ; implicit-def: $vgpr46
.LBB54_11:
	s_andn2_saveexec_b64 s[20:21], s[20:21]
; %bb.12:
	v_mov_b32_e32 v53, v46
; %bb.13:
	s_or_b64 exec, exec, s[20:21]
.LBB54_14:
	s_or_b64 exec, exec, s[14:15]
.LBB54_15:
	s_or_b64 exec, exec, s[10:11]
	v_bfe_u32 v46, v47, 16, 1
	s_movk_i32 s10, 0x7fff
	v_add3_u32 v46, v47, v46, s10
	v_and_b32_e32 v46, 0xffff0000, v46
	v_mov_b32_e32 v50, 0x7fc00000
	v_cmp_o_f32_e32 vcc, v47, v47
	v_cndmask_b32_e32 v46, v50, v46, vcc
	v_trunc_f32_e32 v46, v46
	s_mov_b32 s10, 0x2f800000
	v_mul_f32_e64 v47, |v46|, s10
	v_floor_f32_e32 v47, v47
	s_mov_b32 s10, 0xcf800000
	v_fma_f32 v50, v47, s10, |v46|
	v_cvt_u32_f32_e32 v50, v50
	v_cvt_u32_f32_e32 v47, v47
	v_ashrrev_i32_e32 v51, 31, v46
	v_xor_b32_e32 v46, v50, v51
	v_xor_b32_e32 v47, v47, v51
	v_sub_co_u32_e32 v46, vcc, v46, v51
	v_subb_co_u32_e32 v47, vcc, v47, v51, vcc
	v_cmp_lt_i64_e32 vcc, -1, v[46:47]
	v_mov_b32_e32 v50, 0
	s_and_saveexec_b64 s[10:11], vcc
	s_cbranch_execz .LBB54_27
; %bb.16:
	v_cmp_lt_i64_e32 vcc, 0, v[46:47]
	v_mov_b32_e32 v50, 1.0
	s_and_saveexec_b64 s[14:15], vcc
	s_cbranch_execz .LBB54_26
; %bb.17:
	v_and_b32_e32 v38, 0xffff0000, v38
	v_cmp_ne_u64_e32 vcc, 1, v[46:47]
                                        ; implicit-def: $vgpr50
	s_and_saveexec_b64 s[20:21], vcc
	s_xor_b64 s[20:21], exec, s[20:21]
	s_cbranch_execz .LBB54_23
; %bb.18:
	s_mov_b64 s[22:23], 0x81
	v_cmp_gt_u64_e32 vcc, s[22:23], v[46:47]
	v_mov_b32_e32 v50, 0x7fc00000
	s_and_saveexec_b64 s[22:23], vcc
	s_cbranch_execz .LBB54_22
; %bb.19:
	s_mov_b64 s[26:27], 1
	s_mov_b64 s[24:25], 0
	v_mov_b32_e32 v51, 1.0
	v_mov_b32_e32 v50, v38
.LBB54_20:                              ; =>This Inner Loop Header: Depth=1
	s_flbit_i32_b32 s28, s27
	s_min_u32 s30, s28, 32
	s_lshl_b64 s[28:29], s[26:27], s30
	s_min_u32 s28, s28, 1
	s_or_b32 s28, s29, s28
	v_cvt_f32_u32_e32 v54, s28
	s_sub_i32 s30, 32, s30
	s_add_u32 s26, s26, 1
	s_addc_u32 s27, s27, 0
	v_ldexp_f32 v54, v54, s30
	v_cmp_eq_u64_e32 vcc, s[26:27], v[46:47]
	v_mul_f32_e32 v54, v51, v54
	s_or_b64 s[24:25], vcc, s[24:25]
	v_mov_b32_e32 v51, v50
	v_fma_f32 v50, v50, v38, -v54
	s_andn2_b64 exec, exec, s[24:25]
	s_cbranch_execnz .LBB54_20
; %bb.21:
	s_or_b64 exec, exec, s[24:25]
.LBB54_22:
	s_or_b64 exec, exec, s[22:23]
                                        ; implicit-def: $vgpr38
.LBB54_23:
	s_andn2_saveexec_b64 s[20:21], s[20:21]
; %bb.24:
	v_mov_b32_e32 v50, v38
; %bb.25:
	s_or_b64 exec, exec, s[20:21]
.LBB54_26:
	s_or_b64 exec, exec, s[14:15]
.LBB54_27:
	s_or_b64 exec, exec, s[10:11]
	v_bfe_u32 v38, v48, 16, 1
	s_movk_i32 s10, 0x7fff
	v_add3_u32 v38, v48, v38, s10
	v_and_b32_e32 v38, 0xffff0000, v38
	v_mov_b32_e32 v46, 0x7fc00000
	v_cmp_o_f32_e32 vcc, v48, v48
	v_cndmask_b32_e32 v38, v46, v38, vcc
	v_trunc_f32_e32 v38, v38
	s_mov_b32 s10, 0x2f800000
	v_mul_f32_e64 v46, |v38|, s10
	v_floor_f32_e32 v46, v46
	s_mov_b32 s10, 0xcf800000
	v_fma_f32 v47, v46, s10, |v38|
	v_cvt_u32_f32_e32 v46, v46
	v_cvt_u32_f32_e32 v47, v47
	v_ashrrev_i32_e32 v38, 31, v38
	v_xor_b32_e32 v48, v46, v38
	v_xor_b32_e32 v46, v47, v38
	v_sub_co_u32_e32 v46, vcc, v46, v38
	v_subb_co_u32_e32 v47, vcc, v48, v38, vcc
	v_cmp_lt_i64_e32 vcc, -1, v[46:47]
	v_mov_b32_e32 v48, 0
	s_and_saveexec_b64 s[10:11], vcc
	s_cbranch_execz .LBB54_39
; %bb.28:
	v_cmp_lt_i64_e32 vcc, 0, v[46:47]
	v_mov_b32_e32 v48, 1.0
	s_and_saveexec_b64 s[14:15], vcc
	s_cbranch_execz .LBB54_38
; %bb.29:
	v_lshlrev_b32_e32 v38, 16, v39
	v_cmp_ne_u64_e32 vcc, 1, v[46:47]
                                        ; implicit-def: $vgpr48
	s_and_saveexec_b64 s[20:21], vcc
	s_xor_b64 s[20:21], exec, s[20:21]
	s_cbranch_execz .LBB54_35
; %bb.30:
	s_mov_b64 s[22:23], 0x81
	v_cmp_gt_u64_e32 vcc, s[22:23], v[46:47]
	v_mov_b32_e32 v48, 0x7fc00000
	s_and_saveexec_b64 s[22:23], vcc
	s_cbranch_execz .LBB54_34
; %bb.31:
	s_mov_b64 s[26:27], 1
	s_mov_b64 s[24:25], 0
	v_mov_b32_e32 v51, 1.0
	v_mov_b32_e32 v48, v38
.LBB54_32:                              ; =>This Inner Loop Header: Depth=1
	s_flbit_i32_b32 s28, s27
	s_min_u32 s30, s28, 32
	s_lshl_b64 s[28:29], s[26:27], s30
	s_min_u32 s28, s28, 1
	s_or_b32 s28, s29, s28
	v_cvt_f32_u32_e32 v54, s28
	s_sub_i32 s30, 32, s30
	s_add_u32 s26, s26, 1
	s_addc_u32 s27, s27, 0
	v_ldexp_f32 v54, v54, s30
	v_cmp_eq_u64_e32 vcc, s[26:27], v[46:47]
	v_mul_f32_e32 v54, v51, v54
	s_or_b64 s[24:25], vcc, s[24:25]
	v_mov_b32_e32 v51, v48
	v_fma_f32 v48, v48, v38, -v54
	s_andn2_b64 exec, exec, s[24:25]
	s_cbranch_execnz .LBB54_32
; %bb.33:
	s_or_b64 exec, exec, s[24:25]
.LBB54_34:
	s_or_b64 exec, exec, s[22:23]
                                        ; implicit-def: $vgpr38
.LBB54_35:
	s_andn2_saveexec_b64 s[20:21], s[20:21]
; %bb.36:
	v_mov_b32_e32 v48, v38
; %bb.37:
	s_or_b64 exec, exec, s[20:21]
.LBB54_38:
	s_or_b64 exec, exec, s[14:15]
.LBB54_39:
	s_or_b64 exec, exec, s[10:11]
	v_bfe_u32 v38, v49, 16, 1
	s_movk_i32 s10, 0x7fff
	v_add3_u32 v38, v49, v38, s10
	v_and_b32_e32 v38, 0xffff0000, v38
	v_mov_b32_e32 v46, 0x7fc00000
	v_cmp_o_f32_e32 vcc, v49, v49
	v_cndmask_b32_e32 v38, v46, v38, vcc
	v_trunc_f32_e32 v38, v38
	s_mov_b32 s10, 0x2f800000
	v_mul_f32_e64 v46, |v38|, s10
	v_floor_f32_e32 v46, v46
	s_mov_b32 s10, 0xcf800000
	v_fma_f32 v47, v46, s10, |v38|
	v_cvt_u32_f32_e32 v46, v46
	v_cvt_u32_f32_e32 v47, v47
	v_ashrrev_i32_e32 v38, 31, v38
	v_xor_b32_e32 v49, v46, v38
	v_xor_b32_e32 v46, v47, v38
	v_sub_co_u32_e32 v46, vcc, v46, v38
	v_subb_co_u32_e32 v47, vcc, v49, v38, vcc
	v_cmp_lt_i64_e32 vcc, -1, v[46:47]
	v_mov_b32_e32 v49, 0
	s_and_saveexec_b64 s[10:11], vcc
	s_cbranch_execz .LBB54_51
; %bb.40:
	v_cmp_lt_i64_e32 vcc, 0, v[46:47]
	v_mov_b32_e32 v49, 1.0
	s_and_saveexec_b64 s[14:15], vcc
	s_cbranch_execz .LBB54_50
; %bb.41:
	v_and_b32_e32 v38, 0xffff0000, v39
	v_cmp_ne_u64_e32 vcc, 1, v[46:47]
                                        ; implicit-def: $vgpr49
	s_and_saveexec_b64 s[20:21], vcc
	s_xor_b64 s[20:21], exec, s[20:21]
	s_cbranch_execz .LBB54_47
; %bb.42:
	s_mov_b64 s[22:23], 0x81
	v_cmp_gt_u64_e32 vcc, s[22:23], v[46:47]
	v_mov_b32_e32 v49, 0x7fc00000
	s_and_saveexec_b64 s[22:23], vcc
	s_cbranch_execz .LBB54_46
; %bb.43:
	s_mov_b64 s[26:27], 1
	s_mov_b64 s[24:25], 0
	v_mov_b32_e32 v39, 1.0
	v_mov_b32_e32 v49, v38
.LBB54_44:                              ; =>This Inner Loop Header: Depth=1
	s_flbit_i32_b32 s28, s27
	s_min_u32 s30, s28, 32
	s_lshl_b64 s[28:29], s[26:27], s30
	s_min_u32 s28, s28, 1
	s_or_b32 s28, s29, s28
	v_cvt_f32_u32_e32 v51, s28
	s_sub_i32 s30, 32, s30
	s_add_u32 s26, s26, 1
	s_addc_u32 s27, s27, 0
	v_ldexp_f32 v51, v51, s30
	v_cmp_eq_u64_e32 vcc, s[26:27], v[46:47]
	v_mul_f32_e32 v51, v39, v51
	s_or_b64 s[24:25], vcc, s[24:25]
	v_mov_b32_e32 v39, v49
	v_fma_f32 v49, v49, v38, -v51
	s_andn2_b64 exec, exec, s[24:25]
	s_cbranch_execnz .LBB54_44
; %bb.45:
	s_or_b64 exec, exec, s[24:25]
.LBB54_46:
	s_or_b64 exec, exec, s[22:23]
                                        ; implicit-def: $vgpr38
.LBB54_47:
	s_andn2_saveexec_b64 s[20:21], s[20:21]
; %bb.48:
	v_mov_b32_e32 v49, v38
; %bb.49:
	s_or_b64 exec, exec, s[20:21]
.LBB54_50:
	s_or_b64 exec, exec, s[14:15]
.LBB54_51:
	s_or_b64 exec, exec, s[10:11]
	v_bfe_u32 v38, v42, 16, 1
	s_movk_i32 s10, 0x7fff
	v_add3_u32 v38, v42, v38, s10
	v_and_b32_e32 v38, 0xffff0000, v38
	v_mov_b32_e32 v39, 0x7fc00000
	v_cmp_o_f32_e32 vcc, v42, v42
	v_cndmask_b32_e32 v38, v39, v38, vcc
	v_trunc_f32_e32 v38, v38
	s_mov_b32 s10, 0x2f800000
	v_mul_f32_e64 v39, |v38|, s10
	v_floor_f32_e32 v39, v39
	s_mov_b32 s10, 0xcf800000
	v_fma_f32 v42, v39, s10, |v38|
	v_cvt_u32_f32_e32 v42, v42
	v_cvt_u32_f32_e32 v39, v39
	v_ashrrev_i32_e32 v46, 31, v38
	v_xor_b32_e32 v38, v42, v46
	v_xor_b32_e32 v39, v39, v46
	v_sub_co_u32_e32 v38, vcc, v38, v46
	v_subb_co_u32_e32 v39, vcc, v39, v46, vcc
	v_cmp_lt_i64_e32 vcc, -1, v[38:39]
	v_mov_b32_e32 v42, 0
	s_and_saveexec_b64 s[10:11], vcc
	s_cbranch_execz .LBB54_63
; %bb.52:
	v_cmp_lt_i64_e32 vcc, 0, v[38:39]
	v_mov_b32_e32 v42, 1.0
	s_and_saveexec_b64 s[14:15], vcc
	s_cbranch_execz .LBB54_62
; %bb.53:
	v_lshlrev_b32_e32 v46, 16, v40
	v_cmp_ne_u64_e32 vcc, 1, v[38:39]
                                        ; implicit-def: $vgpr42
	s_and_saveexec_b64 s[20:21], vcc
	s_xor_b64 s[20:21], exec, s[20:21]
	s_cbranch_execz .LBB54_59
; %bb.54:
	s_mov_b64 s[22:23], 0x81
	v_cmp_gt_u64_e32 vcc, s[22:23], v[38:39]
	v_mov_b32_e32 v42, 0x7fc00000
	s_and_saveexec_b64 s[22:23], vcc
	s_cbranch_execz .LBB54_58
; %bb.55:
	s_mov_b64 s[26:27], 1
	s_mov_b64 s[24:25], 0
	v_mov_b32_e32 v47, 1.0
	v_mov_b32_e32 v42, v46
.LBB54_56:                              ; =>This Inner Loop Header: Depth=1
	s_flbit_i32_b32 s28, s27
	s_min_u32 s30, s28, 32
	s_lshl_b64 s[28:29], s[26:27], s30
	s_min_u32 s28, s28, 1
	s_or_b32 s28, s29, s28
	v_cvt_f32_u32_e32 v51, s28
	s_sub_i32 s30, 32, s30
	s_add_u32 s26, s26, 1
	s_addc_u32 s27, s27, 0
	v_ldexp_f32 v51, v51, s30
	v_cmp_eq_u64_e32 vcc, s[26:27], v[38:39]
	v_mul_f32_e32 v51, v47, v51
	s_or_b64 s[24:25], vcc, s[24:25]
	v_mov_b32_e32 v47, v42
	v_fma_f32 v42, v42, v46, -v51
	s_andn2_b64 exec, exec, s[24:25]
	s_cbranch_execnz .LBB54_56
; %bb.57:
	s_or_b64 exec, exec, s[24:25]
.LBB54_58:
	s_or_b64 exec, exec, s[22:23]
                                        ; implicit-def: $vgpr46
.LBB54_59:
	s_andn2_saveexec_b64 s[20:21], s[20:21]
; %bb.60:
	v_mov_b32_e32 v42, v46
; %bb.61:
	s_or_b64 exec, exec, s[20:21]
.LBB54_62:
	s_or_b64 exec, exec, s[14:15]
.LBB54_63:
	s_or_b64 exec, exec, s[10:11]
	v_bfe_u32 v38, v43, 16, 1
	s_movk_i32 s10, 0x7fff
	v_add3_u32 v38, v43, v38, s10
	v_and_b32_e32 v38, 0xffff0000, v38
	v_mov_b32_e32 v39, 0x7fc00000
	v_cmp_o_f32_e32 vcc, v43, v43
	v_cndmask_b32_e32 v38, v39, v38, vcc
	v_trunc_f32_e32 v38, v38
	s_mov_b32 s10, 0x2f800000
	v_mul_f32_e64 v39, |v38|, s10
	v_floor_f32_e32 v39, v39
	s_mov_b32 s10, 0xcf800000
	v_fma_f32 v43, v39, s10, |v38|
	v_cvt_u32_f32_e32 v43, v43
	v_cvt_u32_f32_e32 v39, v39
	v_ashrrev_i32_e32 v46, 31, v38
	v_xor_b32_e32 v38, v43, v46
	v_xor_b32_e32 v39, v39, v46
	v_sub_co_u32_e32 v38, vcc, v38, v46
	v_subb_co_u32_e32 v39, vcc, v39, v46, vcc
	v_cmp_lt_i64_e32 vcc, -1, v[38:39]
	v_mov_b32_e32 v43, 0
	s_and_saveexec_b64 s[10:11], vcc
	s_cbranch_execz .LBB54_75
; %bb.64:
	v_cmp_lt_i64_e32 vcc, 0, v[38:39]
	v_mov_b32_e32 v43, 1.0
	s_and_saveexec_b64 s[14:15], vcc
	s_cbranch_execz .LBB54_74
; %bb.65:
	v_and_b32_e32 v40, 0xffff0000, v40
	v_cmp_ne_u64_e32 vcc, 1, v[38:39]
                                        ; implicit-def: $vgpr43
	s_and_saveexec_b64 s[20:21], vcc
	s_xor_b64 s[20:21], exec, s[20:21]
	s_cbranch_execz .LBB54_71
; %bb.66:
	s_mov_b64 s[22:23], 0x81
	v_cmp_gt_u64_e32 vcc, s[22:23], v[38:39]
	v_mov_b32_e32 v43, 0x7fc00000
	s_and_saveexec_b64 s[22:23], vcc
	s_cbranch_execz .LBB54_70
; %bb.67:
	s_mov_b64 s[26:27], 1
	s_mov_b64 s[24:25], 0
	v_mov_b32_e32 v46, 1.0
	v_mov_b32_e32 v43, v40
.LBB54_68:                              ; =>This Inner Loop Header: Depth=1
	s_flbit_i32_b32 s28, s27
	s_min_u32 s30, s28, 32
	s_lshl_b64 s[28:29], s[26:27], s30
	s_min_u32 s28, s28, 1
	s_or_b32 s28, s29, s28
	v_cvt_f32_u32_e32 v47, s28
	s_sub_i32 s30, 32, s30
	s_add_u32 s26, s26, 1
	s_addc_u32 s27, s27, 0
	v_ldexp_f32 v47, v47, s30
	v_cmp_eq_u64_e32 vcc, s[26:27], v[38:39]
	v_mul_f32_e32 v47, v46, v47
	s_or_b64 s[24:25], vcc, s[24:25]
	v_mov_b32_e32 v46, v43
	v_fma_f32 v43, v43, v40, -v47
	s_andn2_b64 exec, exec, s[24:25]
	s_cbranch_execnz .LBB54_68
; %bb.69:
	s_or_b64 exec, exec, s[24:25]
.LBB54_70:
	s_or_b64 exec, exec, s[22:23]
                                        ; implicit-def: $vgpr40
.LBB54_71:
	s_andn2_saveexec_b64 s[20:21], s[20:21]
; %bb.72:
	v_mov_b32_e32 v43, v40
; %bb.73:
	s_or_b64 exec, exec, s[20:21]
.LBB54_74:
	s_or_b64 exec, exec, s[14:15]
.LBB54_75:
	s_or_b64 exec, exec, s[10:11]
	v_bfe_u32 v38, v44, 16, 1
	s_movk_i32 s10, 0x7fff
	v_add3_u32 v38, v44, v38, s10
	v_and_b32_e32 v38, 0xffff0000, v38
	v_mov_b32_e32 v39, 0x7fc00000
	v_cmp_o_f32_e32 vcc, v44, v44
	v_cndmask_b32_e32 v38, v39, v38, vcc
	v_trunc_f32_e32 v38, v38
	s_mov_b32 s10, 0x2f800000
	v_mul_f32_e64 v39, |v38|, s10
	v_floor_f32_e32 v39, v39
	s_mov_b32 s10, 0xcf800000
	v_fma_f32 v40, v39, s10, |v38|
	v_cvt_u32_f32_e32 v40, v40
	v_cvt_u32_f32_e32 v39, v39
	v_ashrrev_i32_e32 v44, 31, v38
	v_xor_b32_e32 v38, v40, v44
	v_xor_b32_e32 v39, v39, v44
	v_sub_co_u32_e32 v38, vcc, v38, v44
	v_subb_co_u32_e32 v39, vcc, v39, v44, vcc
	v_cmp_lt_i64_e32 vcc, -1, v[38:39]
	v_mov_b32_e32 v40, 0
	s_and_saveexec_b64 s[10:11], vcc
	s_cbranch_execz .LBB54_87
; %bb.76:
	v_cmp_lt_i64_e32 vcc, 0, v[38:39]
	v_mov_b32_e32 v40, 1.0
	s_and_saveexec_b64 s[14:15], vcc
	s_cbranch_execz .LBB54_86
; %bb.77:
	v_lshlrev_b32_e32 v44, 16, v41
	v_cmp_ne_u64_e32 vcc, 1, v[38:39]
                                        ; implicit-def: $vgpr40
	s_and_saveexec_b64 s[20:21], vcc
	s_xor_b64 s[20:21], exec, s[20:21]
	s_cbranch_execz .LBB54_83
; %bb.78:
	s_mov_b64 s[22:23], 0x81
	v_cmp_gt_u64_e32 vcc, s[22:23], v[38:39]
	v_mov_b32_e32 v40, 0x7fc00000
	s_and_saveexec_b64 s[22:23], vcc
	s_cbranch_execz .LBB54_82
; %bb.79:
	s_mov_b64 s[26:27], 1
	s_mov_b64 s[24:25], 0
	v_mov_b32_e32 v46, 1.0
	v_mov_b32_e32 v40, v44
.LBB54_80:                              ; =>This Inner Loop Header: Depth=1
	s_flbit_i32_b32 s28, s27
	s_min_u32 s30, s28, 32
	s_lshl_b64 s[28:29], s[26:27], s30
	s_min_u32 s28, s28, 1
	s_or_b32 s28, s29, s28
	v_cvt_f32_u32_e32 v47, s28
	s_sub_i32 s30, 32, s30
	s_add_u32 s26, s26, 1
	s_addc_u32 s27, s27, 0
	v_ldexp_f32 v47, v47, s30
	v_cmp_eq_u64_e32 vcc, s[26:27], v[38:39]
	v_mul_f32_e32 v47, v46, v47
	s_or_b64 s[24:25], vcc, s[24:25]
	v_mov_b32_e32 v46, v40
	v_fma_f32 v40, v40, v44, -v47
	s_andn2_b64 exec, exec, s[24:25]
	s_cbranch_execnz .LBB54_80
; %bb.81:
	s_or_b64 exec, exec, s[24:25]
.LBB54_82:
	s_or_b64 exec, exec, s[22:23]
                                        ; implicit-def: $vgpr44
.LBB54_83:
	s_andn2_saveexec_b64 s[20:21], s[20:21]
; %bb.84:
	v_mov_b32_e32 v40, v44
; %bb.85:
	s_or_b64 exec, exec, s[20:21]
.LBB54_86:
	s_or_b64 exec, exec, s[14:15]
.LBB54_87:
	s_or_b64 exec, exec, s[10:11]
	v_bfe_u32 v38, v45, 16, 1
	s_movk_i32 s10, 0x7fff
	v_add3_u32 v38, v45, v38, s10
	v_and_b32_e32 v38, 0xffff0000, v38
	v_mov_b32_e32 v39, 0x7fc00000
	v_cmp_o_f32_e32 vcc, v45, v45
	v_cndmask_b32_e32 v38, v39, v38, vcc
	v_trunc_f32_e32 v38, v38
	s_mov_b32 s10, 0x2f800000
	v_mul_f32_e64 v39, |v38|, s10
	v_floor_f32_e32 v39, v39
	s_mov_b32 s10, 0xcf800000
	v_fma_f32 v44, v39, s10, |v38|
	v_cvt_u32_f32_e32 v44, v44
	v_cvt_u32_f32_e32 v39, v39
	v_ashrrev_i32_e32 v45, 31, v38
	v_xor_b32_e32 v38, v44, v45
	v_xor_b32_e32 v39, v39, v45
	v_sub_co_u32_e32 v38, vcc, v38, v45
	v_subb_co_u32_e32 v39, vcc, v39, v45, vcc
	v_cmp_lt_i64_e32 vcc, -1, v[38:39]
	v_mov_b32_e32 v44, 0
	s_and_saveexec_b64 s[10:11], vcc
	s_cbranch_execz .LBB54_99
; %bb.88:
	v_cmp_lt_i64_e32 vcc, 0, v[38:39]
	v_mov_b32_e32 v44, 1.0
	s_and_saveexec_b64 s[14:15], vcc
	s_cbranch_execz .LBB54_98
; %bb.89:
	v_and_b32_e32 v41, 0xffff0000, v41
	v_cmp_ne_u64_e32 vcc, 1, v[38:39]
                                        ; implicit-def: $vgpr44
	s_and_saveexec_b64 s[20:21], vcc
	s_xor_b64 s[20:21], exec, s[20:21]
	s_cbranch_execz .LBB54_95
; %bb.90:
	s_mov_b64 s[22:23], 0x81
	v_cmp_gt_u64_e32 vcc, s[22:23], v[38:39]
	v_mov_b32_e32 v44, 0x7fc00000
	s_and_saveexec_b64 s[22:23], vcc
	s_cbranch_execz .LBB54_94
; %bb.91:
	s_mov_b64 s[26:27], 1
	s_mov_b64 s[24:25], 0
	v_mov_b32_e32 v45, 1.0
	v_mov_b32_e32 v44, v41
.LBB54_92:                              ; =>This Inner Loop Header: Depth=1
	s_flbit_i32_b32 s28, s27
	s_min_u32 s30, s28, 32
	s_lshl_b64 s[28:29], s[26:27], s30
	s_min_u32 s28, s28, 1
	s_or_b32 s28, s29, s28
	v_cvt_f32_u32_e32 v46, s28
	s_sub_i32 s30, 32, s30
	s_add_u32 s26, s26, 1
	s_addc_u32 s27, s27, 0
	v_ldexp_f32 v46, v46, s30
	v_cmp_eq_u64_e32 vcc, s[26:27], v[38:39]
	v_mul_f32_e32 v46, v45, v46
	s_or_b64 s[24:25], vcc, s[24:25]
	v_mov_b32_e32 v45, v44
	v_fma_f32 v44, v44, v41, -v46
	s_andn2_b64 exec, exec, s[24:25]
	s_cbranch_execnz .LBB54_92
; %bb.93:
	s_or_b64 exec, exec, s[24:25]
.LBB54_94:
	s_or_b64 exec, exec, s[22:23]
                                        ; implicit-def: $vgpr41
.LBB54_95:
	s_andn2_saveexec_b64 s[20:21], s[20:21]
; %bb.96:
	v_mov_b32_e32 v44, v41
; %bb.97:
	s_or_b64 exec, exec, s[20:21]
.LBB54_98:
	s_or_b64 exec, exec, s[14:15]
.LBB54_99:
	s_or_b64 exec, exec, s[10:11]
	s_waitcnt vmcnt(5)
	v_bfe_u32 v38, v34, 16, 1
	s_movk_i32 s10, 0x7fff
	v_add3_u32 v38, v34, v38, s10
	v_and_b32_e32 v38, 0xffff0000, v38
	v_mov_b32_e32 v39, 0x7fc00000
	v_cmp_o_f32_e32 vcc, v34, v34
	v_cndmask_b32_e32 v34, v39, v38, vcc
	v_trunc_f32_e32 v34, v34
	s_mov_b32 s10, 0x2f800000
	v_mul_f32_e64 v38, |v34|, s10
	v_floor_f32_e32 v38, v38
	s_mov_b32 s10, 0xcf800000
	v_fma_f32 v39, v38, s10, |v34|
	v_cvt_u32_f32_e32 v38, v38
	v_cvt_u32_f32_e32 v39, v39
	v_ashrrev_i32_e32 v34, 31, v34
	v_xor_b32_e32 v41, v38, v34
	v_xor_b32_e32 v38, v39, v34
	v_sub_co_u32_e32 v38, vcc, v38, v34
	v_subb_co_u32_e32 v39, vcc, v41, v34, vcc
	v_cmp_lt_i64_e32 vcc, -1, v[38:39]
	v_mov_b32_e32 v41, 0
	s_and_saveexec_b64 s[10:11], vcc
	s_cbranch_execz .LBB54_111
; %bb.100:
	v_cmp_lt_i64_e32 vcc, 0, v[38:39]
	v_mov_b32_e32 v41, 1.0
	s_and_saveexec_b64 s[14:15], vcc
	s_cbranch_execz .LBB54_110
; %bb.101:
	v_lshlrev_b32_e32 v34, 16, v26
	v_cmp_ne_u64_e32 vcc, 1, v[38:39]
                                        ; implicit-def: $vgpr41
	s_and_saveexec_b64 s[20:21], vcc
	s_xor_b64 s[20:21], exec, s[20:21]
	s_cbranch_execz .LBB54_107
; %bb.102:
	s_mov_b64 s[22:23], 0x81
	v_cmp_gt_u64_e32 vcc, s[22:23], v[38:39]
	v_mov_b32_e32 v41, 0x7fc00000
	s_and_saveexec_b64 s[22:23], vcc
	s_cbranch_execz .LBB54_106
; %bb.103:
	s_mov_b64 s[26:27], 1
	s_mov_b64 s[24:25], 0
	v_mov_b32_e32 v45, 1.0
	v_mov_b32_e32 v41, v34
.LBB54_104:                             ; =>This Inner Loop Header: Depth=1
	s_flbit_i32_b32 s28, s27
	s_min_u32 s30, s28, 32
	s_lshl_b64 s[28:29], s[26:27], s30
	s_min_u32 s28, s28, 1
	s_or_b32 s28, s29, s28
	v_cvt_f32_u32_e32 v46, s28
	s_sub_i32 s30, 32, s30
	s_add_u32 s26, s26, 1
	s_addc_u32 s27, s27, 0
	v_ldexp_f32 v46, v46, s30
	v_cmp_eq_u64_e32 vcc, s[26:27], v[38:39]
	v_mul_f32_e32 v46, v45, v46
	s_or_b64 s[24:25], vcc, s[24:25]
	v_mov_b32_e32 v45, v41
	v_fma_f32 v41, v41, v34, -v46
	s_andn2_b64 exec, exec, s[24:25]
	s_cbranch_execnz .LBB54_104
; %bb.105:
	s_or_b64 exec, exec, s[24:25]
.LBB54_106:
	s_or_b64 exec, exec, s[22:23]
                                        ; implicit-def: $vgpr34
.LBB54_107:
	s_andn2_saveexec_b64 s[20:21], s[20:21]
; %bb.108:
	v_mov_b32_e32 v41, v34
; %bb.109:
	s_or_b64 exec, exec, s[20:21]
.LBB54_110:
	s_or_b64 exec, exec, s[14:15]
.LBB54_111:
	s_or_b64 exec, exec, s[10:11]
	v_bfe_u32 v34, v35, 16, 1
	s_movk_i32 s10, 0x7fff
	v_add3_u32 v34, v35, v34, s10
	v_and_b32_e32 v34, 0xffff0000, v34
	v_mov_b32_e32 v38, 0x7fc00000
	v_cmp_o_f32_e32 vcc, v35, v35
	v_cndmask_b32_e32 v34, v38, v34, vcc
	v_trunc_f32_e32 v34, v34
	s_mov_b32 s10, 0x2f800000
	v_mul_f32_e64 v35, |v34|, s10
	v_floor_f32_e32 v35, v35
	s_mov_b32 s10, 0xcf800000
	v_fma_f32 v38, v35, s10, |v34|
	v_cvt_u32_f32_e32 v38, v38
	v_cvt_u32_f32_e32 v35, v35
	v_ashrrev_i32_e32 v39, 31, v34
	v_xor_b32_e32 v34, v38, v39
	v_xor_b32_e32 v35, v35, v39
	v_sub_co_u32_e32 v34, vcc, v34, v39
	v_subb_co_u32_e32 v35, vcc, v35, v39, vcc
	v_cmp_lt_i64_e32 vcc, -1, v[34:35]
	v_mov_b32_e32 v38, 0
	s_and_saveexec_b64 s[10:11], vcc
	s_cbranch_execz .LBB54_123
; %bb.112:
	v_cmp_lt_i64_e32 vcc, 0, v[34:35]
	v_mov_b32_e32 v38, 1.0
	s_and_saveexec_b64 s[14:15], vcc
	s_cbranch_execz .LBB54_122
; %bb.113:
	v_and_b32_e32 v26, 0xffff0000, v26
	v_cmp_ne_u64_e32 vcc, 1, v[34:35]
                                        ; implicit-def: $vgpr38
	s_and_saveexec_b64 s[20:21], vcc
	s_xor_b64 s[20:21], exec, s[20:21]
	s_cbranch_execz .LBB54_119
; %bb.114:
	s_mov_b64 s[22:23], 0x81
	v_cmp_gt_u64_e32 vcc, s[22:23], v[34:35]
	v_mov_b32_e32 v38, 0x7fc00000
	s_and_saveexec_b64 s[22:23], vcc
	s_cbranch_execz .LBB54_118
; %bb.115:
	s_mov_b64 s[26:27], 1
	s_mov_b64 s[24:25], 0
	v_mov_b32_e32 v39, 1.0
	v_mov_b32_e32 v38, v26
.LBB54_116:                             ; =>This Inner Loop Header: Depth=1
	s_flbit_i32_b32 s28, s27
	s_min_u32 s30, s28, 32
	s_lshl_b64 s[28:29], s[26:27], s30
	s_min_u32 s28, s28, 1
	s_or_b32 s28, s29, s28
	v_cvt_f32_u32_e32 v45, s28
	s_sub_i32 s30, 32, s30
	s_add_u32 s26, s26, 1
	s_addc_u32 s27, s27, 0
	v_ldexp_f32 v45, v45, s30
	v_cmp_eq_u64_e32 vcc, s[26:27], v[34:35]
	v_mul_f32_e32 v45, v39, v45
	s_or_b64 s[24:25], vcc, s[24:25]
	v_mov_b32_e32 v39, v38
	v_fma_f32 v38, v38, v26, -v45
	s_andn2_b64 exec, exec, s[24:25]
	s_cbranch_execnz .LBB54_116
; %bb.117:
	s_or_b64 exec, exec, s[24:25]
.LBB54_118:
	s_or_b64 exec, exec, s[22:23]
                                        ; implicit-def: $vgpr26
.LBB54_119:
	s_andn2_saveexec_b64 s[20:21], s[20:21]
; %bb.120:
	v_mov_b32_e32 v38, v26
; %bb.121:
	s_or_b64 exec, exec, s[20:21]
.LBB54_122:
	s_or_b64 exec, exec, s[14:15]
.LBB54_123:
	s_or_b64 exec, exec, s[10:11]
	v_bfe_u32 v26, v36, 16, 1
	s_movk_i32 s10, 0x7fff
	v_add3_u32 v26, v36, v26, s10
	v_and_b32_e32 v26, 0xffff0000, v26
	v_mov_b32_e32 v34, 0x7fc00000
	v_cmp_o_f32_e32 vcc, v36, v36
	v_cndmask_b32_e32 v26, v34, v26, vcc
	v_trunc_f32_e32 v26, v26
	s_mov_b32 s10, 0x2f800000
	v_mul_f32_e64 v34, |v26|, s10
	v_floor_f32_e32 v34, v34
	s_mov_b32 s10, 0xcf800000
	v_fma_f32 v35, v34, s10, |v26|
	v_cvt_u32_f32_e32 v34, v34
	v_cvt_u32_f32_e32 v35, v35
	v_ashrrev_i32_e32 v26, 31, v26
	v_xor_b32_e32 v36, v34, v26
	v_xor_b32_e32 v34, v35, v26
	v_sub_co_u32_e32 v34, vcc, v34, v26
	v_subb_co_u32_e32 v35, vcc, v36, v26, vcc
	v_cmp_lt_i64_e32 vcc, -1, v[34:35]
	v_mov_b32_e32 v36, 0
	s_and_saveexec_b64 s[10:11], vcc
	s_cbranch_execz .LBB54_135
; %bb.124:
	v_cmp_lt_i64_e32 vcc, 0, v[34:35]
	v_mov_b32_e32 v36, 1.0
	s_and_saveexec_b64 s[14:15], vcc
	s_cbranch_execz .LBB54_134
; %bb.125:
	v_lshlrev_b32_e32 v26, 16, v27
	v_cmp_ne_u64_e32 vcc, 1, v[34:35]
                                        ; implicit-def: $vgpr36
	s_and_saveexec_b64 s[20:21], vcc
	s_xor_b64 s[20:21], exec, s[20:21]
	s_cbranch_execz .LBB54_131
; %bb.126:
	s_mov_b64 s[22:23], 0x81
	v_cmp_gt_u64_e32 vcc, s[22:23], v[34:35]
	v_mov_b32_e32 v36, 0x7fc00000
	s_and_saveexec_b64 s[22:23], vcc
	s_cbranch_execz .LBB54_130
; %bb.127:
	s_mov_b64 s[26:27], 1
	s_mov_b64 s[24:25], 0
	v_mov_b32_e32 v39, 1.0
	v_mov_b32_e32 v36, v26
.LBB54_128:                             ; =>This Inner Loop Header: Depth=1
	s_flbit_i32_b32 s28, s27
	s_min_u32 s30, s28, 32
	s_lshl_b64 s[28:29], s[26:27], s30
	s_min_u32 s28, s28, 1
	s_or_b32 s28, s29, s28
	v_cvt_f32_u32_e32 v45, s28
	s_sub_i32 s30, 32, s30
	s_add_u32 s26, s26, 1
	s_addc_u32 s27, s27, 0
	v_ldexp_f32 v45, v45, s30
	v_cmp_eq_u64_e32 vcc, s[26:27], v[34:35]
	v_mul_f32_e32 v45, v39, v45
	s_or_b64 s[24:25], vcc, s[24:25]
	v_mov_b32_e32 v39, v36
	v_fma_f32 v36, v36, v26, -v45
	s_andn2_b64 exec, exec, s[24:25]
	s_cbranch_execnz .LBB54_128
; %bb.129:
	s_or_b64 exec, exec, s[24:25]
.LBB54_130:
	s_or_b64 exec, exec, s[22:23]
                                        ; implicit-def: $vgpr26
.LBB54_131:
	s_andn2_saveexec_b64 s[20:21], s[20:21]
; %bb.132:
	v_mov_b32_e32 v36, v26
; %bb.133:
	s_or_b64 exec, exec, s[20:21]
.LBB54_134:
	s_or_b64 exec, exec, s[14:15]
.LBB54_135:
	s_or_b64 exec, exec, s[10:11]
	v_bfe_u32 v26, v37, 16, 1
	s_movk_i32 s10, 0x7fff
	v_add3_u32 v26, v37, v26, s10
	v_and_b32_e32 v26, 0xffff0000, v26
	v_mov_b32_e32 v34, 0x7fc00000
	v_cmp_o_f32_e32 vcc, v37, v37
	v_cndmask_b32_e32 v26, v34, v26, vcc
	v_trunc_f32_e32 v26, v26
	s_mov_b32 s10, 0x2f800000
	v_mul_f32_e64 v34, |v26|, s10
	v_floor_f32_e32 v34, v34
	s_mov_b32 s10, 0xcf800000
	v_fma_f32 v35, v34, s10, |v26|
	v_cvt_u32_f32_e32 v34, v34
	v_cvt_u32_f32_e32 v35, v35
	v_ashrrev_i32_e32 v26, 31, v26
	v_xor_b32_e32 v37, v34, v26
	v_xor_b32_e32 v34, v35, v26
	v_sub_co_u32_e32 v34, vcc, v34, v26
	v_subb_co_u32_e32 v35, vcc, v37, v26, vcc
	v_cmp_lt_i64_e32 vcc, -1, v[34:35]
	v_mov_b32_e32 v37, 0
	s_and_saveexec_b64 s[10:11], vcc
	s_cbranch_execz .LBB54_147
; %bb.136:
	v_cmp_lt_i64_e32 vcc, 0, v[34:35]
	v_mov_b32_e32 v37, 1.0
	s_and_saveexec_b64 s[14:15], vcc
	s_cbranch_execz .LBB54_146
; %bb.137:
	v_and_b32_e32 v26, 0xffff0000, v27
	v_cmp_ne_u64_e32 vcc, 1, v[34:35]
                                        ; implicit-def: $vgpr37
	s_and_saveexec_b64 s[20:21], vcc
	s_xor_b64 s[20:21], exec, s[20:21]
	s_cbranch_execz .LBB54_143
; %bb.138:
	s_mov_b64 s[22:23], 0x81
	v_cmp_gt_u64_e32 vcc, s[22:23], v[34:35]
	v_mov_b32_e32 v37, 0x7fc00000
	s_and_saveexec_b64 s[22:23], vcc
	s_cbranch_execz .LBB54_142
; %bb.139:
	s_mov_b64 s[26:27], 1
	s_mov_b64 s[24:25], 0
	v_mov_b32_e32 v27, 1.0
	v_mov_b32_e32 v37, v26
.LBB54_140:                             ; =>This Inner Loop Header: Depth=1
	s_flbit_i32_b32 s28, s27
	s_min_u32 s30, s28, 32
	s_lshl_b64 s[28:29], s[26:27], s30
	s_min_u32 s28, s28, 1
	s_or_b32 s28, s29, s28
	v_cvt_f32_u32_e32 v39, s28
	s_sub_i32 s30, 32, s30
	s_add_u32 s26, s26, 1
	s_addc_u32 s27, s27, 0
	v_ldexp_f32 v39, v39, s30
	v_cmp_eq_u64_e32 vcc, s[26:27], v[34:35]
	v_mul_f32_e32 v39, v27, v39
	s_or_b64 s[24:25], vcc, s[24:25]
	v_mov_b32_e32 v27, v37
	v_fma_f32 v37, v37, v26, -v39
	s_andn2_b64 exec, exec, s[24:25]
	s_cbranch_execnz .LBB54_140
; %bb.141:
	s_or_b64 exec, exec, s[24:25]
.LBB54_142:
	s_or_b64 exec, exec, s[22:23]
                                        ; implicit-def: $vgpr26
.LBB54_143:
	s_andn2_saveexec_b64 s[20:21], s[20:21]
; %bb.144:
	v_mov_b32_e32 v37, v26
; %bb.145:
	s_or_b64 exec, exec, s[20:21]
.LBB54_146:
	s_or_b64 exec, exec, s[14:15]
.LBB54_147:
	s_or_b64 exec, exec, s[10:11]
	s_waitcnt vmcnt(4)
	v_bfe_u32 v26, v30, 16, 1
	s_movk_i32 s10, 0x7fff
	v_add3_u32 v26, v30, v26, s10
	v_and_b32_e32 v26, 0xffff0000, v26
	v_mov_b32_e32 v27, 0x7fc00000
	v_cmp_o_f32_e32 vcc, v30, v30
	v_cndmask_b32_e32 v26, v27, v26, vcc
	v_trunc_f32_e32 v26, v26
	s_mov_b32 s10, 0x2f800000
	v_mul_f32_e64 v27, |v26|, s10
	v_floor_f32_e32 v27, v27
	s_mov_b32 s10, 0xcf800000
	v_fma_f32 v30, v27, s10, |v26|
	v_cvt_u32_f32_e32 v30, v30
	v_cvt_u32_f32_e32 v27, v27
	v_ashrrev_i32_e32 v34, 31, v26
	v_xor_b32_e32 v26, v30, v34
	v_xor_b32_e32 v27, v27, v34
	v_sub_co_u32_e32 v26, vcc, v26, v34
	v_subb_co_u32_e32 v27, vcc, v27, v34, vcc
	v_cmp_lt_i64_e32 vcc, -1, v[26:27]
	v_mov_b32_e32 v30, 0
	s_and_saveexec_b64 s[10:11], vcc
	s_cbranch_execz .LBB54_159
; %bb.148:
	v_cmp_lt_i64_e32 vcc, 0, v[26:27]
	v_mov_b32_e32 v30, 1.0
	s_and_saveexec_b64 s[14:15], vcc
	s_cbranch_execz .LBB54_158
; %bb.149:
	v_lshlrev_b32_e32 v34, 16, v28
	v_cmp_ne_u64_e32 vcc, 1, v[26:27]
                                        ; implicit-def: $vgpr30
	s_and_saveexec_b64 s[20:21], vcc
	s_xor_b64 s[20:21], exec, s[20:21]
	s_cbranch_execz .LBB54_155
; %bb.150:
	s_mov_b64 s[22:23], 0x81
	v_cmp_gt_u64_e32 vcc, s[22:23], v[26:27]
	v_mov_b32_e32 v30, 0x7fc00000
	s_and_saveexec_b64 s[22:23], vcc
	s_cbranch_execz .LBB54_154
; %bb.151:
	s_mov_b64 s[26:27], 1
	s_mov_b64 s[24:25], 0
	v_mov_b32_e32 v35, 1.0
	v_mov_b32_e32 v30, v34
.LBB54_152:                             ; =>This Inner Loop Header: Depth=1
	s_flbit_i32_b32 s28, s27
	s_min_u32 s30, s28, 32
	s_lshl_b64 s[28:29], s[26:27], s30
	s_min_u32 s28, s28, 1
	s_or_b32 s28, s29, s28
	v_cvt_f32_u32_e32 v39, s28
	s_sub_i32 s30, 32, s30
	s_add_u32 s26, s26, 1
	s_addc_u32 s27, s27, 0
	v_ldexp_f32 v39, v39, s30
	v_cmp_eq_u64_e32 vcc, s[26:27], v[26:27]
	v_mul_f32_e32 v39, v35, v39
	s_or_b64 s[24:25], vcc, s[24:25]
	v_mov_b32_e32 v35, v30
	v_fma_f32 v30, v30, v34, -v39
	s_andn2_b64 exec, exec, s[24:25]
	s_cbranch_execnz .LBB54_152
; %bb.153:
	s_or_b64 exec, exec, s[24:25]
.LBB54_154:
	s_or_b64 exec, exec, s[22:23]
                                        ; implicit-def: $vgpr34
.LBB54_155:
	s_andn2_saveexec_b64 s[20:21], s[20:21]
; %bb.156:
	v_mov_b32_e32 v30, v34
; %bb.157:
	s_or_b64 exec, exec, s[20:21]
.LBB54_158:
	s_or_b64 exec, exec, s[14:15]
.LBB54_159:
	s_or_b64 exec, exec, s[10:11]
	v_bfe_u32 v26, v31, 16, 1
	s_movk_i32 s10, 0x7fff
	v_add3_u32 v26, v31, v26, s10
	v_and_b32_e32 v26, 0xffff0000, v26
	v_mov_b32_e32 v27, 0x7fc00000
	v_cmp_o_f32_e32 vcc, v31, v31
	v_cndmask_b32_e32 v26, v27, v26, vcc
	v_trunc_f32_e32 v26, v26
	s_mov_b32 s10, 0x2f800000
	v_mul_f32_e64 v27, |v26|, s10
	v_floor_f32_e32 v27, v27
	s_mov_b32 s10, 0xcf800000
	v_fma_f32 v31, v27, s10, |v26|
	v_cvt_u32_f32_e32 v31, v31
	v_cvt_u32_f32_e32 v27, v27
	v_ashrrev_i32_e32 v34, 31, v26
	v_xor_b32_e32 v26, v31, v34
	v_xor_b32_e32 v27, v27, v34
	v_sub_co_u32_e32 v26, vcc, v26, v34
	v_subb_co_u32_e32 v27, vcc, v27, v34, vcc
	v_cmp_lt_i64_e32 vcc, -1, v[26:27]
	v_mov_b32_e32 v31, 0
	s_and_saveexec_b64 s[10:11], vcc
	s_cbranch_execz .LBB54_171
; %bb.160:
	v_cmp_lt_i64_e32 vcc, 0, v[26:27]
	v_mov_b32_e32 v31, 1.0
	s_and_saveexec_b64 s[14:15], vcc
	s_cbranch_execz .LBB54_170
; %bb.161:
	v_and_b32_e32 v28, 0xffff0000, v28
	v_cmp_ne_u64_e32 vcc, 1, v[26:27]
                                        ; implicit-def: $vgpr31
	s_and_saveexec_b64 s[20:21], vcc
	s_xor_b64 s[20:21], exec, s[20:21]
	s_cbranch_execz .LBB54_167
; %bb.162:
	s_mov_b64 s[22:23], 0x81
	v_cmp_gt_u64_e32 vcc, s[22:23], v[26:27]
	v_mov_b32_e32 v31, 0x7fc00000
	s_and_saveexec_b64 s[22:23], vcc
	s_cbranch_execz .LBB54_166
; %bb.163:
	s_mov_b64 s[26:27], 1
	s_mov_b64 s[24:25], 0
	v_mov_b32_e32 v34, 1.0
	v_mov_b32_e32 v31, v28
.LBB54_164:                             ; =>This Inner Loop Header: Depth=1
	s_flbit_i32_b32 s28, s27
	s_min_u32 s30, s28, 32
	s_lshl_b64 s[28:29], s[26:27], s30
	s_min_u32 s28, s28, 1
	s_or_b32 s28, s29, s28
	v_cvt_f32_u32_e32 v35, s28
	s_sub_i32 s30, 32, s30
	s_add_u32 s26, s26, 1
	s_addc_u32 s27, s27, 0
	v_ldexp_f32 v35, v35, s30
	v_cmp_eq_u64_e32 vcc, s[26:27], v[26:27]
	v_mul_f32_e32 v35, v34, v35
	s_or_b64 s[24:25], vcc, s[24:25]
	v_mov_b32_e32 v34, v31
	v_fma_f32 v31, v31, v28, -v35
	s_andn2_b64 exec, exec, s[24:25]
	s_cbranch_execnz .LBB54_164
; %bb.165:
	s_or_b64 exec, exec, s[24:25]
.LBB54_166:
	s_or_b64 exec, exec, s[22:23]
                                        ; implicit-def: $vgpr28
.LBB54_167:
	s_andn2_saveexec_b64 s[20:21], s[20:21]
; %bb.168:
	v_mov_b32_e32 v31, v28
; %bb.169:
	s_or_b64 exec, exec, s[20:21]
.LBB54_170:
	s_or_b64 exec, exec, s[14:15]
.LBB54_171:
	s_or_b64 exec, exec, s[10:11]
	v_bfe_u32 v26, v32, 16, 1
	s_movk_i32 s10, 0x7fff
	v_add3_u32 v26, v32, v26, s10
	v_and_b32_e32 v26, 0xffff0000, v26
	v_mov_b32_e32 v27, 0x7fc00000
	v_cmp_o_f32_e32 vcc, v32, v32
	v_cndmask_b32_e32 v26, v27, v26, vcc
	v_trunc_f32_e32 v26, v26
	s_mov_b32 s10, 0x2f800000
	v_mul_f32_e64 v27, |v26|, s10
	v_floor_f32_e32 v27, v27
	s_mov_b32 s10, 0xcf800000
	v_fma_f32 v28, v27, s10, |v26|
	v_cvt_u32_f32_e32 v28, v28
	v_cvt_u32_f32_e32 v27, v27
	v_ashrrev_i32_e32 v32, 31, v26
	v_xor_b32_e32 v26, v28, v32
	v_xor_b32_e32 v27, v27, v32
	v_sub_co_u32_e32 v26, vcc, v26, v32
	v_subb_co_u32_e32 v27, vcc, v27, v32, vcc
	v_cmp_lt_i64_e32 vcc, -1, v[26:27]
	v_mov_b32_e32 v28, 0
	s_and_saveexec_b64 s[10:11], vcc
	s_cbranch_execz .LBB54_183
; %bb.172:
	v_cmp_lt_i64_e32 vcc, 0, v[26:27]
	v_mov_b32_e32 v28, 1.0
	s_and_saveexec_b64 s[14:15], vcc
	s_cbranch_execz .LBB54_182
; %bb.173:
	v_lshlrev_b32_e32 v32, 16, v29
	v_cmp_ne_u64_e32 vcc, 1, v[26:27]
                                        ; implicit-def: $vgpr28
	s_and_saveexec_b64 s[20:21], vcc
	s_xor_b64 s[20:21], exec, s[20:21]
	s_cbranch_execz .LBB54_179
; %bb.174:
	s_mov_b64 s[22:23], 0x81
	v_cmp_gt_u64_e32 vcc, s[22:23], v[26:27]
	v_mov_b32_e32 v28, 0x7fc00000
	s_and_saveexec_b64 s[22:23], vcc
	s_cbranch_execz .LBB54_178
; %bb.175:
	s_mov_b64 s[26:27], 1
	s_mov_b64 s[24:25], 0
	v_mov_b32_e32 v34, 1.0
	v_mov_b32_e32 v28, v32
.LBB54_176:                             ; =>This Inner Loop Header: Depth=1
	s_flbit_i32_b32 s28, s27
	s_min_u32 s30, s28, 32
	s_lshl_b64 s[28:29], s[26:27], s30
	s_min_u32 s28, s28, 1
	s_or_b32 s28, s29, s28
	v_cvt_f32_u32_e32 v35, s28
	s_sub_i32 s30, 32, s30
	s_add_u32 s26, s26, 1
	s_addc_u32 s27, s27, 0
	v_ldexp_f32 v35, v35, s30
	v_cmp_eq_u64_e32 vcc, s[26:27], v[26:27]
	v_mul_f32_e32 v35, v34, v35
	s_or_b64 s[24:25], vcc, s[24:25]
	v_mov_b32_e32 v34, v28
	v_fma_f32 v28, v28, v32, -v35
	s_andn2_b64 exec, exec, s[24:25]
	s_cbranch_execnz .LBB54_176
; %bb.177:
	s_or_b64 exec, exec, s[24:25]
.LBB54_178:
	s_or_b64 exec, exec, s[22:23]
                                        ; implicit-def: $vgpr32
.LBB54_179:
	s_andn2_saveexec_b64 s[20:21], s[20:21]
; %bb.180:
	v_mov_b32_e32 v28, v32
; %bb.181:
	s_or_b64 exec, exec, s[20:21]
.LBB54_182:
	s_or_b64 exec, exec, s[14:15]
.LBB54_183:
	s_or_b64 exec, exec, s[10:11]
	v_bfe_u32 v26, v33, 16, 1
	s_movk_i32 s10, 0x7fff
	v_add3_u32 v26, v33, v26, s10
	v_and_b32_e32 v26, 0xffff0000, v26
	v_mov_b32_e32 v27, 0x7fc00000
	v_cmp_o_f32_e32 vcc, v33, v33
	v_cndmask_b32_e32 v26, v27, v26, vcc
	v_trunc_f32_e32 v26, v26
	s_mov_b32 s10, 0x2f800000
	v_mul_f32_e64 v27, |v26|, s10
	v_floor_f32_e32 v27, v27
	s_mov_b32 s10, 0xcf800000
	v_fma_f32 v32, v27, s10, |v26|
	v_cvt_u32_f32_e32 v32, v32
	v_cvt_u32_f32_e32 v27, v27
	v_ashrrev_i32_e32 v33, 31, v26
	v_xor_b32_e32 v26, v32, v33
	v_xor_b32_e32 v27, v27, v33
	v_sub_co_u32_e32 v26, vcc, v26, v33
	v_subb_co_u32_e32 v27, vcc, v27, v33, vcc
	v_cmp_lt_i64_e32 vcc, -1, v[26:27]
	v_mov_b32_e32 v32, 0
	s_and_saveexec_b64 s[10:11], vcc
	s_cbranch_execz .LBB54_195
; %bb.184:
	v_cmp_lt_i64_e32 vcc, 0, v[26:27]
	v_mov_b32_e32 v32, 1.0
	s_and_saveexec_b64 s[14:15], vcc
	s_cbranch_execz .LBB54_194
; %bb.185:
	v_and_b32_e32 v29, 0xffff0000, v29
	v_cmp_ne_u64_e32 vcc, 1, v[26:27]
                                        ; implicit-def: $vgpr32
	s_and_saveexec_b64 s[20:21], vcc
	s_xor_b64 s[20:21], exec, s[20:21]
	s_cbranch_execz .LBB54_191
; %bb.186:
	s_mov_b64 s[22:23], 0x81
	v_cmp_gt_u64_e32 vcc, s[22:23], v[26:27]
	v_mov_b32_e32 v32, 0x7fc00000
	s_and_saveexec_b64 s[22:23], vcc
	s_cbranch_execz .LBB54_190
; %bb.187:
	s_mov_b64 s[26:27], 1
	s_mov_b64 s[24:25], 0
	v_mov_b32_e32 v33, 1.0
	v_mov_b32_e32 v32, v29
.LBB54_188:                             ; =>This Inner Loop Header: Depth=1
	s_flbit_i32_b32 s28, s27
	s_min_u32 s30, s28, 32
	s_lshl_b64 s[28:29], s[26:27], s30
	s_min_u32 s28, s28, 1
	s_or_b32 s28, s29, s28
	v_cvt_f32_u32_e32 v34, s28
	s_sub_i32 s30, 32, s30
	s_add_u32 s26, s26, 1
	s_addc_u32 s27, s27, 0
	v_ldexp_f32 v34, v34, s30
	v_cmp_eq_u64_e32 vcc, s[26:27], v[26:27]
	v_mul_f32_e32 v34, v33, v34
	s_or_b64 s[24:25], vcc, s[24:25]
	v_mov_b32_e32 v33, v32
	v_fma_f32 v32, v32, v29, -v34
	s_andn2_b64 exec, exec, s[24:25]
	s_cbranch_execnz .LBB54_188
; %bb.189:
	s_or_b64 exec, exec, s[24:25]
.LBB54_190:
	s_or_b64 exec, exec, s[22:23]
                                        ; implicit-def: $vgpr29
.LBB54_191:
	s_andn2_saveexec_b64 s[20:21], s[20:21]
; %bb.192:
	v_mov_b32_e32 v32, v29
; %bb.193:
	s_or_b64 exec, exec, s[20:21]
.LBB54_194:
	s_or_b64 exec, exec, s[14:15]
.LBB54_195:
	s_or_b64 exec, exec, s[10:11]
	s_waitcnt vmcnt(2)
	v_bfe_u32 v26, v22, 16, 1
	s_movk_i32 s10, 0x7fff
	v_add3_u32 v26, v22, v26, s10
	v_and_b32_e32 v26, 0xffff0000, v26
	v_mov_b32_e32 v27, 0x7fc00000
	v_cmp_o_f32_e32 vcc, v22, v22
	v_cndmask_b32_e32 v22, v27, v26, vcc
	v_trunc_f32_e32 v22, v22
	s_mov_b32 s10, 0x2f800000
	v_mul_f32_e64 v26, |v22|, s10
	v_floor_f32_e32 v26, v26
	s_mov_b32 s10, 0xcf800000
	v_fma_f32 v27, v26, s10, |v22|
	v_cvt_u32_f32_e32 v26, v26
	v_cvt_u32_f32_e32 v27, v27
	v_ashrrev_i32_e32 v22, 31, v22
	v_xor_b32_e32 v29, v26, v22
	v_xor_b32_e32 v26, v27, v22
	v_sub_co_u32_e32 v26, vcc, v26, v22
	v_subb_co_u32_e32 v27, vcc, v29, v22, vcc
	v_cmp_lt_i64_e32 vcc, -1, v[26:27]
	v_mov_b32_e32 v29, 0
	s_and_saveexec_b64 s[10:11], vcc
	s_cbranch_execz .LBB54_207
; %bb.196:
	v_cmp_lt_i64_e32 vcc, 0, v[26:27]
	v_mov_b32_e32 v29, 1.0
	s_and_saveexec_b64 s[14:15], vcc
	s_cbranch_execz .LBB54_206
; %bb.197:
	v_lshlrev_b32_e32 v22, 16, v14
	v_cmp_ne_u64_e32 vcc, 1, v[26:27]
                                        ; implicit-def: $vgpr29
	s_and_saveexec_b64 s[20:21], vcc
	s_xor_b64 s[20:21], exec, s[20:21]
	s_cbranch_execz .LBB54_203
; %bb.198:
	s_mov_b64 s[22:23], 0x81
	v_cmp_gt_u64_e32 vcc, s[22:23], v[26:27]
	v_mov_b32_e32 v29, 0x7fc00000
	s_and_saveexec_b64 s[22:23], vcc
	s_cbranch_execz .LBB54_202
; %bb.199:
	s_mov_b64 s[26:27], 1
	s_mov_b64 s[24:25], 0
	v_mov_b32_e32 v33, 1.0
	v_mov_b32_e32 v29, v22
.LBB54_200:                             ; =>This Inner Loop Header: Depth=1
	s_flbit_i32_b32 s28, s27
	s_min_u32 s30, s28, 32
	s_lshl_b64 s[28:29], s[26:27], s30
	s_min_u32 s28, s28, 1
	s_or_b32 s28, s29, s28
	v_cvt_f32_u32_e32 v34, s28
	s_sub_i32 s30, 32, s30
	s_add_u32 s26, s26, 1
	s_addc_u32 s27, s27, 0
	v_ldexp_f32 v34, v34, s30
	v_cmp_eq_u64_e32 vcc, s[26:27], v[26:27]
	v_mul_f32_e32 v34, v33, v34
	s_or_b64 s[24:25], vcc, s[24:25]
	v_mov_b32_e32 v33, v29
	v_fma_f32 v29, v29, v22, -v34
	s_andn2_b64 exec, exec, s[24:25]
	s_cbranch_execnz .LBB54_200
; %bb.201:
	s_or_b64 exec, exec, s[24:25]
.LBB54_202:
	s_or_b64 exec, exec, s[22:23]
                                        ; implicit-def: $vgpr22
.LBB54_203:
	s_andn2_saveexec_b64 s[20:21], s[20:21]
; %bb.204:
	v_mov_b32_e32 v29, v22
; %bb.205:
	s_or_b64 exec, exec, s[20:21]
.LBB54_206:
	s_or_b64 exec, exec, s[14:15]
.LBB54_207:
	s_or_b64 exec, exec, s[10:11]
	v_bfe_u32 v22, v23, 16, 1
	s_movk_i32 s10, 0x7fff
	v_add3_u32 v22, v23, v22, s10
	v_and_b32_e32 v22, 0xffff0000, v22
	v_mov_b32_e32 v26, 0x7fc00000
	v_cmp_o_f32_e32 vcc, v23, v23
	v_cndmask_b32_e32 v22, v26, v22, vcc
	v_trunc_f32_e32 v22, v22
	s_mov_b32 s10, 0x2f800000
	v_mul_f32_e64 v23, |v22|, s10
	v_floor_f32_e32 v23, v23
	s_mov_b32 s10, 0xcf800000
	v_fma_f32 v26, v23, s10, |v22|
	v_cvt_u32_f32_e32 v26, v26
	v_cvt_u32_f32_e32 v23, v23
	v_ashrrev_i32_e32 v27, 31, v22
	v_xor_b32_e32 v22, v26, v27
	v_xor_b32_e32 v23, v23, v27
	v_sub_co_u32_e32 v22, vcc, v22, v27
	v_subb_co_u32_e32 v23, vcc, v23, v27, vcc
	v_cmp_lt_i64_e32 vcc, -1, v[22:23]
	v_mov_b32_e32 v26, 0
	s_and_saveexec_b64 s[10:11], vcc
	s_cbranch_execz .LBB54_219
; %bb.208:
	v_cmp_lt_i64_e32 vcc, 0, v[22:23]
	v_mov_b32_e32 v26, 1.0
	s_and_saveexec_b64 s[14:15], vcc
	s_cbranch_execz .LBB54_218
; %bb.209:
	v_and_b32_e32 v14, 0xffff0000, v14
	v_cmp_ne_u64_e32 vcc, 1, v[22:23]
                                        ; implicit-def: $vgpr26
	s_and_saveexec_b64 s[20:21], vcc
	s_xor_b64 s[20:21], exec, s[20:21]
	s_cbranch_execz .LBB54_215
; %bb.210:
	s_mov_b64 s[22:23], 0x81
	v_cmp_gt_u64_e32 vcc, s[22:23], v[22:23]
	v_mov_b32_e32 v26, 0x7fc00000
	s_and_saveexec_b64 s[22:23], vcc
	s_cbranch_execz .LBB54_214
; %bb.211:
	s_mov_b64 s[26:27], 1
	s_mov_b64 s[24:25], 0
	v_mov_b32_e32 v27, 1.0
	v_mov_b32_e32 v26, v14
.LBB54_212:                             ; =>This Inner Loop Header: Depth=1
	s_flbit_i32_b32 s28, s27
	s_min_u32 s30, s28, 32
	s_lshl_b64 s[28:29], s[26:27], s30
	s_min_u32 s28, s28, 1
	s_or_b32 s28, s29, s28
	v_cvt_f32_u32_e32 v33, s28
	s_sub_i32 s30, 32, s30
	s_add_u32 s26, s26, 1
	s_addc_u32 s27, s27, 0
	v_ldexp_f32 v33, v33, s30
	v_cmp_eq_u64_e32 vcc, s[26:27], v[22:23]
	v_mul_f32_e32 v33, v27, v33
	s_or_b64 s[24:25], vcc, s[24:25]
	v_mov_b32_e32 v27, v26
	v_fma_f32 v26, v26, v14, -v33
	s_andn2_b64 exec, exec, s[24:25]
	s_cbranch_execnz .LBB54_212
; %bb.213:
	s_or_b64 exec, exec, s[24:25]
.LBB54_214:
	s_or_b64 exec, exec, s[22:23]
                                        ; implicit-def: $vgpr14
.LBB54_215:
	s_andn2_saveexec_b64 s[20:21], s[20:21]
; %bb.216:
	v_mov_b32_e32 v26, v14
; %bb.217:
	s_or_b64 exec, exec, s[20:21]
.LBB54_218:
	s_or_b64 exec, exec, s[14:15]
.LBB54_219:
	s_or_b64 exec, exec, s[10:11]
	v_bfe_u32 v14, v24, 16, 1
	s_movk_i32 s10, 0x7fff
	v_add3_u32 v14, v24, v14, s10
	v_and_b32_e32 v14, 0xffff0000, v14
	v_mov_b32_e32 v22, 0x7fc00000
	v_cmp_o_f32_e32 vcc, v24, v24
	v_cndmask_b32_e32 v14, v22, v14, vcc
	v_trunc_f32_e32 v14, v14
	s_mov_b32 s10, 0x2f800000
	v_mul_f32_e64 v22, |v14|, s10
	v_floor_f32_e32 v22, v22
	s_mov_b32 s10, 0xcf800000
	v_fma_f32 v23, v22, s10, |v14|
	v_cvt_u32_f32_e32 v22, v22
	v_cvt_u32_f32_e32 v23, v23
	v_ashrrev_i32_e32 v14, 31, v14
	v_xor_b32_e32 v24, v22, v14
	v_xor_b32_e32 v22, v23, v14
	v_sub_co_u32_e32 v22, vcc, v22, v14
	v_subb_co_u32_e32 v23, vcc, v24, v14, vcc
	v_cmp_lt_i64_e32 vcc, -1, v[22:23]
	v_mov_b32_e32 v24, 0
	s_and_saveexec_b64 s[10:11], vcc
	s_cbranch_execz .LBB54_231
; %bb.220:
	v_cmp_lt_i64_e32 vcc, 0, v[22:23]
	v_mov_b32_e32 v24, 1.0
	s_and_saveexec_b64 s[14:15], vcc
	s_cbranch_execz .LBB54_230
; %bb.221:
	v_lshlrev_b32_e32 v14, 16, v15
	v_cmp_ne_u64_e32 vcc, 1, v[22:23]
                                        ; implicit-def: $vgpr24
	s_and_saveexec_b64 s[20:21], vcc
	s_xor_b64 s[20:21], exec, s[20:21]
	s_cbranch_execz .LBB54_227
; %bb.222:
	s_mov_b64 s[22:23], 0x81
	v_cmp_gt_u64_e32 vcc, s[22:23], v[22:23]
	v_mov_b32_e32 v24, 0x7fc00000
	s_and_saveexec_b64 s[22:23], vcc
	s_cbranch_execz .LBB54_226
; %bb.223:
	s_mov_b64 s[26:27], 1
	s_mov_b64 s[24:25], 0
	v_mov_b32_e32 v27, 1.0
	v_mov_b32_e32 v24, v14
.LBB54_224:                             ; =>This Inner Loop Header: Depth=1
	s_flbit_i32_b32 s28, s27
	s_min_u32 s30, s28, 32
	s_lshl_b64 s[28:29], s[26:27], s30
	s_min_u32 s28, s28, 1
	s_or_b32 s28, s29, s28
	v_cvt_f32_u32_e32 v33, s28
	s_sub_i32 s30, 32, s30
	s_add_u32 s26, s26, 1
	s_addc_u32 s27, s27, 0
	v_ldexp_f32 v33, v33, s30
	v_cmp_eq_u64_e32 vcc, s[26:27], v[22:23]
	v_mul_f32_e32 v33, v27, v33
	s_or_b64 s[24:25], vcc, s[24:25]
	v_mov_b32_e32 v27, v24
	v_fma_f32 v24, v24, v14, -v33
	s_andn2_b64 exec, exec, s[24:25]
	s_cbranch_execnz .LBB54_224
; %bb.225:
	s_or_b64 exec, exec, s[24:25]
.LBB54_226:
	s_or_b64 exec, exec, s[22:23]
                                        ; implicit-def: $vgpr14
.LBB54_227:
	s_andn2_saveexec_b64 s[20:21], s[20:21]
; %bb.228:
	v_mov_b32_e32 v24, v14
; %bb.229:
	s_or_b64 exec, exec, s[20:21]
.LBB54_230:
	s_or_b64 exec, exec, s[14:15]
.LBB54_231:
	s_or_b64 exec, exec, s[10:11]
	v_bfe_u32 v14, v25, 16, 1
	s_movk_i32 s10, 0x7fff
	v_add3_u32 v14, v25, v14, s10
	v_and_b32_e32 v14, 0xffff0000, v14
	v_mov_b32_e32 v22, 0x7fc00000
	v_cmp_o_f32_e32 vcc, v25, v25
	v_cndmask_b32_e32 v14, v22, v14, vcc
	v_trunc_f32_e32 v14, v14
	s_mov_b32 s10, 0x2f800000
	v_mul_f32_e64 v22, |v14|, s10
	v_floor_f32_e32 v22, v22
	s_mov_b32 s10, 0xcf800000
	v_fma_f32 v23, v22, s10, |v14|
	v_cvt_u32_f32_e32 v22, v22
	v_cvt_u32_f32_e32 v23, v23
	v_ashrrev_i32_e32 v14, 31, v14
	v_xor_b32_e32 v25, v22, v14
	v_xor_b32_e32 v22, v23, v14
	v_sub_co_u32_e32 v22, vcc, v22, v14
	v_subb_co_u32_e32 v23, vcc, v25, v14, vcc
	v_cmp_lt_i64_e32 vcc, -1, v[22:23]
	v_mov_b32_e32 v25, 0
	s_and_saveexec_b64 s[10:11], vcc
	s_cbranch_execz .LBB54_243
; %bb.232:
	v_cmp_lt_i64_e32 vcc, 0, v[22:23]
	v_mov_b32_e32 v25, 1.0
	s_and_saveexec_b64 s[14:15], vcc
	s_cbranch_execz .LBB54_242
; %bb.233:
	v_and_b32_e32 v14, 0xffff0000, v15
	v_cmp_ne_u64_e32 vcc, 1, v[22:23]
                                        ; implicit-def: $vgpr25
	s_and_saveexec_b64 s[20:21], vcc
	s_xor_b64 s[20:21], exec, s[20:21]
	s_cbranch_execz .LBB54_239
; %bb.234:
	s_mov_b64 s[22:23], 0x81
	v_cmp_gt_u64_e32 vcc, s[22:23], v[22:23]
	v_mov_b32_e32 v25, 0x7fc00000
	s_and_saveexec_b64 s[22:23], vcc
	s_cbranch_execz .LBB54_238
; %bb.235:
	s_mov_b64 s[26:27], 1
	s_mov_b64 s[24:25], 0
	v_mov_b32_e32 v15, 1.0
	v_mov_b32_e32 v25, v14
.LBB54_236:                             ; =>This Inner Loop Header: Depth=1
	s_flbit_i32_b32 s28, s27
	s_min_u32 s30, s28, 32
	s_lshl_b64 s[28:29], s[26:27], s30
	s_min_u32 s28, s28, 1
	s_or_b32 s28, s29, s28
	v_cvt_f32_u32_e32 v27, s28
	s_sub_i32 s30, 32, s30
	s_add_u32 s26, s26, 1
	s_addc_u32 s27, s27, 0
	v_ldexp_f32 v27, v27, s30
	v_cmp_eq_u64_e32 vcc, s[26:27], v[22:23]
	v_mul_f32_e32 v27, v15, v27
	s_or_b64 s[24:25], vcc, s[24:25]
	v_mov_b32_e32 v15, v25
	v_fma_f32 v25, v25, v14, -v27
	s_andn2_b64 exec, exec, s[24:25]
	s_cbranch_execnz .LBB54_236
; %bb.237:
	s_or_b64 exec, exec, s[24:25]
.LBB54_238:
	s_or_b64 exec, exec, s[22:23]
                                        ; implicit-def: $vgpr14
.LBB54_239:
	s_andn2_saveexec_b64 s[20:21], s[20:21]
; %bb.240:
	v_mov_b32_e32 v25, v14
; %bb.241:
	s_or_b64 exec, exec, s[20:21]
.LBB54_242:
	s_or_b64 exec, exec, s[14:15]
.LBB54_243:
	s_or_b64 exec, exec, s[10:11]
	v_bfe_u32 v14, v18, 16, 1
	s_movk_i32 s10, 0x7fff
	v_add3_u32 v14, v18, v14, s10
	v_and_b32_e32 v14, 0xffff0000, v14
	v_mov_b32_e32 v15, 0x7fc00000
	v_cmp_o_f32_e32 vcc, v18, v18
	v_cndmask_b32_e32 v14, v15, v14, vcc
	v_trunc_f32_e32 v14, v14
	s_mov_b32 s10, 0x2f800000
	v_mul_f32_e64 v15, |v14|, s10
	v_floor_f32_e32 v15, v15
	s_mov_b32 s10, 0xcf800000
	v_fma_f32 v18, v15, s10, |v14|
	v_cvt_u32_f32_e32 v18, v18
	v_cvt_u32_f32_e32 v15, v15
	v_ashrrev_i32_e32 v22, 31, v14
	v_xor_b32_e32 v14, v18, v22
	v_xor_b32_e32 v15, v15, v22
	v_sub_co_u32_e32 v14, vcc, v14, v22
	v_subb_co_u32_e32 v15, vcc, v15, v22, vcc
	v_cmp_lt_i64_e32 vcc, -1, v[14:15]
	v_mov_b32_e32 v18, 0
	s_and_saveexec_b64 s[10:11], vcc
	s_cbranch_execz .LBB54_255
; %bb.244:
	v_cmp_lt_i64_e32 vcc, 0, v[14:15]
	v_mov_b32_e32 v18, 1.0
	s_and_saveexec_b64 s[14:15], vcc
	s_cbranch_execz .LBB54_254
; %bb.245:
	v_lshlrev_b32_e32 v22, 16, v16
	v_cmp_ne_u64_e32 vcc, 1, v[14:15]
                                        ; implicit-def: $vgpr18
	s_and_saveexec_b64 s[20:21], vcc
	s_xor_b64 s[20:21], exec, s[20:21]
	s_cbranch_execz .LBB54_251
; %bb.246:
	s_mov_b64 s[22:23], 0x81
	v_cmp_gt_u64_e32 vcc, s[22:23], v[14:15]
	v_mov_b32_e32 v18, 0x7fc00000
	s_and_saveexec_b64 s[22:23], vcc
	s_cbranch_execz .LBB54_250
; %bb.247:
	s_mov_b64 s[26:27], 1
	s_mov_b64 s[24:25], 0
	v_mov_b32_e32 v23, 1.0
	v_mov_b32_e32 v18, v22
.LBB54_248:                             ; =>This Inner Loop Header: Depth=1
	s_flbit_i32_b32 s28, s27
	s_min_u32 s30, s28, 32
	s_lshl_b64 s[28:29], s[26:27], s30
	s_min_u32 s28, s28, 1
	s_or_b32 s28, s29, s28
	v_cvt_f32_u32_e32 v27, s28
	s_sub_i32 s30, 32, s30
	s_add_u32 s26, s26, 1
	s_addc_u32 s27, s27, 0
	v_ldexp_f32 v27, v27, s30
	v_cmp_eq_u64_e32 vcc, s[26:27], v[14:15]
	v_mul_f32_e32 v27, v23, v27
	s_or_b64 s[24:25], vcc, s[24:25]
	v_mov_b32_e32 v23, v18
	v_fma_f32 v18, v18, v22, -v27
	s_andn2_b64 exec, exec, s[24:25]
	s_cbranch_execnz .LBB54_248
; %bb.249:
	s_or_b64 exec, exec, s[24:25]
.LBB54_250:
	s_or_b64 exec, exec, s[22:23]
                                        ; implicit-def: $vgpr22
.LBB54_251:
	s_andn2_saveexec_b64 s[20:21], s[20:21]
; %bb.252:
	v_mov_b32_e32 v18, v22
; %bb.253:
	s_or_b64 exec, exec, s[20:21]
.LBB54_254:
	s_or_b64 exec, exec, s[14:15]
.LBB54_255:
	s_or_b64 exec, exec, s[10:11]
	v_bfe_u32 v14, v19, 16, 1
	s_movk_i32 s10, 0x7fff
	v_add3_u32 v14, v19, v14, s10
	v_and_b32_e32 v14, 0xffff0000, v14
	v_mov_b32_e32 v15, 0x7fc00000
	v_cmp_o_f32_e32 vcc, v19, v19
	v_cndmask_b32_e32 v14, v15, v14, vcc
	v_trunc_f32_e32 v14, v14
	s_mov_b32 s10, 0x2f800000
	v_mul_f32_e64 v15, |v14|, s10
	v_floor_f32_e32 v15, v15
	s_mov_b32 s10, 0xcf800000
	v_fma_f32 v19, v15, s10, |v14|
	v_cvt_u32_f32_e32 v19, v19
	v_cvt_u32_f32_e32 v15, v15
	v_ashrrev_i32_e32 v22, 31, v14
	v_xor_b32_e32 v14, v19, v22
	v_xor_b32_e32 v15, v15, v22
	v_sub_co_u32_e32 v14, vcc, v14, v22
	v_subb_co_u32_e32 v15, vcc, v15, v22, vcc
	v_cmp_lt_i64_e32 vcc, -1, v[14:15]
	v_mov_b32_e32 v19, 0
	s_and_saveexec_b64 s[10:11], vcc
	s_cbranch_execz .LBB54_267
; %bb.256:
	v_cmp_lt_i64_e32 vcc, 0, v[14:15]
	v_mov_b32_e32 v19, 1.0
	s_and_saveexec_b64 s[14:15], vcc
	s_cbranch_execz .LBB54_266
; %bb.257:
	v_and_b32_e32 v16, 0xffff0000, v16
	v_cmp_ne_u64_e32 vcc, 1, v[14:15]
                                        ; implicit-def: $vgpr19
	s_and_saveexec_b64 s[20:21], vcc
	s_xor_b64 s[20:21], exec, s[20:21]
	s_cbranch_execz .LBB54_263
; %bb.258:
	s_mov_b64 s[22:23], 0x81
	v_cmp_gt_u64_e32 vcc, s[22:23], v[14:15]
	v_mov_b32_e32 v19, 0x7fc00000
	s_and_saveexec_b64 s[22:23], vcc
	s_cbranch_execz .LBB54_262
; %bb.259:
	s_mov_b64 s[26:27], 1
	s_mov_b64 s[24:25], 0
	v_mov_b32_e32 v22, 1.0
	v_mov_b32_e32 v19, v16
.LBB54_260:                             ; =>This Inner Loop Header: Depth=1
	s_flbit_i32_b32 s28, s27
	s_min_u32 s30, s28, 32
	s_lshl_b64 s[28:29], s[26:27], s30
	s_min_u32 s28, s28, 1
	s_or_b32 s28, s29, s28
	v_cvt_f32_u32_e32 v23, s28
	s_sub_i32 s30, 32, s30
	s_add_u32 s26, s26, 1
	s_addc_u32 s27, s27, 0
	v_ldexp_f32 v23, v23, s30
	v_cmp_eq_u64_e32 vcc, s[26:27], v[14:15]
	v_mul_f32_e32 v23, v22, v23
	s_or_b64 s[24:25], vcc, s[24:25]
	v_mov_b32_e32 v22, v19
	v_fma_f32 v19, v19, v16, -v23
	s_andn2_b64 exec, exec, s[24:25]
	s_cbranch_execnz .LBB54_260
; %bb.261:
	s_or_b64 exec, exec, s[24:25]
.LBB54_262:
	s_or_b64 exec, exec, s[22:23]
                                        ; implicit-def: $vgpr16
.LBB54_263:
	s_andn2_saveexec_b64 s[20:21], s[20:21]
; %bb.264:
	v_mov_b32_e32 v19, v16
; %bb.265:
	s_or_b64 exec, exec, s[20:21]
.LBB54_266:
	s_or_b64 exec, exec, s[14:15]
.LBB54_267:
	s_or_b64 exec, exec, s[10:11]
	v_bfe_u32 v14, v20, 16, 1
	s_movk_i32 s10, 0x7fff
	v_add3_u32 v14, v20, v14, s10
	v_and_b32_e32 v14, 0xffff0000, v14
	v_mov_b32_e32 v15, 0x7fc00000
	v_cmp_o_f32_e32 vcc, v20, v20
	v_cndmask_b32_e32 v14, v15, v14, vcc
	v_trunc_f32_e32 v14, v14
	s_mov_b32 s10, 0x2f800000
	v_mul_f32_e64 v15, |v14|, s10
	v_floor_f32_e32 v15, v15
	s_mov_b32 s10, 0xcf800000
	v_fma_f32 v16, v15, s10, |v14|
	v_cvt_u32_f32_e32 v16, v16
	v_cvt_u32_f32_e32 v15, v15
	v_ashrrev_i32_e32 v20, 31, v14
	v_xor_b32_e32 v14, v16, v20
	v_xor_b32_e32 v15, v15, v20
	v_sub_co_u32_e32 v14, vcc, v14, v20
	v_subb_co_u32_e32 v15, vcc, v15, v20, vcc
	v_cmp_lt_i64_e32 vcc, -1, v[14:15]
	v_mov_b32_e32 v16, 0
	s_and_saveexec_b64 s[10:11], vcc
	s_cbranch_execz .LBB54_279
; %bb.268:
	v_cmp_lt_i64_e32 vcc, 0, v[14:15]
	v_mov_b32_e32 v16, 1.0
	s_and_saveexec_b64 s[14:15], vcc
	s_cbranch_execz .LBB54_278
; %bb.269:
	v_lshlrev_b32_e32 v20, 16, v17
	v_cmp_ne_u64_e32 vcc, 1, v[14:15]
                                        ; implicit-def: $vgpr16
	s_and_saveexec_b64 s[20:21], vcc
	s_xor_b64 s[20:21], exec, s[20:21]
	s_cbranch_execz .LBB54_275
; %bb.270:
	s_mov_b64 s[22:23], 0x81
	v_cmp_gt_u64_e32 vcc, s[22:23], v[14:15]
	v_mov_b32_e32 v16, 0x7fc00000
	s_and_saveexec_b64 s[22:23], vcc
	s_cbranch_execz .LBB54_274
; %bb.271:
	s_mov_b64 s[26:27], 1
	s_mov_b64 s[24:25], 0
	v_mov_b32_e32 v22, 1.0
	v_mov_b32_e32 v16, v20
.LBB54_272:                             ; =>This Inner Loop Header: Depth=1
	s_flbit_i32_b32 s28, s27
	s_min_u32 s30, s28, 32
	s_lshl_b64 s[28:29], s[26:27], s30
	s_min_u32 s28, s28, 1
	s_or_b32 s28, s29, s28
	v_cvt_f32_u32_e32 v23, s28
	s_sub_i32 s30, 32, s30
	s_add_u32 s26, s26, 1
	s_addc_u32 s27, s27, 0
	v_ldexp_f32 v23, v23, s30
	v_cmp_eq_u64_e32 vcc, s[26:27], v[14:15]
	v_mul_f32_e32 v23, v22, v23
	s_or_b64 s[24:25], vcc, s[24:25]
	v_mov_b32_e32 v22, v16
	v_fma_f32 v16, v16, v20, -v23
	s_andn2_b64 exec, exec, s[24:25]
	s_cbranch_execnz .LBB54_272
; %bb.273:
	s_or_b64 exec, exec, s[24:25]
.LBB54_274:
	s_or_b64 exec, exec, s[22:23]
                                        ; implicit-def: $vgpr20
.LBB54_275:
	s_andn2_saveexec_b64 s[20:21], s[20:21]
; %bb.276:
	v_mov_b32_e32 v16, v20
; %bb.277:
	s_or_b64 exec, exec, s[20:21]
.LBB54_278:
	s_or_b64 exec, exec, s[14:15]
.LBB54_279:
	s_or_b64 exec, exec, s[10:11]
	v_bfe_u32 v14, v21, 16, 1
	s_movk_i32 s10, 0x7fff
	v_add3_u32 v14, v21, v14, s10
	v_and_b32_e32 v14, 0xffff0000, v14
	v_mov_b32_e32 v15, 0x7fc00000
	v_cmp_o_f32_e32 vcc, v21, v21
	v_cndmask_b32_e32 v14, v15, v14, vcc
	v_trunc_f32_e32 v14, v14
	s_mov_b32 s10, 0x2f800000
	v_mul_f32_e64 v15, |v14|, s10
	v_floor_f32_e32 v15, v15
	s_mov_b32 s10, 0xcf800000
	v_fma_f32 v20, v15, s10, |v14|
	v_cvt_u32_f32_e32 v20, v20
	v_cvt_u32_f32_e32 v15, v15
	v_ashrrev_i32_e32 v21, 31, v14
	v_xor_b32_e32 v14, v20, v21
	v_xor_b32_e32 v15, v15, v21
	v_sub_co_u32_e32 v14, vcc, v14, v21
	v_subb_co_u32_e32 v15, vcc, v15, v21, vcc
	v_cmp_lt_i64_e32 vcc, -1, v[14:15]
	v_mov_b32_e32 v20, 0
	s_and_saveexec_b64 s[10:11], vcc
	s_cbranch_execz .LBB54_291
; %bb.280:
	v_cmp_lt_i64_e32 vcc, 0, v[14:15]
	v_mov_b32_e32 v20, 1.0
	s_and_saveexec_b64 s[14:15], vcc
	s_cbranch_execz .LBB54_290
; %bb.281:
	v_and_b32_e32 v17, 0xffff0000, v17
	v_cmp_ne_u64_e32 vcc, 1, v[14:15]
                                        ; implicit-def: $vgpr20
	s_and_saveexec_b64 s[20:21], vcc
	s_xor_b64 s[20:21], exec, s[20:21]
	s_cbranch_execz .LBB54_287
; %bb.282:
	s_mov_b64 s[22:23], 0x81
	v_cmp_gt_u64_e32 vcc, s[22:23], v[14:15]
	v_mov_b32_e32 v20, 0x7fc00000
	s_and_saveexec_b64 s[22:23], vcc
	s_cbranch_execz .LBB54_286
; %bb.283:
	s_mov_b64 s[26:27], 1
	s_mov_b64 s[24:25], 0
	v_mov_b32_e32 v21, 1.0
	v_mov_b32_e32 v20, v17
.LBB54_284:                             ; =>This Inner Loop Header: Depth=1
	s_flbit_i32_b32 s28, s27
	s_min_u32 s30, s28, 32
	s_lshl_b64 s[28:29], s[26:27], s30
	s_min_u32 s28, s28, 1
	s_or_b32 s28, s29, s28
	v_cvt_f32_u32_e32 v22, s28
	s_sub_i32 s30, 32, s30
	s_add_u32 s26, s26, 1
	s_addc_u32 s27, s27, 0
	v_ldexp_f32 v22, v22, s30
	v_cmp_eq_u64_e32 vcc, s[26:27], v[14:15]
	v_mul_f32_e32 v22, v21, v22
	s_or_b64 s[24:25], vcc, s[24:25]
	v_mov_b32_e32 v21, v20
	v_fma_f32 v20, v20, v17, -v22
	s_andn2_b64 exec, exec, s[24:25]
	s_cbranch_execnz .LBB54_284
; %bb.285:
	s_or_b64 exec, exec, s[24:25]
.LBB54_286:
	s_or_b64 exec, exec, s[22:23]
                                        ; implicit-def: $vgpr17
.LBB54_287:
	s_andn2_saveexec_b64 s[20:21], s[20:21]
; %bb.288:
	v_mov_b32_e32 v20, v17
; %bb.289:
	s_or_b64 exec, exec, s[20:21]
.LBB54_290:
	s_or_b64 exec, exec, s[14:15]
.LBB54_291:
	s_or_b64 exec, exec, s[10:11]
	s_waitcnt vmcnt(1)
	v_bfe_u32 v14, v10, 16, 1
	s_movk_i32 s10, 0x7fff
	v_add3_u32 v14, v10, v14, s10
	v_and_b32_e32 v14, 0xffff0000, v14
	v_mov_b32_e32 v15, 0x7fc00000
	v_cmp_o_f32_e32 vcc, v10, v10
	v_cndmask_b32_e32 v10, v15, v14, vcc
	v_trunc_f32_e32 v10, v10
	s_mov_b32 s10, 0x2f800000
	v_mul_f32_e64 v14, |v10|, s10
	v_floor_f32_e32 v14, v14
	s_mov_b32 s10, 0xcf800000
	v_fma_f32 v15, v14, s10, |v10|
	v_cvt_u32_f32_e32 v14, v14
	v_cvt_u32_f32_e32 v15, v15
	v_ashrrev_i32_e32 v10, 31, v10
	v_xor_b32_e32 v17, v14, v10
	v_xor_b32_e32 v14, v15, v10
	v_sub_co_u32_e32 v14, vcc, v14, v10
	v_subb_co_u32_e32 v15, vcc, v17, v10, vcc
	v_cmp_lt_i64_e32 vcc, -1, v[14:15]
	v_mov_b32_e32 v17, 0
	s_and_saveexec_b64 s[10:11], vcc
	s_cbranch_execz .LBB54_303
; %bb.292:
	v_cmp_lt_i64_e32 vcc, 0, v[14:15]
	v_mov_b32_e32 v17, 1.0
	s_and_saveexec_b64 s[14:15], vcc
	s_cbranch_execz .LBB54_302
; %bb.293:
	v_lshlrev_b32_e32 v10, 16, v2
	v_cmp_ne_u64_e32 vcc, 1, v[14:15]
                                        ; implicit-def: $vgpr17
	s_and_saveexec_b64 s[20:21], vcc
	s_xor_b64 s[20:21], exec, s[20:21]
	s_cbranch_execz .LBB54_299
; %bb.294:
	s_mov_b64 s[22:23], 0x81
	v_cmp_gt_u64_e32 vcc, s[22:23], v[14:15]
	v_mov_b32_e32 v17, 0x7fc00000
	s_and_saveexec_b64 s[22:23], vcc
	s_cbranch_execz .LBB54_298
; %bb.295:
	s_mov_b64 s[26:27], 1
	s_mov_b64 s[24:25], 0
	v_mov_b32_e32 v21, 1.0
	v_mov_b32_e32 v17, v10
.LBB54_296:                             ; =>This Inner Loop Header: Depth=1
	s_flbit_i32_b32 s28, s27
	s_min_u32 s30, s28, 32
	s_lshl_b64 s[28:29], s[26:27], s30
	s_min_u32 s28, s28, 1
	s_or_b32 s28, s29, s28
	v_cvt_f32_u32_e32 v22, s28
	s_sub_i32 s30, 32, s30
	s_add_u32 s26, s26, 1
	s_addc_u32 s27, s27, 0
	v_ldexp_f32 v22, v22, s30
	v_cmp_eq_u64_e32 vcc, s[26:27], v[14:15]
	v_mul_f32_e32 v22, v21, v22
	s_or_b64 s[24:25], vcc, s[24:25]
	v_mov_b32_e32 v21, v17
	v_fma_f32 v17, v17, v10, -v22
	s_andn2_b64 exec, exec, s[24:25]
	s_cbranch_execnz .LBB54_296
; %bb.297:
	s_or_b64 exec, exec, s[24:25]
.LBB54_298:
	s_or_b64 exec, exec, s[22:23]
                                        ; implicit-def: $vgpr10
.LBB54_299:
	s_andn2_saveexec_b64 s[20:21], s[20:21]
; %bb.300:
	v_mov_b32_e32 v17, v10
; %bb.301:
	s_or_b64 exec, exec, s[20:21]
.LBB54_302:
	s_or_b64 exec, exec, s[14:15]
.LBB54_303:
	s_or_b64 exec, exec, s[10:11]
	v_bfe_u32 v10, v11, 16, 1
	s_movk_i32 s10, 0x7fff
	v_add3_u32 v10, v11, v10, s10
	v_and_b32_e32 v10, 0xffff0000, v10
	v_mov_b32_e32 v14, 0x7fc00000
	v_cmp_o_f32_e32 vcc, v11, v11
	v_cndmask_b32_e32 v10, v14, v10, vcc
	v_trunc_f32_e32 v10, v10
	s_mov_b32 s10, 0x2f800000
	v_mul_f32_e64 v11, |v10|, s10
	v_floor_f32_e32 v11, v11
	s_mov_b32 s10, 0xcf800000
	v_fma_f32 v14, v11, s10, |v10|
	v_cvt_u32_f32_e32 v14, v14
	v_cvt_u32_f32_e32 v11, v11
	v_ashrrev_i32_e32 v15, 31, v10
	v_xor_b32_e32 v10, v14, v15
	v_xor_b32_e32 v11, v11, v15
	v_sub_co_u32_e32 v10, vcc, v10, v15
	v_subb_co_u32_e32 v11, vcc, v11, v15, vcc
	v_cmp_lt_i64_e32 vcc, -1, v[10:11]
	v_mov_b32_e32 v14, 0
	s_and_saveexec_b64 s[10:11], vcc
	s_cbranch_execz .LBB54_315
; %bb.304:
	v_cmp_lt_i64_e32 vcc, 0, v[10:11]
	v_mov_b32_e32 v14, 1.0
	s_and_saveexec_b64 s[14:15], vcc
	s_cbranch_execz .LBB54_314
; %bb.305:
	v_and_b32_e32 v2, 0xffff0000, v2
	v_cmp_ne_u64_e32 vcc, 1, v[10:11]
                                        ; implicit-def: $vgpr14
	s_and_saveexec_b64 s[20:21], vcc
	s_xor_b64 s[20:21], exec, s[20:21]
	s_cbranch_execz .LBB54_311
; %bb.306:
	s_mov_b64 s[22:23], 0x81
	v_cmp_gt_u64_e32 vcc, s[22:23], v[10:11]
	v_mov_b32_e32 v14, 0x7fc00000
	s_and_saveexec_b64 s[22:23], vcc
	s_cbranch_execz .LBB54_310
; %bb.307:
	s_mov_b64 s[26:27], 1
	s_mov_b64 s[24:25], 0
	v_mov_b32_e32 v15, 1.0
	v_mov_b32_e32 v14, v2
.LBB54_308:                             ; =>This Inner Loop Header: Depth=1
	s_flbit_i32_b32 s28, s27
	s_min_u32 s30, s28, 32
	s_lshl_b64 s[28:29], s[26:27], s30
	s_min_u32 s28, s28, 1
	s_or_b32 s28, s29, s28
	v_cvt_f32_u32_e32 v21, s28
	s_sub_i32 s30, 32, s30
	s_add_u32 s26, s26, 1
	s_addc_u32 s27, s27, 0
	v_ldexp_f32 v21, v21, s30
	v_cmp_eq_u64_e32 vcc, s[26:27], v[10:11]
	v_mul_f32_e32 v21, v15, v21
	s_or_b64 s[24:25], vcc, s[24:25]
	v_mov_b32_e32 v15, v14
	v_fma_f32 v14, v14, v2, -v21
	s_andn2_b64 exec, exec, s[24:25]
	s_cbranch_execnz .LBB54_308
; %bb.309:
	s_or_b64 exec, exec, s[24:25]
.LBB54_310:
	s_or_b64 exec, exec, s[22:23]
                                        ; implicit-def: $vgpr2
.LBB54_311:
	s_andn2_saveexec_b64 s[20:21], s[20:21]
; %bb.312:
	v_mov_b32_e32 v14, v2
; %bb.313:
	s_or_b64 exec, exec, s[20:21]
.LBB54_314:
	s_or_b64 exec, exec, s[14:15]
.LBB54_315:
	s_or_b64 exec, exec, s[10:11]
	v_bfe_u32 v2, v12, 16, 1
	s_movk_i32 s10, 0x7fff
	v_add3_u32 v2, v12, v2, s10
	v_and_b32_e32 v2, 0xffff0000, v2
	v_mov_b32_e32 v10, 0x7fc00000
	v_cmp_o_f32_e32 vcc, v12, v12
	v_cndmask_b32_e32 v2, v10, v2, vcc
	v_trunc_f32_e32 v2, v2
	s_mov_b32 s10, 0x2f800000
	v_mul_f32_e64 v10, |v2|, s10
	v_floor_f32_e32 v10, v10
	s_mov_b32 s10, 0xcf800000
	v_fma_f32 v11, v10, s10, |v2|
	v_cvt_u32_f32_e32 v10, v10
	v_cvt_u32_f32_e32 v11, v11
	v_ashrrev_i32_e32 v2, 31, v2
	v_xor_b32_e32 v12, v10, v2
	v_xor_b32_e32 v10, v11, v2
	v_sub_co_u32_e32 v10, vcc, v10, v2
	v_subb_co_u32_e32 v11, vcc, v12, v2, vcc
	v_cmp_lt_i64_e32 vcc, -1, v[10:11]
	v_mov_b32_e32 v12, 0
	s_and_saveexec_b64 s[10:11], vcc
	s_cbranch_execz .LBB54_327
; %bb.316:
	v_cmp_lt_i64_e32 vcc, 0, v[10:11]
	v_mov_b32_e32 v12, 1.0
	s_and_saveexec_b64 s[14:15], vcc
	s_cbranch_execz .LBB54_326
; %bb.317:
	v_lshlrev_b32_e32 v2, 16, v3
	v_cmp_ne_u64_e32 vcc, 1, v[10:11]
                                        ; implicit-def: $vgpr12
	s_and_saveexec_b64 s[20:21], vcc
	s_xor_b64 s[20:21], exec, s[20:21]
	s_cbranch_execz .LBB54_323
; %bb.318:
	s_mov_b64 s[22:23], 0x81
	v_cmp_gt_u64_e32 vcc, s[22:23], v[10:11]
	v_mov_b32_e32 v12, 0x7fc00000
	s_and_saveexec_b64 s[22:23], vcc
	s_cbranch_execz .LBB54_322
; %bb.319:
	s_mov_b64 s[26:27], 1
	s_mov_b64 s[24:25], 0
	v_mov_b32_e32 v15, 1.0
	v_mov_b32_e32 v12, v2
.LBB54_320:                             ; =>This Inner Loop Header: Depth=1
	s_flbit_i32_b32 s28, s27
	s_min_u32 s30, s28, 32
	s_lshl_b64 s[28:29], s[26:27], s30
	s_min_u32 s28, s28, 1
	s_or_b32 s28, s29, s28
	v_cvt_f32_u32_e32 v21, s28
	s_sub_i32 s30, 32, s30
	s_add_u32 s26, s26, 1
	s_addc_u32 s27, s27, 0
	v_ldexp_f32 v21, v21, s30
	v_cmp_eq_u64_e32 vcc, s[26:27], v[10:11]
	v_mul_f32_e32 v21, v15, v21
	s_or_b64 s[24:25], vcc, s[24:25]
	v_mov_b32_e32 v15, v12
	v_fma_f32 v12, v12, v2, -v21
	s_andn2_b64 exec, exec, s[24:25]
	s_cbranch_execnz .LBB54_320
; %bb.321:
	s_or_b64 exec, exec, s[24:25]
.LBB54_322:
	s_or_b64 exec, exec, s[22:23]
                                        ; implicit-def: $vgpr2
.LBB54_323:
	s_andn2_saveexec_b64 s[20:21], s[20:21]
; %bb.324:
	v_mov_b32_e32 v12, v2
; %bb.325:
	s_or_b64 exec, exec, s[20:21]
.LBB54_326:
	s_or_b64 exec, exec, s[14:15]
.LBB54_327:
	s_or_b64 exec, exec, s[10:11]
	v_bfe_u32 v2, v13, 16, 1
	s_movk_i32 s10, 0x7fff
	v_add3_u32 v2, v13, v2, s10
	v_and_b32_e32 v2, 0xffff0000, v2
	v_mov_b32_e32 v10, 0x7fc00000
	v_cmp_o_f32_e32 vcc, v13, v13
	v_cndmask_b32_e32 v2, v10, v2, vcc
	v_trunc_f32_e32 v2, v2
	s_mov_b32 s10, 0x2f800000
	v_mul_f32_e64 v10, |v2|, s10
	v_floor_f32_e32 v10, v10
	s_mov_b32 s10, 0xcf800000
	v_fma_f32 v11, v10, s10, |v2|
	v_cvt_u32_f32_e32 v10, v10
	v_cvt_u32_f32_e32 v11, v11
	v_ashrrev_i32_e32 v2, 31, v2
	v_xor_b32_e32 v13, v10, v2
	v_xor_b32_e32 v10, v11, v2
	v_sub_co_u32_e32 v10, vcc, v10, v2
	v_subb_co_u32_e32 v11, vcc, v13, v2, vcc
	v_cmp_lt_i64_e32 vcc, -1, v[10:11]
	v_mov_b32_e32 v13, 0
	s_and_saveexec_b64 s[10:11], vcc
	s_cbranch_execz .LBB54_339
; %bb.328:
	v_cmp_lt_i64_e32 vcc, 0, v[10:11]
	v_mov_b32_e32 v13, 1.0
	s_and_saveexec_b64 s[14:15], vcc
	s_cbranch_execz .LBB54_338
; %bb.329:
	v_and_b32_e32 v2, 0xffff0000, v3
	v_cmp_ne_u64_e32 vcc, 1, v[10:11]
                                        ; implicit-def: $vgpr13
	s_and_saveexec_b64 s[20:21], vcc
	s_xor_b64 s[20:21], exec, s[20:21]
	s_cbranch_execz .LBB54_335
; %bb.330:
	s_mov_b64 s[22:23], 0x81
	v_cmp_gt_u64_e32 vcc, s[22:23], v[10:11]
	v_mov_b32_e32 v13, 0x7fc00000
	s_and_saveexec_b64 s[22:23], vcc
	s_cbranch_execz .LBB54_334
; %bb.331:
	s_mov_b64 s[26:27], 1
	s_mov_b64 s[24:25], 0
	v_mov_b32_e32 v3, 1.0
	v_mov_b32_e32 v13, v2
.LBB54_332:                             ; =>This Inner Loop Header: Depth=1
	s_flbit_i32_b32 s28, s27
	s_min_u32 s30, s28, 32
	s_lshl_b64 s[28:29], s[26:27], s30
	s_min_u32 s28, s28, 1
	s_or_b32 s28, s29, s28
	v_cvt_f32_u32_e32 v15, s28
	s_sub_i32 s30, 32, s30
	s_add_u32 s26, s26, 1
	s_addc_u32 s27, s27, 0
	v_ldexp_f32 v15, v15, s30
	v_cmp_eq_u64_e32 vcc, s[26:27], v[10:11]
	v_mul_f32_e32 v15, v3, v15
	s_or_b64 s[24:25], vcc, s[24:25]
	v_mov_b32_e32 v3, v13
	v_fma_f32 v13, v13, v2, -v15
	s_andn2_b64 exec, exec, s[24:25]
	s_cbranch_execnz .LBB54_332
; %bb.333:
	s_or_b64 exec, exec, s[24:25]
.LBB54_334:
	s_or_b64 exec, exec, s[22:23]
                                        ; implicit-def: $vgpr2
.LBB54_335:
	s_andn2_saveexec_b64 s[20:21], s[20:21]
; %bb.336:
	v_mov_b32_e32 v13, v2
; %bb.337:
	s_or_b64 exec, exec, s[20:21]
.LBB54_338:
	s_or_b64 exec, exec, s[14:15]
.LBB54_339:
	s_or_b64 exec, exec, s[10:11]
	s_waitcnt vmcnt(0)
	v_bfe_u32 v2, v6, 16, 1
	s_movk_i32 s10, 0x7fff
	v_add3_u32 v2, v6, v2, s10
	v_and_b32_e32 v2, 0xffff0000, v2
	v_mov_b32_e32 v3, 0x7fc00000
	v_cmp_o_f32_e32 vcc, v6, v6
	v_cndmask_b32_e32 v2, v3, v2, vcc
	v_trunc_f32_e32 v2, v2
	s_mov_b32 s10, 0x2f800000
	v_mul_f32_e64 v3, |v2|, s10
	v_floor_f32_e32 v3, v3
	s_mov_b32 s10, 0xcf800000
	v_fma_f32 v6, v3, s10, |v2|
	v_cvt_u32_f32_e32 v6, v6
	v_cvt_u32_f32_e32 v3, v3
	v_ashrrev_i32_e32 v10, 31, v2
	v_xor_b32_e32 v2, v6, v10
	v_xor_b32_e32 v3, v3, v10
	v_sub_co_u32_e32 v2, vcc, v2, v10
	v_subb_co_u32_e32 v3, vcc, v3, v10, vcc
	v_cmp_lt_i64_e32 vcc, -1, v[2:3]
	v_mov_b32_e32 v6, 0
	s_and_saveexec_b64 s[10:11], vcc
	s_cbranch_execz .LBB54_351
; %bb.340:
	v_cmp_lt_i64_e32 vcc, 0, v[2:3]
	v_mov_b32_e32 v6, 1.0
	s_and_saveexec_b64 s[14:15], vcc
	s_cbranch_execz .LBB54_350
; %bb.341:
	v_lshlrev_b32_e32 v10, 16, v4
	v_cmp_ne_u64_e32 vcc, 1, v[2:3]
                                        ; implicit-def: $vgpr6
	s_and_saveexec_b64 s[20:21], vcc
	s_xor_b64 s[20:21], exec, s[20:21]
	s_cbranch_execz .LBB54_347
; %bb.342:
	s_mov_b64 s[22:23], 0x81
	v_cmp_gt_u64_e32 vcc, s[22:23], v[2:3]
	v_mov_b32_e32 v6, 0x7fc00000
	s_and_saveexec_b64 s[22:23], vcc
	s_cbranch_execz .LBB54_346
; %bb.343:
	s_mov_b64 s[26:27], 1
	s_mov_b64 s[24:25], 0
	v_mov_b32_e32 v11, 1.0
	v_mov_b32_e32 v6, v10
.LBB54_344:                             ; =>This Inner Loop Header: Depth=1
	s_flbit_i32_b32 s28, s27
	s_min_u32 s30, s28, 32
	s_lshl_b64 s[28:29], s[26:27], s30
	s_min_u32 s28, s28, 1
	s_or_b32 s28, s29, s28
	v_cvt_f32_u32_e32 v15, s28
	s_sub_i32 s30, 32, s30
	s_add_u32 s26, s26, 1
	s_addc_u32 s27, s27, 0
	v_ldexp_f32 v15, v15, s30
	v_cmp_eq_u64_e32 vcc, s[26:27], v[2:3]
	v_mul_f32_e32 v15, v11, v15
	s_or_b64 s[24:25], vcc, s[24:25]
	v_mov_b32_e32 v11, v6
	v_fma_f32 v6, v6, v10, -v15
	s_andn2_b64 exec, exec, s[24:25]
	s_cbranch_execnz .LBB54_344
; %bb.345:
	s_or_b64 exec, exec, s[24:25]
.LBB54_346:
	s_or_b64 exec, exec, s[22:23]
                                        ; implicit-def: $vgpr10
.LBB54_347:
	s_andn2_saveexec_b64 s[20:21], s[20:21]
; %bb.348:
	v_mov_b32_e32 v6, v10
; %bb.349:
	s_or_b64 exec, exec, s[20:21]
.LBB54_350:
	s_or_b64 exec, exec, s[14:15]
.LBB54_351:
	s_or_b64 exec, exec, s[10:11]
	v_bfe_u32 v2, v7, 16, 1
	s_movk_i32 s10, 0x7fff
	v_add3_u32 v2, v7, v2, s10
	v_and_b32_e32 v2, 0xffff0000, v2
	v_mov_b32_e32 v3, 0x7fc00000
	v_cmp_o_f32_e32 vcc, v7, v7
	v_cndmask_b32_e32 v2, v3, v2, vcc
	v_trunc_f32_e32 v2, v2
	s_mov_b32 s10, 0x2f800000
	v_mul_f32_e64 v3, |v2|, s10
	v_floor_f32_e32 v3, v3
	s_mov_b32 s10, 0xcf800000
	v_fma_f32 v7, v3, s10, |v2|
	v_cvt_u32_f32_e32 v7, v7
	v_cvt_u32_f32_e32 v3, v3
	v_ashrrev_i32_e32 v10, 31, v2
	v_xor_b32_e32 v2, v7, v10
	v_xor_b32_e32 v3, v3, v10
	v_sub_co_u32_e32 v2, vcc, v2, v10
	v_subb_co_u32_e32 v3, vcc, v3, v10, vcc
	v_cmp_lt_i64_e32 vcc, -1, v[2:3]
	v_mov_b32_e32 v7, 0
	s_and_saveexec_b64 s[10:11], vcc
	s_cbranch_execz .LBB54_363
; %bb.352:
	v_cmp_lt_i64_e32 vcc, 0, v[2:3]
	v_mov_b32_e32 v7, 1.0
	s_and_saveexec_b64 s[14:15], vcc
	s_cbranch_execz .LBB54_362
; %bb.353:
	v_and_b32_e32 v4, 0xffff0000, v4
	v_cmp_ne_u64_e32 vcc, 1, v[2:3]
                                        ; implicit-def: $vgpr7
	s_and_saveexec_b64 s[20:21], vcc
	s_xor_b64 s[20:21], exec, s[20:21]
	s_cbranch_execz .LBB54_359
; %bb.354:
	s_mov_b64 s[22:23], 0x81
	v_cmp_gt_u64_e32 vcc, s[22:23], v[2:3]
	v_mov_b32_e32 v7, 0x7fc00000
	s_and_saveexec_b64 s[22:23], vcc
	s_cbranch_execz .LBB54_358
; %bb.355:
	s_mov_b64 s[26:27], 1
	s_mov_b64 s[24:25], 0
	v_mov_b32_e32 v10, 1.0
	v_mov_b32_e32 v7, v4
.LBB54_356:                             ; =>This Inner Loop Header: Depth=1
	s_flbit_i32_b32 s28, s27
	s_min_u32 s30, s28, 32
	s_lshl_b64 s[28:29], s[26:27], s30
	s_min_u32 s28, s28, 1
	s_or_b32 s28, s29, s28
	v_cvt_f32_u32_e32 v11, s28
	s_sub_i32 s30, 32, s30
	s_add_u32 s26, s26, 1
	s_addc_u32 s27, s27, 0
	v_ldexp_f32 v11, v11, s30
	v_cmp_eq_u64_e32 vcc, s[26:27], v[2:3]
	v_mul_f32_e32 v11, v10, v11
	s_or_b64 s[24:25], vcc, s[24:25]
	v_mov_b32_e32 v10, v7
	v_fma_f32 v7, v7, v4, -v11
	s_andn2_b64 exec, exec, s[24:25]
	s_cbranch_execnz .LBB54_356
; %bb.357:
	s_or_b64 exec, exec, s[24:25]
.LBB54_358:
	s_or_b64 exec, exec, s[22:23]
                                        ; implicit-def: $vgpr4
.LBB54_359:
	s_andn2_saveexec_b64 s[20:21], s[20:21]
; %bb.360:
	v_mov_b32_e32 v7, v4
; %bb.361:
	s_or_b64 exec, exec, s[20:21]
.LBB54_362:
	s_or_b64 exec, exec, s[14:15]
.LBB54_363:
	s_or_b64 exec, exec, s[10:11]
	v_bfe_u32 v2, v8, 16, 1
	s_movk_i32 s10, 0x7fff
	v_add3_u32 v2, v8, v2, s10
	v_and_b32_e32 v2, 0xffff0000, v2
	v_mov_b32_e32 v3, 0x7fc00000
	v_cmp_o_f32_e32 vcc, v8, v8
	v_cndmask_b32_e32 v2, v3, v2, vcc
	v_trunc_f32_e32 v2, v2
	s_mov_b32 s10, 0x2f800000
	v_mul_f32_e64 v3, |v2|, s10
	v_floor_f32_e32 v3, v3
	s_mov_b32 s10, 0xcf800000
	v_fma_f32 v4, v3, s10, |v2|
	v_cvt_u32_f32_e32 v4, v4
	v_cvt_u32_f32_e32 v3, v3
	v_ashrrev_i32_e32 v8, 31, v2
	v_xor_b32_e32 v2, v4, v8
	v_xor_b32_e32 v3, v3, v8
	v_sub_co_u32_e32 v2, vcc, v2, v8
	v_subb_co_u32_e32 v3, vcc, v3, v8, vcc
	v_cmp_lt_i64_e32 vcc, -1, v[2:3]
	v_mov_b32_e32 v4, 0
	s_and_saveexec_b64 s[10:11], vcc
	s_cbranch_execz .LBB54_375
; %bb.364:
	v_cmp_lt_i64_e32 vcc, 0, v[2:3]
	v_mov_b32_e32 v4, 1.0
	s_and_saveexec_b64 s[14:15], vcc
	s_cbranch_execz .LBB54_374
; %bb.365:
	v_lshlrev_b32_e32 v8, 16, v5
	v_cmp_ne_u64_e32 vcc, 1, v[2:3]
                                        ; implicit-def: $vgpr4
	s_and_saveexec_b64 s[20:21], vcc
	s_xor_b64 s[20:21], exec, s[20:21]
	s_cbranch_execz .LBB54_371
; %bb.366:
	s_mov_b64 s[22:23], 0x81
	v_cmp_gt_u64_e32 vcc, s[22:23], v[2:3]
	v_mov_b32_e32 v4, 0x7fc00000
	s_and_saveexec_b64 s[22:23], vcc
	s_cbranch_execz .LBB54_370
; %bb.367:
	s_mov_b64 s[26:27], 1
	s_mov_b64 s[24:25], 0
	v_mov_b32_e32 v10, 1.0
	v_mov_b32_e32 v4, v8
.LBB54_368:                             ; =>This Inner Loop Header: Depth=1
	s_flbit_i32_b32 s28, s27
	s_min_u32 s30, s28, 32
	s_lshl_b64 s[28:29], s[26:27], s30
	s_min_u32 s28, s28, 1
	s_or_b32 s28, s29, s28
	v_cvt_f32_u32_e32 v11, s28
	s_sub_i32 s30, 32, s30
	s_add_u32 s26, s26, 1
	s_addc_u32 s27, s27, 0
	v_ldexp_f32 v11, v11, s30
	v_cmp_eq_u64_e32 vcc, s[26:27], v[2:3]
	v_mul_f32_e32 v11, v10, v11
	s_or_b64 s[24:25], vcc, s[24:25]
	v_mov_b32_e32 v10, v4
	v_fma_f32 v4, v4, v8, -v11
	s_andn2_b64 exec, exec, s[24:25]
	s_cbranch_execnz .LBB54_368
; %bb.369:
	s_or_b64 exec, exec, s[24:25]
.LBB54_370:
	s_or_b64 exec, exec, s[22:23]
                                        ; implicit-def: $vgpr8
.LBB54_371:
	s_andn2_saveexec_b64 s[20:21], s[20:21]
; %bb.372:
	v_mov_b32_e32 v4, v8
; %bb.373:
	s_or_b64 exec, exec, s[20:21]
.LBB54_374:
	s_or_b64 exec, exec, s[14:15]
.LBB54_375:
	s_or_b64 exec, exec, s[10:11]
	v_bfe_u32 v2, v9, 16, 1
	s_movk_i32 s10, 0x7fff
	v_add3_u32 v2, v9, v2, s10
	v_and_b32_e32 v2, 0xffff0000, v2
	v_mov_b32_e32 v3, 0x7fc00000
	v_cmp_o_f32_e32 vcc, v9, v9
	v_cndmask_b32_e32 v2, v3, v2, vcc
	v_trunc_f32_e32 v2, v2
	s_mov_b32 s10, 0x2f800000
	v_mul_f32_e64 v3, |v2|, s10
	v_floor_f32_e32 v3, v3
	s_mov_b32 s10, 0xcf800000
	v_fma_f32 v8, v3, s10, |v2|
	v_cvt_u32_f32_e32 v8, v8
	v_cvt_u32_f32_e32 v3, v3
	v_ashrrev_i32_e32 v9, 31, v2
	v_xor_b32_e32 v2, v8, v9
	v_xor_b32_e32 v3, v3, v9
	v_sub_co_u32_e32 v2, vcc, v2, v9
	v_subb_co_u32_e32 v3, vcc, v3, v9, vcc
	v_cmp_lt_i64_e32 vcc, -1, v[2:3]
	v_mov_b32_e32 v8, 0
	s_and_saveexec_b64 s[10:11], vcc
	s_cbranch_execz .LBB54_387
; %bb.376:
	v_cmp_lt_i64_e32 vcc, 0, v[2:3]
	v_mov_b32_e32 v8, 1.0
	s_and_saveexec_b64 s[14:15], vcc
	s_cbranch_execz .LBB54_386
; %bb.377:
	v_and_b32_e32 v5, 0xffff0000, v5
	v_cmp_ne_u64_e32 vcc, 1, v[2:3]
                                        ; implicit-def: $vgpr8
	s_and_saveexec_b64 s[20:21], vcc
	s_xor_b64 s[20:21], exec, s[20:21]
	s_cbranch_execz .LBB54_383
; %bb.378:
	s_mov_b64 s[22:23], 0x81
	v_cmp_gt_u64_e32 vcc, s[22:23], v[2:3]
	v_mov_b32_e32 v8, 0x7fc00000
	s_and_saveexec_b64 s[22:23], vcc
	s_cbranch_execz .LBB54_382
; %bb.379:
	s_mov_b64 s[26:27], 1
	s_mov_b64 s[24:25], 0
	v_mov_b32_e32 v9, 1.0
	v_mov_b32_e32 v8, v5
.LBB54_380:                             ; =>This Inner Loop Header: Depth=1
	s_flbit_i32_b32 s28, s27
	s_min_u32 s30, s28, 32
	s_lshl_b64 s[28:29], s[26:27], s30
	s_min_u32 s28, s28, 1
	s_or_b32 s28, s29, s28
	v_cvt_f32_u32_e32 v10, s28
	s_sub_i32 s30, 32, s30
	s_add_u32 s26, s26, 1
	s_addc_u32 s27, s27, 0
	v_ldexp_f32 v10, v10, s30
	v_cmp_eq_u64_e32 vcc, s[26:27], v[2:3]
	v_mul_f32_e32 v10, v9, v10
	s_or_b64 s[24:25], vcc, s[24:25]
	v_mov_b32_e32 v9, v8
	v_fma_f32 v8, v8, v5, -v10
	s_andn2_b64 exec, exec, s[24:25]
	s_cbranch_execnz .LBB54_380
; %bb.381:
	s_or_b64 exec, exec, s[24:25]
.LBB54_382:
	s_or_b64 exec, exec, s[22:23]
                                        ; implicit-def: $vgpr5
.LBB54_383:
	s_andn2_saveexec_b64 s[20:21], s[20:21]
; %bb.384:
	v_mov_b32_e32 v8, v5
; %bb.385:
	s_or_b64 exec, exec, s[20:21]
.LBB54_386:
	s_or_b64 exec, exec, s[14:15]
.LBB54_387:
	s_or_b64 exec, exec, s[10:11]
	s_add_u32 s8, s16, s8
	s_addc_u32 s9, s17, s9
	v_mov_b32_e32 v2, s9
	v_add_co_u32_e32 v9, vcc, s8, v52
	v_addc_co_u32_e32 v10, vcc, 0, v2, vcc
	v_bfe_u32 v2, v53, 16, 1
	s_movk_i32 s10, 0x7fff
	v_bfe_u32 v3, v50, 16, 1
	v_add3_u32 v2, v53, v2, s10
	v_bfe_u32 v5, v48, 16, 1
	v_add3_u32 v3, v50, v3, s10
	v_lshrrev_b32_e32 v2, 16, v2
	v_mov_b32_e32 v15, 0x7fc0
	v_cmp_o_f32_e32 vcc, v53, v53
	v_bfe_u32 v11, v49, 16, 1
	v_add3_u32 v5, v48, v5, s10
	v_lshrrev_b32_e32 v3, 16, v3
	v_cndmask_b32_e32 v2, v15, v2, vcc
	v_cmp_o_f32_e32 vcc, v50, v50
	v_add3_u32 v11, v49, v11, s10
	v_lshrrev_b32_e32 v5, 16, v5
	v_cndmask_b32_e32 v3, v15, v3, vcc
	v_cmp_o_f32_e32 vcc, v48, v48
	v_bfe_u32 v21, v42, 16, 1
	v_lshrrev_b32_e32 v11, 16, v11
	v_cndmask_b32_e32 v5, v15, v5, vcc
	v_cmp_o_f32_e32 vcc, v49, v49
	v_bfe_u32 v22, v43, 16, 1
	v_add3_u32 v21, v42, v21, s10
	v_cndmask_b32_e32 v11, v15, v11, vcc
	v_bfe_u32 v23, v40, 16, 1
	v_add3_u32 v22, v43, v22, s10
	v_lshrrev_b32_e32 v21, 16, v21
	v_cmp_o_f32_e32 vcc, v42, v42
	v_bfe_u32 v27, v44, 16, 1
	v_add3_u32 v23, v40, v23, s10
	v_lshrrev_b32_e32 v22, 16, v22
	v_cndmask_b32_e32 v21, v15, v21, vcc
	v_cmp_o_f32_e32 vcc, v43, v43
	s_mov_b32 s11, 0x5040100
	v_add3_u32 v27, v44, v27, s10
	v_lshrrev_b32_e32 v23, 16, v23
	v_cndmask_b32_e32 v22, v15, v22, vcc
	v_cmp_o_f32_e32 vcc, v40, v40
	v_perm_b32 v42, v3, v2, s11
	v_bfe_u32 v2, v41, 16, 1
	v_lshrrev_b32_e32 v27, 16, v27
	v_cndmask_b32_e32 v23, v15, v23, vcc
	v_cmp_o_f32_e32 vcc, v44, v44
	v_bfe_u32 v3, v38, 16, 1
	v_add3_u32 v2, v41, v2, s10
	v_cndmask_b32_e32 v27, v15, v27, vcc
	v_perm_b32 v43, v11, v5, s11
	v_bfe_u32 v5, v36, 16, 1
	v_add3_u32 v3, v38, v3, s10
	v_lshrrev_b32_e32 v2, 16, v2
	v_cmp_o_f32_e32 vcc, v41, v41
	v_bfe_u32 v11, v37, 16, 1
	v_add3_u32 v5, v36, v5, s10
	v_lshrrev_b32_e32 v3, 16, v3
	v_cndmask_b32_e32 v2, v15, v2, vcc
	v_cmp_o_f32_e32 vcc, v38, v38
	v_perm_b32 v44, v22, v21, s11
	v_add3_u32 v11, v37, v11, s10
	v_lshrrev_b32_e32 v5, 16, v5
	v_cndmask_b32_e32 v3, v15, v3, vcc
	v_cmp_o_f32_e32 vcc, v36, v36
	v_bfe_u32 v21, v30, 16, 1
	v_lshrrev_b32_e32 v11, 16, v11
	v_cndmask_b32_e32 v5, v15, v5, vcc
	v_cmp_o_f32_e32 vcc, v37, v37
	v_bfe_u32 v22, v31, 16, 1
	v_add3_u32 v21, v30, v21, s10
	v_perm_b32 v45, v27, v23, s11
	v_cndmask_b32_e32 v11, v15, v11, vcc
	v_bfe_u32 v23, v28, 16, 1
	v_add3_u32 v22, v31, v22, s10
	v_lshrrev_b32_e32 v21, 16, v21
	v_cmp_o_f32_e32 vcc, v30, v30
	v_bfe_u32 v27, v32, 16, 1
	v_add3_u32 v23, v28, v23, s10
	v_lshrrev_b32_e32 v22, 16, v22
	v_cndmask_b32_e32 v21, v15, v21, vcc
	v_cmp_o_f32_e32 vcc, v31, v31
	v_add3_u32 v27, v32, v27, s10
	v_lshrrev_b32_e32 v23, 16, v23
	v_cndmask_b32_e32 v22, v15, v22, vcc
	v_cmp_o_f32_e32 vcc, v28, v28
	v_lshrrev_b32_e32 v27, 16, v27
	v_cndmask_b32_e32 v23, v15, v23, vcc
	v_cmp_o_f32_e32 vcc, v32, v32
	s_movk_i32 s14, 0x2000
	v_cndmask_b32_e32 v27, v15, v27, vcc
	v_perm_b32 v30, v3, v2, s11
	v_add_co_u32_e32 v2, vcc, s14, v9
	v_perm_b32 v33, v27, v23, s11
	v_perm_b32 v32, v22, v21, s11
	;; [unrolled: 1-line block ×3, first 2 shown]
	v_addc_co_u32_e32 v3, vcc, 0, v10, vcc
	global_store_dwordx4 v[2:3], v[30:33], off
	v_bfe_u32 v2, v29, 16, 1
	v_bfe_u32 v3, v26, 16, 1
	v_add3_u32 v2, v29, v2, s10
	v_bfe_u32 v5, v24, 16, 1
	v_add3_u32 v3, v26, v3, s10
	v_lshrrev_b32_e32 v2, 16, v2
	v_cmp_o_f32_e32 vcc, v29, v29
	v_bfe_u32 v11, v25, 16, 1
	v_add3_u32 v5, v24, v5, s10
	v_lshrrev_b32_e32 v3, 16, v3
	v_cndmask_b32_e32 v2, v15, v2, vcc
	v_cmp_o_f32_e32 vcc, v26, v26
	v_add3_u32 v11, v25, v11, s10
	v_lshrrev_b32_e32 v5, 16, v5
	v_cndmask_b32_e32 v3, v15, v3, vcc
	v_cmp_o_f32_e32 vcc, v24, v24
	v_bfe_u32 v21, v18, 16, 1
	v_lshrrev_b32_e32 v11, 16, v11
	v_cndmask_b32_e32 v5, v15, v5, vcc
	v_cmp_o_f32_e32 vcc, v25, v25
	v_bfe_u32 v22, v19, 16, 1
	v_add3_u32 v21, v18, v21, s10
	v_cndmask_b32_e32 v11, v15, v11, vcc
	v_bfe_u32 v23, v16, 16, 1
	v_add3_u32 v22, v19, v22, s10
	v_lshrrev_b32_e32 v21, 16, v21
	v_cmp_o_f32_e32 vcc, v18, v18
	v_bfe_u32 v24, v20, 16, 1
	v_add3_u32 v23, v16, v23, s10
	v_lshrrev_b32_e32 v22, 16, v22
	v_cndmask_b32_e32 v18, v15, v21, vcc
	v_cmp_o_f32_e32 vcc, v19, v19
	v_add3_u32 v24, v20, v24, s10
	v_lshrrev_b32_e32 v23, 16, v23
	v_cndmask_b32_e32 v19, v15, v22, vcc
	v_cmp_o_f32_e32 vcc, v16, v16
	v_lshrrev_b32_e32 v24, 16, v24
	v_cndmask_b32_e32 v16, v15, v23, vcc
	v_cmp_o_f32_e32 vcc, v20, v20
	v_cndmask_b32_e32 v20, v15, v24, vcc
	v_perm_b32 v21, v20, v16, s11
	v_perm_b32 v20, v19, v18, s11
	;; [unrolled: 1-line block ×4, first 2 shown]
	global_store_dwordx4 v1, v[18:21], s[8:9]
	v_bfe_u32 v1, v17, 16, 1
	v_bfe_u32 v2, v14, 16, 1
	v_add3_u32 v1, v17, v1, s10
	v_bfe_u32 v3, v12, 16, 1
	v_add3_u32 v2, v14, v2, s10
	v_lshrrev_b32_e32 v1, 16, v1
	v_cmp_o_f32_e32 vcc, v17, v17
	v_bfe_u32 v5, v13, 16, 1
	v_add3_u32 v3, v12, v3, s10
	v_lshrrev_b32_e32 v2, 16, v2
	v_cndmask_b32_e32 v1, v15, v1, vcc
	v_cmp_o_f32_e32 vcc, v14, v14
	v_add3_u32 v5, v13, v5, s10
	v_lshrrev_b32_e32 v3, 16, v3
	v_cndmask_b32_e32 v2, v15, v2, vcc
	v_cmp_o_f32_e32 vcc, v12, v12
	v_lshrrev_b32_e32 v5, 16, v5
	v_cndmask_b32_e32 v3, v15, v3, vcc
	v_cmp_o_f32_e32 vcc, v13, v13
	v_cndmask_b32_e32 v11, v15, v5, vcc
	v_bfe_u32 v5, v6, 16, 1
	v_bfe_u32 v12, v7, 16, 1
	v_add3_u32 v5, v6, v5, s10
	v_bfe_u32 v13, v4, 16, 1
	v_add3_u32 v12, v7, v12, s10
	v_lshrrev_b32_e32 v5, 16, v5
	v_cmp_o_f32_e32 vcc, v6, v6
	v_bfe_u32 v14, v8, 16, 1
	v_add3_u32 v13, v4, v13, s10
	v_lshrrev_b32_e32 v12, 16, v12
	v_cndmask_b32_e32 v6, v15, v5, vcc
	v_cmp_o_f32_e32 vcc, v7, v7
	v_add3_u32 v14, v8, v14, s10
	v_lshrrev_b32_e32 v13, 16, v13
	v_cndmask_b32_e32 v7, v15, v12, vcc
	v_cmp_o_f32_e32 vcc, v4, v4
	v_lshrrev_b32_e32 v14, 16, v14
	v_cndmask_b32_e32 v4, v15, v13, vcc
	v_cmp_o_f32_e32 vcc, v8, v8
	v_cndmask_b32_e32 v5, v15, v14, vcc
	v_perm_b32 v5, v5, v4, s11
	v_perm_b32 v4, v7, v6, s11
	v_add_co_u32_e32 v6, vcc, 0x6000, v9
	global_store_dwordx4 v52, v[42:45], s[8:9]
	v_perm_b32 v3, v11, v3, s11
	v_perm_b32 v2, v2, v1, s11
	v_addc_co_u32_e32 v7, vcc, 0, v10, vcc
	global_store_dwordx4 v[6:7], v[2:5], off
	s_branch .LBB54_2
.LBB54_388:
	s_load_dword s10, s[4:5], 0x24
	s_load_dwordx4 s[20:23], s[4:5], 0x28
	s_add_u32 s8, s4, 56
	s_addc_u32 s9, s5, 0
	v_mov_b32_e32 v31, v0
	s_waitcnt lgkmcnt(0)
	v_lshrrev_b16_e64 v8, 8, s10
	v_mov_b32_e32 v0, s16
	v_mov_b32_e32 v1, s17
	;; [unrolled: 1-line block ×12, first 2 shown]
	s_getpc_b64 s[4:5]
	s_add_u32 s4, s4, _ZN2at6native25elementwise_kernel_helperILb1ENS0_13BinaryFunctorIfffZZZNS0_12_GLOBAL__N_133hermite_polynomial_he_kernel_cudaERNS_18TensorIteratorBaseEENKUlvE_clEvENKUlvE0_clEvEUlffE_EENS0_6memory8policies11unroll_baseILi512ESt5arrayIPcLm3EE23TrivialOffsetCalculatorILi2EjESG_ILi1EjENSA_12LoadWithCastILi2EEENSA_13StoreWithCastILi1EEELi32ELi1EEEEEvT0_T1_@rel32@lo+4
	s_addc_u32 s5, s5, _ZN2at6native25elementwise_kernel_helperILb1ENS0_13BinaryFunctorIfffZZZNS0_12_GLOBAL__N_133hermite_polynomial_he_kernel_cudaERNS_18TensorIteratorBaseEENKUlvE_clEvENKUlvE0_clEvEUlffE_EENS0_6memory8policies11unroll_baseILi512ESt5arrayIPcLm3EE23TrivialOffsetCalculatorILi2EjESG_ILi1EjENSA_12LoadWithCastILi2EEENSA_13StoreWithCastILi1EEELi32ELi1EEEEEvT0_T1_@rel32@hi+12
	s_swappc_b64 s[30:31], s[4:5]
	s_endpgm
	.section	.rodata,"a",@progbits
	.p2align	6, 0x0
	.amdhsa_kernel _ZN2at6native39vectorized_templated_elementwise_kernelILi8ENS0_13BinaryFunctorIfffZZZNS0_12_GLOBAL__N_133hermite_polynomial_he_kernel_cudaERNS_18TensorIteratorBaseEENKUlvE_clEvENKUlvE0_clEvEUlffE_EESt5arrayIPcLm3EE23TrivialOffsetCalculatorILi2EjESD_ILi1EjENS0_6memory12LoadWithCastILi2EEENSG_13StoreWithCastILi1EEEN3c108BFloat16EJSM_fEEEviT0_T1_T2_T3_T4_T5_
		.amdhsa_group_segment_fixed_size 0
		.amdhsa_private_segment_fixed_size 288
		.amdhsa_kernarg_size 312
		.amdhsa_user_sgpr_count 8
		.amdhsa_user_sgpr_private_segment_buffer 1
		.amdhsa_user_sgpr_dispatch_ptr 0
		.amdhsa_user_sgpr_queue_ptr 0
		.amdhsa_user_sgpr_kernarg_segment_ptr 1
		.amdhsa_user_sgpr_dispatch_id 0
		.amdhsa_user_sgpr_flat_scratch_init 1
		.amdhsa_user_sgpr_kernarg_preload_length 0
		.amdhsa_user_sgpr_kernarg_preload_offset 0
		.amdhsa_user_sgpr_private_segment_size 0
		.amdhsa_uses_dynamic_stack 0
		.amdhsa_system_sgpr_private_segment_wavefront_offset 1
		.amdhsa_system_sgpr_workgroup_id_x 1
		.amdhsa_system_sgpr_workgroup_id_y 0
		.amdhsa_system_sgpr_workgroup_id_z 0
		.amdhsa_system_sgpr_workgroup_info 0
		.amdhsa_system_vgpr_workitem_id 0
		.amdhsa_next_free_vgpr 120
		.amdhsa_next_free_sgpr 98
		.amdhsa_accum_offset 120
		.amdhsa_reserve_vcc 1
		.amdhsa_reserve_flat_scratch 1
		.amdhsa_float_round_mode_32 0
		.amdhsa_float_round_mode_16_64 0
		.amdhsa_float_denorm_mode_32 3
		.amdhsa_float_denorm_mode_16_64 3
		.amdhsa_dx10_clamp 1
		.amdhsa_ieee_mode 1
		.amdhsa_fp16_overflow 0
		.amdhsa_tg_split 0
		.amdhsa_exception_fp_ieee_invalid_op 0
		.amdhsa_exception_fp_denorm_src 0
		.amdhsa_exception_fp_ieee_div_zero 0
		.amdhsa_exception_fp_ieee_overflow 0
		.amdhsa_exception_fp_ieee_underflow 0
		.amdhsa_exception_fp_ieee_inexact 0
		.amdhsa_exception_int_div_zero 0
	.end_amdhsa_kernel
	.section	.text._ZN2at6native39vectorized_templated_elementwise_kernelILi8ENS0_13BinaryFunctorIfffZZZNS0_12_GLOBAL__N_133hermite_polynomial_he_kernel_cudaERNS_18TensorIteratorBaseEENKUlvE_clEvENKUlvE0_clEvEUlffE_EESt5arrayIPcLm3EE23TrivialOffsetCalculatorILi2EjESD_ILi1EjENS0_6memory12LoadWithCastILi2EEENSG_13StoreWithCastILi1EEEN3c108BFloat16EJSM_fEEEviT0_T1_T2_T3_T4_T5_,"axG",@progbits,_ZN2at6native39vectorized_templated_elementwise_kernelILi8ENS0_13BinaryFunctorIfffZZZNS0_12_GLOBAL__N_133hermite_polynomial_he_kernel_cudaERNS_18TensorIteratorBaseEENKUlvE_clEvENKUlvE0_clEvEUlffE_EESt5arrayIPcLm3EE23TrivialOffsetCalculatorILi2EjESD_ILi1EjENS0_6memory12LoadWithCastILi2EEENSG_13StoreWithCastILi1EEEN3c108BFloat16EJSM_fEEEviT0_T1_T2_T3_T4_T5_,comdat
.Lfunc_end54:
	.size	_ZN2at6native39vectorized_templated_elementwise_kernelILi8ENS0_13BinaryFunctorIfffZZZNS0_12_GLOBAL__N_133hermite_polynomial_he_kernel_cudaERNS_18TensorIteratorBaseEENKUlvE_clEvENKUlvE0_clEvEUlffE_EESt5arrayIPcLm3EE23TrivialOffsetCalculatorILi2EjESD_ILi1EjENS0_6memory12LoadWithCastILi2EEENSG_13StoreWithCastILi1EEEN3c108BFloat16EJSM_fEEEviT0_T1_T2_T3_T4_T5_, .Lfunc_end54-_ZN2at6native39vectorized_templated_elementwise_kernelILi8ENS0_13BinaryFunctorIfffZZZNS0_12_GLOBAL__N_133hermite_polynomial_he_kernel_cudaERNS_18TensorIteratorBaseEENKUlvE_clEvENKUlvE0_clEvEUlffE_EESt5arrayIPcLm3EE23TrivialOffsetCalculatorILi2EjESD_ILi1EjENS0_6memory12LoadWithCastILi2EEENSG_13StoreWithCastILi1EEEN3c108BFloat16EJSM_fEEEviT0_T1_T2_T3_T4_T5_
                                        ; -- End function
	.section	.AMDGPU.csdata,"",@progbits
; Kernel info:
; codeLenInByte = 11636
; NumSgprs: 104
; NumVgprs: 120
; NumAgprs: 0
; TotalNumVgprs: 120
; ScratchSize: 288
; MemoryBound: 0
; FloatMode: 240
; IeeeMode: 1
; LDSByteSize: 0 bytes/workgroup (compile time only)
; SGPRBlocks: 12
; VGPRBlocks: 14
; NumSGPRsForWavesPerEU: 104
; NumVGPRsForWavesPerEU: 120
; AccumOffset: 120
; Occupancy: 4
; WaveLimiterHint : 0
; COMPUTE_PGM_RSRC2:SCRATCH_EN: 1
; COMPUTE_PGM_RSRC2:USER_SGPR: 8
; COMPUTE_PGM_RSRC2:TRAP_HANDLER: 0
; COMPUTE_PGM_RSRC2:TGID_X_EN: 1
; COMPUTE_PGM_RSRC2:TGID_Y_EN: 0
; COMPUTE_PGM_RSRC2:TGID_Z_EN: 0
; COMPUTE_PGM_RSRC2:TIDIG_COMP_CNT: 0
; COMPUTE_PGM_RSRC3_GFX90A:ACCUM_OFFSET: 29
; COMPUTE_PGM_RSRC3_GFX90A:TG_SPLIT: 0
	.section	.text._ZN2at6native39vectorized_templated_elementwise_kernelILi4ENS0_13BinaryFunctorIfffZZZNS0_12_GLOBAL__N_133hermite_polynomial_he_kernel_cudaERNS_18TensorIteratorBaseEENKUlvE_clEvENKUlvE0_clEvEUlffE_EESt5arrayIPcLm3EE23TrivialOffsetCalculatorILi2EjESD_ILi1EjENS0_6memory12LoadWithCastILi2EEENSG_13StoreWithCastILi1EEEN3c108BFloat16EJSM_fEEEviT0_T1_T2_T3_T4_T5_,"axG",@progbits,_ZN2at6native39vectorized_templated_elementwise_kernelILi4ENS0_13BinaryFunctorIfffZZZNS0_12_GLOBAL__N_133hermite_polynomial_he_kernel_cudaERNS_18TensorIteratorBaseEENKUlvE_clEvENKUlvE0_clEvEUlffE_EESt5arrayIPcLm3EE23TrivialOffsetCalculatorILi2EjESD_ILi1EjENS0_6memory12LoadWithCastILi2EEENSG_13StoreWithCastILi1EEEN3c108BFloat16EJSM_fEEEviT0_T1_T2_T3_T4_T5_,comdat
	.globl	_ZN2at6native39vectorized_templated_elementwise_kernelILi4ENS0_13BinaryFunctorIfffZZZNS0_12_GLOBAL__N_133hermite_polynomial_he_kernel_cudaERNS_18TensorIteratorBaseEENKUlvE_clEvENKUlvE0_clEvEUlffE_EESt5arrayIPcLm3EE23TrivialOffsetCalculatorILi2EjESD_ILi1EjENS0_6memory12LoadWithCastILi2EEENSG_13StoreWithCastILi1EEEN3c108BFloat16EJSM_fEEEviT0_T1_T2_T3_T4_T5_ ; -- Begin function _ZN2at6native39vectorized_templated_elementwise_kernelILi4ENS0_13BinaryFunctorIfffZZZNS0_12_GLOBAL__N_133hermite_polynomial_he_kernel_cudaERNS_18TensorIteratorBaseEENKUlvE_clEvENKUlvE0_clEvEUlffE_EESt5arrayIPcLm3EE23TrivialOffsetCalculatorILi2EjESD_ILi1EjENS0_6memory12LoadWithCastILi2EEENSG_13StoreWithCastILi1EEEN3c108BFloat16EJSM_fEEEviT0_T1_T2_T3_T4_T5_
	.p2align	8
	.type	_ZN2at6native39vectorized_templated_elementwise_kernelILi4ENS0_13BinaryFunctorIfffZZZNS0_12_GLOBAL__N_133hermite_polynomial_he_kernel_cudaERNS_18TensorIteratorBaseEENKUlvE_clEvENKUlvE0_clEvEUlffE_EESt5arrayIPcLm3EE23TrivialOffsetCalculatorILi2EjESD_ILi1EjENS0_6memory12LoadWithCastILi2EEENSG_13StoreWithCastILi1EEEN3c108BFloat16EJSM_fEEEviT0_T1_T2_T3_T4_T5_,@function
_ZN2at6native39vectorized_templated_elementwise_kernelILi4ENS0_13BinaryFunctorIfffZZZNS0_12_GLOBAL__N_133hermite_polynomial_he_kernel_cudaERNS_18TensorIteratorBaseEENKUlvE_clEvENKUlvE0_clEvEUlffE_EESt5arrayIPcLm3EE23TrivialOffsetCalculatorILi2EjESD_ILi1EjENS0_6memory12LoadWithCastILi2EEENSG_13StoreWithCastILi1EEEN3c108BFloat16EJSM_fEEEviT0_T1_T2_T3_T4_T5_: ; @_ZN2at6native39vectorized_templated_elementwise_kernelILi4ENS0_13BinaryFunctorIfffZZZNS0_12_GLOBAL__N_133hermite_polynomial_he_kernel_cudaERNS_18TensorIteratorBaseEENKUlvE_clEvENKUlvE0_clEvEUlffE_EESt5arrayIPcLm3EE23TrivialOffsetCalculatorILi2EjESD_ILi1EjENS0_6memory12LoadWithCastILi2EEENSG_13StoreWithCastILi1EEEN3c108BFloat16EJSM_fEEEviT0_T1_T2_T3_T4_T5_
; %bb.0:
	s_add_u32 flat_scratch_lo, s6, s9
	s_addc_u32 flat_scratch_hi, s7, 0
	s_add_u32 s0, s0, s9
	s_mov_b32 s12, s8
	s_load_dword s8, s[4:5], 0x38
	s_load_dwordx2 s[6:7], s[4:5], 0x18
	s_load_dword s9, s[4:5], 0x0
	s_load_dwordx4 s[16:19], s[4:5], 0x8
	s_addc_u32 s1, s1, 0
	s_not_b32 s10, s12
	s_waitcnt lgkmcnt(0)
	s_add_i32 s8, s8, s10
	s_lshl_b32 s14, s8, 14
	s_sub_i32 s13, s9, s14
	s_cmpk_gt_i32 s13, 0x3fff
	s_mov_b64 s[8:9], -1
	s_mov_b32 s32, 0
	s_cbranch_scc1 .LBB55_3
; %bb.1:
	s_and_b64 vcc, exec, s[8:9]
	s_cbranch_vccnz .LBB55_388
.LBB55_2:
	s_endpgm
.LBB55_3:
	s_ashr_i32 s15, s14, 31
	s_lshl_b64 s[8:9], s[14:15], 1
	s_add_u32 s10, s18, s8
	s_addc_u32 s11, s19, s9
	v_lshlrev_b32_e32 v54, 3, v0
	v_mov_b32_e32 v1, s11
	v_add_co_u32_e32 v6, vcc, s10, v54
	v_addc_co_u32_e32 v7, vcc, 0, v1, vcc
	v_add_co_u32_e32 v2, vcc, 0x1000, v6
	v_addc_co_u32_e32 v3, vcc, 0, v7, vcc
	v_add_co_u32_e32 v4, vcc, 0x3000, v6
	v_addc_co_u32_e32 v5, vcc, 0, v7, vcc
	v_add_co_u32_e32 v50, vcc, 0x5000, v6
	v_addc_co_u32_e32 v51, vcc, 0, v7, vcc
	s_lshl_b64 s[14:15], s[14:15], 2
	v_add_co_u32_e32 v56, vcc, 0x7000, v6
	s_add_u32 s14, s6, s14
	v_or_b32_e32 v8, 0x400, v0
	v_addc_co_u32_e32 v57, vcc, 0, v7, vcc
	s_addc_u32 s15, s7, s15
	v_lshlrev_b32_e32 v6, 4, v0
	v_lshlrev_b32_e32 v53, 3, v8
	global_load_dwordx2 v[48:49], v54, s[10:11]
	global_load_dwordx2 v[46:47], v[2:3], off
	global_load_dwordx2 v[44:45], v53, s[10:11]
	global_load_dwordx2 v[42:43], v[4:5], off
	v_mov_b32_e32 v2, s15
	v_add_co_u32_e32 v7, vcc, s14, v6
	v_addc_co_u32_e32 v9, vcc, 0, v2, vcc
	s_movk_i32 s20, 0x2000
	v_add_co_u32_e32 v2, vcc, s20, v7
	v_addc_co_u32_e32 v3, vcc, 0, v9, vcc
	global_load_dwordx4 v[30:33], v6, s[14:15]
	global_load_dwordx4 v[26:29], v[2:3], off
	s_movk_i32 s20, 0x6000
	v_add_co_u32_e32 v2, vcc, s20, v7
	v_lshlrev_b32_e32 v6, 4, v8
	v_addc_co_u32_e32 v3, vcc, 0, v9, vcc
	s_mov_b32 s20, 0xa000
	global_load_dwordx4 v[22:25], v6, s[14:15]
	global_load_dwordx4 v[18:21], v[2:3], off
	v_add_co_u32_e32 v2, vcc, s20, v7
	v_or_b32_e32 v4, 0x800, v0
	v_or_b32_e32 v5, 0xc00, v0
	v_addc_co_u32_e32 v3, vcc, 0, v9, vcc
	s_mov_b32 s20, 0xe000
	v_lshlrev_b32_e32 v52, 3, v4
	v_lshlrev_b32_e32 v4, 4, v4
	;; [unrolled: 1-line block ×3, first 2 shown]
	v_add_co_u32_e32 v58, vcc, s20, v7
	v_lshlrev_b32_e32 v1, 3, v5
	global_load_dwordx4 v[14:17], v4, s[14:15]
	global_load_dwordx4 v[10:13], v[2:3], off
	v_addc_co_u32_e32 v59, vcc, 0, v9, vcc
	global_load_dwordx4 v[6:9], v55, s[14:15]
	global_load_dwordx4 v[2:5], v[58:59], off
	global_load_dwordx2 v[40:41], v52, s[10:11]
	global_load_dwordx2 v[38:39], v[50:51], off
	global_load_dwordx2 v[36:37], v1, s[10:11]
	global_load_dwordx2 v[34:35], v[56:57], off
	s_movk_i32 s10, 0x7fff
	v_mov_b32_e32 v50, 0x7fc00000
	s_waitcnt vmcnt(11)
	v_bfe_u32 v51, v30, 16, 1
	v_add3_u32 v51, v30, v51, s10
	v_and_b32_e32 v51, 0xffff0000, v51
	v_cmp_o_f32_e32 vcc, v30, v30
	v_cndmask_b32_e32 v30, v50, v51, vcc
	v_trunc_f32_e32 v30, v30
	s_mov_b32 s10, 0x2f800000
	v_mul_f32_e64 v50, |v30|, s10
	v_floor_f32_e32 v50, v50
	s_mov_b32 s10, 0xcf800000
	v_fma_f32 v51, v50, s10, |v30|
	v_cvt_u32_f32_e32 v50, v50
	v_cvt_u32_f32_e32 v51, v51
	v_ashrrev_i32_e32 v30, 31, v30
	v_xor_b32_e32 v55, v50, v30
	v_xor_b32_e32 v50, v51, v30
	v_sub_co_u32_e32 v50, vcc, v50, v30
	v_subb_co_u32_e32 v51, vcc, v55, v30, vcc
	v_cmp_lt_i64_e32 vcc, -1, v[50:51]
	v_mov_b32_e32 v55, 0
	s_and_saveexec_b64 s[10:11], vcc
	s_cbranch_execz .LBB55_15
; %bb.4:
	v_cmp_lt_i64_e32 vcc, 0, v[50:51]
	v_mov_b32_e32 v55, 1.0
	s_and_saveexec_b64 s[14:15], vcc
	s_cbranch_execz .LBB55_14
; %bb.5:
	v_lshlrev_b32_e32 v30, 16, v48
	v_cmp_ne_u64_e32 vcc, 1, v[50:51]
                                        ; implicit-def: $vgpr55
	s_and_saveexec_b64 s[20:21], vcc
	s_xor_b64 s[20:21], exec, s[20:21]
	s_cbranch_execz .LBB55_11
; %bb.6:
	s_mov_b64 s[22:23], 0x81
	v_cmp_gt_u64_e32 vcc, s[22:23], v[50:51]
	v_mov_b32_e32 v55, 0x7fc00000
	s_and_saveexec_b64 s[22:23], vcc
	s_cbranch_execz .LBB55_10
; %bb.7:
	s_mov_b64 s[26:27], 1
	s_mov_b64 s[24:25], 0
	v_mov_b32_e32 v56, 1.0
	v_mov_b32_e32 v55, v30
.LBB55_8:                               ; =>This Inner Loop Header: Depth=1
	s_flbit_i32_b32 s28, s27
	s_min_u32 s30, s28, 32
	s_lshl_b64 s[28:29], s[26:27], s30
	s_min_u32 s28, s28, 1
	s_or_b32 s28, s29, s28
	v_cvt_f32_u32_e32 v57, s28
	s_sub_i32 s30, 32, s30
	s_add_u32 s26, s26, 1
	s_addc_u32 s27, s27, 0
	v_ldexp_f32 v57, v57, s30
	v_cmp_eq_u64_e32 vcc, s[26:27], v[50:51]
	v_mul_f32_e32 v57, v56, v57
	s_or_b64 s[24:25], vcc, s[24:25]
	v_mov_b32_e32 v56, v55
	v_fma_f32 v55, v55, v30, -v57
	s_andn2_b64 exec, exec, s[24:25]
	s_cbranch_execnz .LBB55_8
; %bb.9:
	s_or_b64 exec, exec, s[24:25]
.LBB55_10:
	s_or_b64 exec, exec, s[22:23]
                                        ; implicit-def: $vgpr30
.LBB55_11:
	s_andn2_saveexec_b64 s[20:21], s[20:21]
; %bb.12:
	v_mov_b32_e32 v55, v30
; %bb.13:
	s_or_b64 exec, exec, s[20:21]
.LBB55_14:
	s_or_b64 exec, exec, s[14:15]
.LBB55_15:
	s_or_b64 exec, exec, s[10:11]
	v_bfe_u32 v30, v31, 16, 1
	s_movk_i32 s10, 0x7fff
	v_add3_u32 v30, v31, v30, s10
	v_and_b32_e32 v30, 0xffff0000, v30
	v_mov_b32_e32 v50, 0x7fc00000
	v_cmp_o_f32_e32 vcc, v31, v31
	v_cndmask_b32_e32 v30, v50, v30, vcc
	v_trunc_f32_e32 v30, v30
	s_mov_b32 s10, 0x2f800000
	v_mul_f32_e64 v31, |v30|, s10
	v_floor_f32_e32 v31, v31
	s_mov_b32 s10, 0xcf800000
	v_fma_f32 v50, v31, s10, |v30|
	v_cvt_u32_f32_e32 v50, v50
	v_cvt_u32_f32_e32 v31, v31
	v_ashrrev_i32_e32 v51, 31, v30
	v_xor_b32_e32 v30, v50, v51
	v_xor_b32_e32 v31, v31, v51
	v_sub_co_u32_e32 v30, vcc, v30, v51
	v_subb_co_u32_e32 v31, vcc, v31, v51, vcc
	v_cmp_lt_i64_e32 vcc, -1, v[30:31]
	v_mov_b32_e32 v50, 0
	s_and_saveexec_b64 s[10:11], vcc
	s_cbranch_execz .LBB55_27
; %bb.16:
	v_cmp_lt_i64_e32 vcc, 0, v[30:31]
	v_mov_b32_e32 v50, 1.0
	s_and_saveexec_b64 s[14:15], vcc
	s_cbranch_execz .LBB55_26
; %bb.17:
	v_and_b32_e32 v48, 0xffff0000, v48
	v_cmp_ne_u64_e32 vcc, 1, v[30:31]
                                        ; implicit-def: $vgpr50
	s_and_saveexec_b64 s[20:21], vcc
	s_xor_b64 s[20:21], exec, s[20:21]
	s_cbranch_execz .LBB55_23
; %bb.18:
	s_mov_b64 s[22:23], 0x81
	v_cmp_gt_u64_e32 vcc, s[22:23], v[30:31]
	v_mov_b32_e32 v50, 0x7fc00000
	s_and_saveexec_b64 s[22:23], vcc
	s_cbranch_execz .LBB55_22
; %bb.19:
	s_mov_b64 s[26:27], 1
	s_mov_b64 s[24:25], 0
	v_mov_b32_e32 v51, 1.0
	v_mov_b32_e32 v50, v48
.LBB55_20:                              ; =>This Inner Loop Header: Depth=1
	s_flbit_i32_b32 s28, s27
	s_min_u32 s30, s28, 32
	s_lshl_b64 s[28:29], s[26:27], s30
	s_min_u32 s28, s28, 1
	s_or_b32 s28, s29, s28
	v_cvt_f32_u32_e32 v56, s28
	s_sub_i32 s30, 32, s30
	s_add_u32 s26, s26, 1
	s_addc_u32 s27, s27, 0
	v_ldexp_f32 v56, v56, s30
	v_cmp_eq_u64_e32 vcc, s[26:27], v[30:31]
	v_mul_f32_e32 v56, v51, v56
	s_or_b64 s[24:25], vcc, s[24:25]
	v_mov_b32_e32 v51, v50
	v_fma_f32 v50, v50, v48, -v56
	s_andn2_b64 exec, exec, s[24:25]
	s_cbranch_execnz .LBB55_20
; %bb.21:
	s_or_b64 exec, exec, s[24:25]
.LBB55_22:
	s_or_b64 exec, exec, s[22:23]
                                        ; implicit-def: $vgpr48
.LBB55_23:
	s_andn2_saveexec_b64 s[20:21], s[20:21]
; %bb.24:
	v_mov_b32_e32 v50, v48
; %bb.25:
	s_or_b64 exec, exec, s[20:21]
.LBB55_26:
	s_or_b64 exec, exec, s[14:15]
.LBB55_27:
	s_or_b64 exec, exec, s[10:11]
	v_bfe_u32 v30, v32, 16, 1
	s_movk_i32 s10, 0x7fff
	v_add3_u32 v30, v32, v30, s10
	v_and_b32_e32 v30, 0xffff0000, v30
	v_mov_b32_e32 v31, 0x7fc00000
	v_cmp_o_f32_e32 vcc, v32, v32
	v_cndmask_b32_e32 v30, v31, v30, vcc
	v_trunc_f32_e32 v30, v30
	s_mov_b32 s10, 0x2f800000
	v_mul_f32_e64 v31, |v30|, s10
	v_floor_f32_e32 v31, v31
	s_mov_b32 s10, 0xcf800000
	v_fma_f32 v32, v31, s10, |v30|
	v_cvt_u32_f32_e32 v32, v32
	v_cvt_u32_f32_e32 v31, v31
	v_ashrrev_i32_e32 v48, 31, v30
	v_xor_b32_e32 v30, v32, v48
	v_xor_b32_e32 v31, v31, v48
	v_sub_co_u32_e32 v30, vcc, v30, v48
	v_subb_co_u32_e32 v31, vcc, v31, v48, vcc
	v_cmp_lt_i64_e32 vcc, -1, v[30:31]
	v_mov_b32_e32 v32, 0
	s_and_saveexec_b64 s[10:11], vcc
	s_cbranch_execz .LBB55_39
; %bb.28:
	v_cmp_lt_i64_e32 vcc, 0, v[30:31]
	v_mov_b32_e32 v32, 1.0
	s_and_saveexec_b64 s[14:15], vcc
	s_cbranch_execz .LBB55_38
; %bb.29:
	v_lshlrev_b32_e32 v48, 16, v49
	v_cmp_ne_u64_e32 vcc, 1, v[30:31]
                                        ; implicit-def: $vgpr32
	s_and_saveexec_b64 s[20:21], vcc
	s_xor_b64 s[20:21], exec, s[20:21]
	s_cbranch_execz .LBB55_35
; %bb.30:
	s_mov_b64 s[22:23], 0x81
	v_cmp_gt_u64_e32 vcc, s[22:23], v[30:31]
	v_mov_b32_e32 v32, 0x7fc00000
	s_and_saveexec_b64 s[22:23], vcc
	s_cbranch_execz .LBB55_34
; %bb.31:
	s_mov_b64 s[26:27], 1
	s_mov_b64 s[24:25], 0
	v_mov_b32_e32 v51, 1.0
	v_mov_b32_e32 v32, v48
.LBB55_32:                              ; =>This Inner Loop Header: Depth=1
	s_flbit_i32_b32 s28, s27
	s_min_u32 s30, s28, 32
	s_lshl_b64 s[28:29], s[26:27], s30
	s_min_u32 s28, s28, 1
	s_or_b32 s28, s29, s28
	v_cvt_f32_u32_e32 v56, s28
	s_sub_i32 s30, 32, s30
	s_add_u32 s26, s26, 1
	s_addc_u32 s27, s27, 0
	v_ldexp_f32 v56, v56, s30
	v_cmp_eq_u64_e32 vcc, s[26:27], v[30:31]
	v_mul_f32_e32 v56, v51, v56
	s_or_b64 s[24:25], vcc, s[24:25]
	v_mov_b32_e32 v51, v32
	v_fma_f32 v32, v32, v48, -v56
	s_andn2_b64 exec, exec, s[24:25]
	s_cbranch_execnz .LBB55_32
; %bb.33:
	s_or_b64 exec, exec, s[24:25]
.LBB55_34:
	s_or_b64 exec, exec, s[22:23]
                                        ; implicit-def: $vgpr48
.LBB55_35:
	s_andn2_saveexec_b64 s[20:21], s[20:21]
; %bb.36:
	v_mov_b32_e32 v32, v48
; %bb.37:
	s_or_b64 exec, exec, s[20:21]
.LBB55_38:
	s_or_b64 exec, exec, s[14:15]
.LBB55_39:
	s_or_b64 exec, exec, s[10:11]
	v_bfe_u32 v30, v33, 16, 1
	s_movk_i32 s10, 0x7fff
	v_add3_u32 v30, v33, v30, s10
	v_and_b32_e32 v30, 0xffff0000, v30
	v_mov_b32_e32 v31, 0x7fc00000
	v_cmp_o_f32_e32 vcc, v33, v33
	v_cndmask_b32_e32 v30, v31, v30, vcc
	v_trunc_f32_e32 v30, v30
	s_mov_b32 s10, 0x2f800000
	v_mul_f32_e64 v31, |v30|, s10
	v_floor_f32_e32 v31, v31
	s_mov_b32 s10, 0xcf800000
	v_fma_f32 v33, v31, s10, |v30|
	v_cvt_u32_f32_e32 v33, v33
	v_cvt_u32_f32_e32 v31, v31
	v_ashrrev_i32_e32 v48, 31, v30
	v_xor_b32_e32 v30, v33, v48
	v_xor_b32_e32 v31, v31, v48
	v_sub_co_u32_e32 v30, vcc, v30, v48
	v_subb_co_u32_e32 v31, vcc, v31, v48, vcc
	v_cmp_lt_i64_e32 vcc, -1, v[30:31]
	v_mov_b32_e32 v33, 0
	s_and_saveexec_b64 s[10:11], vcc
	s_cbranch_execz .LBB55_51
; %bb.40:
	v_cmp_lt_i64_e32 vcc, 0, v[30:31]
	v_mov_b32_e32 v33, 1.0
	s_and_saveexec_b64 s[14:15], vcc
	s_cbranch_execz .LBB55_50
; %bb.41:
	v_and_b32_e32 v48, 0xffff0000, v49
	v_cmp_ne_u64_e32 vcc, 1, v[30:31]
                                        ; implicit-def: $vgpr33
	s_and_saveexec_b64 s[20:21], vcc
	s_xor_b64 s[20:21], exec, s[20:21]
	s_cbranch_execz .LBB55_47
; %bb.42:
	s_mov_b64 s[22:23], 0x81
	v_cmp_gt_u64_e32 vcc, s[22:23], v[30:31]
	v_mov_b32_e32 v33, 0x7fc00000
	s_and_saveexec_b64 s[22:23], vcc
	s_cbranch_execz .LBB55_46
; %bb.43:
	s_mov_b64 s[26:27], 1
	s_mov_b64 s[24:25], 0
	v_mov_b32_e32 v49, 1.0
	v_mov_b32_e32 v33, v48
.LBB55_44:                              ; =>This Inner Loop Header: Depth=1
	s_flbit_i32_b32 s28, s27
	s_min_u32 s30, s28, 32
	s_lshl_b64 s[28:29], s[26:27], s30
	s_min_u32 s28, s28, 1
	s_or_b32 s28, s29, s28
	v_cvt_f32_u32_e32 v51, s28
	s_sub_i32 s30, 32, s30
	s_add_u32 s26, s26, 1
	s_addc_u32 s27, s27, 0
	v_ldexp_f32 v51, v51, s30
	v_cmp_eq_u64_e32 vcc, s[26:27], v[30:31]
	v_mul_f32_e32 v51, v49, v51
	s_or_b64 s[24:25], vcc, s[24:25]
	v_mov_b32_e32 v49, v33
	v_fma_f32 v33, v33, v48, -v51
	s_andn2_b64 exec, exec, s[24:25]
	s_cbranch_execnz .LBB55_44
; %bb.45:
	s_or_b64 exec, exec, s[24:25]
.LBB55_46:
	s_or_b64 exec, exec, s[22:23]
                                        ; implicit-def: $vgpr48
.LBB55_47:
	s_andn2_saveexec_b64 s[20:21], s[20:21]
; %bb.48:
	v_mov_b32_e32 v33, v48
; %bb.49:
	s_or_b64 exec, exec, s[20:21]
.LBB55_50:
	s_or_b64 exec, exec, s[14:15]
.LBB55_51:
	s_or_b64 exec, exec, s[10:11]
	s_waitcnt vmcnt(10)
	v_bfe_u32 v30, v26, 16, 1
	s_movk_i32 s10, 0x7fff
	v_add3_u32 v30, v26, v30, s10
	v_and_b32_e32 v30, 0xffff0000, v30
	v_mov_b32_e32 v31, 0x7fc00000
	v_cmp_o_f32_e32 vcc, v26, v26
	v_cndmask_b32_e32 v26, v31, v30, vcc
	v_trunc_f32_e32 v26, v26
	s_mov_b32 s10, 0x2f800000
	v_mul_f32_e64 v30, |v26|, s10
	v_floor_f32_e32 v30, v30
	s_mov_b32 s10, 0xcf800000
	v_fma_f32 v31, v30, s10, |v26|
	v_cvt_u32_f32_e32 v30, v30
	v_cvt_u32_f32_e32 v31, v31
	v_ashrrev_i32_e32 v26, 31, v26
	v_xor_b32_e32 v48, v30, v26
	v_xor_b32_e32 v30, v31, v26
	v_sub_co_u32_e32 v30, vcc, v30, v26
	v_subb_co_u32_e32 v31, vcc, v48, v26, vcc
	v_cmp_lt_i64_e32 vcc, -1, v[30:31]
	v_mov_b32_e32 v48, 0
	s_and_saveexec_b64 s[10:11], vcc
	s_cbranch_execz .LBB55_63
; %bb.52:
	v_cmp_lt_i64_e32 vcc, 0, v[30:31]
	v_mov_b32_e32 v48, 1.0
	s_and_saveexec_b64 s[14:15], vcc
	s_cbranch_execz .LBB55_62
; %bb.53:
	v_lshlrev_b32_e32 v26, 16, v46
	v_cmp_ne_u64_e32 vcc, 1, v[30:31]
                                        ; implicit-def: $vgpr48
	s_and_saveexec_b64 s[20:21], vcc
	s_xor_b64 s[20:21], exec, s[20:21]
	s_cbranch_execz .LBB55_59
; %bb.54:
	s_mov_b64 s[22:23], 0x81
	v_cmp_gt_u64_e32 vcc, s[22:23], v[30:31]
	v_mov_b32_e32 v48, 0x7fc00000
	s_and_saveexec_b64 s[22:23], vcc
	s_cbranch_execz .LBB55_58
; %bb.55:
	s_mov_b64 s[26:27], 1
	s_mov_b64 s[24:25], 0
	v_mov_b32_e32 v49, 1.0
	v_mov_b32_e32 v48, v26
.LBB55_56:                              ; =>This Inner Loop Header: Depth=1
	s_flbit_i32_b32 s28, s27
	s_min_u32 s30, s28, 32
	s_lshl_b64 s[28:29], s[26:27], s30
	s_min_u32 s28, s28, 1
	s_or_b32 s28, s29, s28
	v_cvt_f32_u32_e32 v51, s28
	s_sub_i32 s30, 32, s30
	s_add_u32 s26, s26, 1
	s_addc_u32 s27, s27, 0
	v_ldexp_f32 v51, v51, s30
	v_cmp_eq_u64_e32 vcc, s[26:27], v[30:31]
	v_mul_f32_e32 v51, v49, v51
	s_or_b64 s[24:25], vcc, s[24:25]
	v_mov_b32_e32 v49, v48
	v_fma_f32 v48, v48, v26, -v51
	s_andn2_b64 exec, exec, s[24:25]
	s_cbranch_execnz .LBB55_56
; %bb.57:
	s_or_b64 exec, exec, s[24:25]
.LBB55_58:
	s_or_b64 exec, exec, s[22:23]
                                        ; implicit-def: $vgpr26
.LBB55_59:
	s_andn2_saveexec_b64 s[20:21], s[20:21]
; %bb.60:
	v_mov_b32_e32 v48, v26
; %bb.61:
	s_or_b64 exec, exec, s[20:21]
.LBB55_62:
	s_or_b64 exec, exec, s[14:15]
.LBB55_63:
	s_or_b64 exec, exec, s[10:11]
	v_bfe_u32 v26, v27, 16, 1
	s_movk_i32 s10, 0x7fff
	v_add3_u32 v26, v27, v26, s10
	v_and_b32_e32 v26, 0xffff0000, v26
	v_mov_b32_e32 v30, 0x7fc00000
	v_cmp_o_f32_e32 vcc, v27, v27
	v_cndmask_b32_e32 v26, v30, v26, vcc
	v_trunc_f32_e32 v26, v26
	s_mov_b32 s10, 0x2f800000
	v_mul_f32_e64 v27, |v26|, s10
	v_floor_f32_e32 v27, v27
	s_mov_b32 s10, 0xcf800000
	v_fma_f32 v30, v27, s10, |v26|
	v_cvt_u32_f32_e32 v30, v30
	v_cvt_u32_f32_e32 v27, v27
	v_ashrrev_i32_e32 v31, 31, v26
	v_xor_b32_e32 v26, v30, v31
	v_xor_b32_e32 v27, v27, v31
	v_sub_co_u32_e32 v26, vcc, v26, v31
	v_subb_co_u32_e32 v27, vcc, v27, v31, vcc
	v_cmp_lt_i64_e32 vcc, -1, v[26:27]
	v_mov_b32_e32 v30, 0
	s_and_saveexec_b64 s[10:11], vcc
	s_cbranch_execz .LBB55_75
; %bb.64:
	v_cmp_lt_i64_e32 vcc, 0, v[26:27]
	v_mov_b32_e32 v30, 1.0
	s_and_saveexec_b64 s[14:15], vcc
	s_cbranch_execz .LBB55_74
; %bb.65:
	v_and_b32_e32 v31, 0xffff0000, v46
	v_cmp_ne_u64_e32 vcc, 1, v[26:27]
                                        ; implicit-def: $vgpr30
	s_and_saveexec_b64 s[20:21], vcc
	s_xor_b64 s[20:21], exec, s[20:21]
	s_cbranch_execz .LBB55_71
; %bb.66:
	s_mov_b64 s[22:23], 0x81
	v_cmp_gt_u64_e32 vcc, s[22:23], v[26:27]
	v_mov_b32_e32 v30, 0x7fc00000
	s_and_saveexec_b64 s[22:23], vcc
	s_cbranch_execz .LBB55_70
; %bb.67:
	s_mov_b64 s[26:27], 1
	s_mov_b64 s[24:25], 0
	v_mov_b32_e32 v46, 1.0
	v_mov_b32_e32 v30, v31
.LBB55_68:                              ; =>This Inner Loop Header: Depth=1
	s_flbit_i32_b32 s28, s27
	s_min_u32 s30, s28, 32
	s_lshl_b64 s[28:29], s[26:27], s30
	s_min_u32 s28, s28, 1
	s_or_b32 s28, s29, s28
	v_cvt_f32_u32_e32 v49, s28
	s_sub_i32 s30, 32, s30
	s_add_u32 s26, s26, 1
	s_addc_u32 s27, s27, 0
	v_ldexp_f32 v49, v49, s30
	v_cmp_eq_u64_e32 vcc, s[26:27], v[26:27]
	v_mul_f32_e32 v49, v46, v49
	s_or_b64 s[24:25], vcc, s[24:25]
	v_mov_b32_e32 v46, v30
	v_fma_f32 v30, v30, v31, -v49
	s_andn2_b64 exec, exec, s[24:25]
	s_cbranch_execnz .LBB55_68
; %bb.69:
	s_or_b64 exec, exec, s[24:25]
.LBB55_70:
	s_or_b64 exec, exec, s[22:23]
                                        ; implicit-def: $vgpr31
.LBB55_71:
	s_andn2_saveexec_b64 s[20:21], s[20:21]
; %bb.72:
	v_mov_b32_e32 v30, v31
; %bb.73:
	s_or_b64 exec, exec, s[20:21]
.LBB55_74:
	s_or_b64 exec, exec, s[14:15]
.LBB55_75:
	s_or_b64 exec, exec, s[10:11]
	v_bfe_u32 v26, v28, 16, 1
	s_movk_i32 s10, 0x7fff
	v_add3_u32 v26, v28, v26, s10
	v_and_b32_e32 v26, 0xffff0000, v26
	v_mov_b32_e32 v27, 0x7fc00000
	v_cmp_o_f32_e32 vcc, v28, v28
	v_cndmask_b32_e32 v26, v27, v26, vcc
	v_trunc_f32_e32 v26, v26
	s_mov_b32 s10, 0x2f800000
	v_mul_f32_e64 v27, |v26|, s10
	v_floor_f32_e32 v27, v27
	s_mov_b32 s10, 0xcf800000
	v_fma_f32 v28, v27, s10, |v26|
	v_cvt_u32_f32_e32 v28, v28
	v_cvt_u32_f32_e32 v27, v27
	v_ashrrev_i32_e32 v31, 31, v26
	v_xor_b32_e32 v26, v28, v31
	v_xor_b32_e32 v27, v27, v31
	v_sub_co_u32_e32 v26, vcc, v26, v31
	v_subb_co_u32_e32 v27, vcc, v27, v31, vcc
	v_cmp_lt_i64_e32 vcc, -1, v[26:27]
	v_mov_b32_e32 v28, 0
	s_and_saveexec_b64 s[10:11], vcc
	s_cbranch_execz .LBB55_87
; %bb.76:
	v_cmp_lt_i64_e32 vcc, 0, v[26:27]
	v_mov_b32_e32 v28, 1.0
	s_and_saveexec_b64 s[14:15], vcc
	s_cbranch_execz .LBB55_86
; %bb.77:
	v_lshlrev_b32_e32 v31, 16, v47
	v_cmp_ne_u64_e32 vcc, 1, v[26:27]
                                        ; implicit-def: $vgpr28
	s_and_saveexec_b64 s[20:21], vcc
	s_xor_b64 s[20:21], exec, s[20:21]
	s_cbranch_execz .LBB55_83
; %bb.78:
	s_mov_b64 s[22:23], 0x81
	v_cmp_gt_u64_e32 vcc, s[22:23], v[26:27]
	v_mov_b32_e32 v28, 0x7fc00000
	s_and_saveexec_b64 s[22:23], vcc
	s_cbranch_execz .LBB55_82
; %bb.79:
	s_mov_b64 s[26:27], 1
	s_mov_b64 s[24:25], 0
	v_mov_b32_e32 v46, 1.0
	v_mov_b32_e32 v28, v31
.LBB55_80:                              ; =>This Inner Loop Header: Depth=1
	s_flbit_i32_b32 s28, s27
	s_min_u32 s30, s28, 32
	s_lshl_b64 s[28:29], s[26:27], s30
	s_min_u32 s28, s28, 1
	s_or_b32 s28, s29, s28
	v_cvt_f32_u32_e32 v49, s28
	s_sub_i32 s30, 32, s30
	s_add_u32 s26, s26, 1
	s_addc_u32 s27, s27, 0
	v_ldexp_f32 v49, v49, s30
	v_cmp_eq_u64_e32 vcc, s[26:27], v[26:27]
	v_mul_f32_e32 v49, v46, v49
	s_or_b64 s[24:25], vcc, s[24:25]
	v_mov_b32_e32 v46, v28
	v_fma_f32 v28, v28, v31, -v49
	s_andn2_b64 exec, exec, s[24:25]
	s_cbranch_execnz .LBB55_80
; %bb.81:
	s_or_b64 exec, exec, s[24:25]
.LBB55_82:
	s_or_b64 exec, exec, s[22:23]
                                        ; implicit-def: $vgpr31
.LBB55_83:
	s_andn2_saveexec_b64 s[20:21], s[20:21]
; %bb.84:
	v_mov_b32_e32 v28, v31
; %bb.85:
	s_or_b64 exec, exec, s[20:21]
.LBB55_86:
	s_or_b64 exec, exec, s[14:15]
.LBB55_87:
	s_or_b64 exec, exec, s[10:11]
	v_bfe_u32 v26, v29, 16, 1
	s_movk_i32 s10, 0x7fff
	v_add3_u32 v26, v29, v26, s10
	v_and_b32_e32 v26, 0xffff0000, v26
	v_mov_b32_e32 v27, 0x7fc00000
	v_cmp_o_f32_e32 vcc, v29, v29
	v_cndmask_b32_e32 v26, v27, v26, vcc
	v_trunc_f32_e32 v26, v26
	s_mov_b32 s10, 0x2f800000
	v_mul_f32_e64 v27, |v26|, s10
	v_floor_f32_e32 v27, v27
	s_mov_b32 s10, 0xcf800000
	v_fma_f32 v29, v27, s10, |v26|
	v_cvt_u32_f32_e32 v29, v29
	v_cvt_u32_f32_e32 v27, v27
	v_ashrrev_i32_e32 v31, 31, v26
	v_xor_b32_e32 v26, v29, v31
	v_xor_b32_e32 v27, v27, v31
	v_sub_co_u32_e32 v26, vcc, v26, v31
	v_subb_co_u32_e32 v27, vcc, v27, v31, vcc
	v_cmp_lt_i64_e32 vcc, -1, v[26:27]
	v_mov_b32_e32 v29, 0
	s_and_saveexec_b64 s[10:11], vcc
	s_cbranch_execz .LBB55_99
; %bb.88:
	v_cmp_lt_i64_e32 vcc, 0, v[26:27]
	v_mov_b32_e32 v29, 1.0
	s_and_saveexec_b64 s[14:15], vcc
	s_cbranch_execz .LBB55_98
; %bb.89:
	v_and_b32_e32 v31, 0xffff0000, v47
	v_cmp_ne_u64_e32 vcc, 1, v[26:27]
                                        ; implicit-def: $vgpr29
	s_and_saveexec_b64 s[20:21], vcc
	s_xor_b64 s[20:21], exec, s[20:21]
	s_cbranch_execz .LBB55_95
; %bb.90:
	s_mov_b64 s[22:23], 0x81
	v_cmp_gt_u64_e32 vcc, s[22:23], v[26:27]
	v_mov_b32_e32 v29, 0x7fc00000
	s_and_saveexec_b64 s[22:23], vcc
	s_cbranch_execz .LBB55_94
; %bb.91:
	s_mov_b64 s[26:27], 1
	s_mov_b64 s[24:25], 0
	v_mov_b32_e32 v46, 1.0
	v_mov_b32_e32 v29, v31
.LBB55_92:                              ; =>This Inner Loop Header: Depth=1
	s_flbit_i32_b32 s28, s27
	s_min_u32 s30, s28, 32
	s_lshl_b64 s[28:29], s[26:27], s30
	s_min_u32 s28, s28, 1
	s_or_b32 s28, s29, s28
	v_cvt_f32_u32_e32 v47, s28
	s_sub_i32 s30, 32, s30
	s_add_u32 s26, s26, 1
	s_addc_u32 s27, s27, 0
	v_ldexp_f32 v47, v47, s30
	v_cmp_eq_u64_e32 vcc, s[26:27], v[26:27]
	v_mul_f32_e32 v47, v46, v47
	s_or_b64 s[24:25], vcc, s[24:25]
	v_mov_b32_e32 v46, v29
	v_fma_f32 v29, v29, v31, -v47
	s_andn2_b64 exec, exec, s[24:25]
	s_cbranch_execnz .LBB55_92
; %bb.93:
	s_or_b64 exec, exec, s[24:25]
.LBB55_94:
	s_or_b64 exec, exec, s[22:23]
                                        ; implicit-def: $vgpr31
.LBB55_95:
	s_andn2_saveexec_b64 s[20:21], s[20:21]
; %bb.96:
	v_mov_b32_e32 v29, v31
; %bb.97:
	s_or_b64 exec, exec, s[20:21]
.LBB55_98:
	s_or_b64 exec, exec, s[14:15]
.LBB55_99:
	s_or_b64 exec, exec, s[10:11]
	s_waitcnt vmcnt(9)
	v_bfe_u32 v26, v22, 16, 1
	s_movk_i32 s10, 0x7fff
	v_add3_u32 v26, v22, v26, s10
	v_and_b32_e32 v26, 0xffff0000, v26
	v_mov_b32_e32 v27, 0x7fc00000
	v_cmp_o_f32_e32 vcc, v22, v22
	v_cndmask_b32_e32 v22, v27, v26, vcc
	v_trunc_f32_e32 v22, v22
	s_mov_b32 s10, 0x2f800000
	v_mul_f32_e64 v26, |v22|, s10
	v_floor_f32_e32 v26, v26
	s_mov_b32 s10, 0xcf800000
	v_fma_f32 v27, v26, s10, |v22|
	v_cvt_u32_f32_e32 v26, v26
	v_cvt_u32_f32_e32 v27, v27
	v_ashrrev_i32_e32 v22, 31, v22
	v_xor_b32_e32 v31, v26, v22
	v_xor_b32_e32 v26, v27, v22
	v_sub_co_u32_e32 v26, vcc, v26, v22
	v_subb_co_u32_e32 v27, vcc, v31, v22, vcc
	v_cmp_lt_i64_e32 vcc, -1, v[26:27]
	v_mov_b32_e32 v31, 0
	s_and_saveexec_b64 s[10:11], vcc
	s_cbranch_execz .LBB55_111
; %bb.100:
	v_cmp_lt_i64_e32 vcc, 0, v[26:27]
	v_mov_b32_e32 v31, 1.0
	s_and_saveexec_b64 s[14:15], vcc
	s_cbranch_execz .LBB55_110
; %bb.101:
	v_lshlrev_b32_e32 v22, 16, v44
	v_cmp_ne_u64_e32 vcc, 1, v[26:27]
                                        ; implicit-def: $vgpr31
	s_and_saveexec_b64 s[20:21], vcc
	s_xor_b64 s[20:21], exec, s[20:21]
	s_cbranch_execz .LBB55_107
; %bb.102:
	s_mov_b64 s[22:23], 0x81
	v_cmp_gt_u64_e32 vcc, s[22:23], v[26:27]
	v_mov_b32_e32 v31, 0x7fc00000
	s_and_saveexec_b64 s[22:23], vcc
	s_cbranch_execz .LBB55_106
; %bb.103:
	s_mov_b64 s[26:27], 1
	s_mov_b64 s[24:25], 0
	v_mov_b32_e32 v46, 1.0
	v_mov_b32_e32 v31, v22
.LBB55_104:                             ; =>This Inner Loop Header: Depth=1
	s_flbit_i32_b32 s28, s27
	s_min_u32 s30, s28, 32
	s_lshl_b64 s[28:29], s[26:27], s30
	s_min_u32 s28, s28, 1
	s_or_b32 s28, s29, s28
	v_cvt_f32_u32_e32 v47, s28
	s_sub_i32 s30, 32, s30
	s_add_u32 s26, s26, 1
	s_addc_u32 s27, s27, 0
	v_ldexp_f32 v47, v47, s30
	v_cmp_eq_u64_e32 vcc, s[26:27], v[26:27]
	v_mul_f32_e32 v47, v46, v47
	s_or_b64 s[24:25], vcc, s[24:25]
	v_mov_b32_e32 v46, v31
	v_fma_f32 v31, v31, v22, -v47
	s_andn2_b64 exec, exec, s[24:25]
	s_cbranch_execnz .LBB55_104
; %bb.105:
	s_or_b64 exec, exec, s[24:25]
.LBB55_106:
	s_or_b64 exec, exec, s[22:23]
                                        ; implicit-def: $vgpr22
.LBB55_107:
	s_andn2_saveexec_b64 s[20:21], s[20:21]
; %bb.108:
	v_mov_b32_e32 v31, v22
; %bb.109:
	s_or_b64 exec, exec, s[20:21]
.LBB55_110:
	s_or_b64 exec, exec, s[14:15]
.LBB55_111:
	s_or_b64 exec, exec, s[10:11]
	v_bfe_u32 v22, v23, 16, 1
	s_movk_i32 s10, 0x7fff
	v_add3_u32 v22, v23, v22, s10
	v_and_b32_e32 v22, 0xffff0000, v22
	v_mov_b32_e32 v26, 0x7fc00000
	v_cmp_o_f32_e32 vcc, v23, v23
	v_cndmask_b32_e32 v22, v26, v22, vcc
	v_trunc_f32_e32 v22, v22
	s_mov_b32 s10, 0x2f800000
	v_mul_f32_e64 v23, |v22|, s10
	v_floor_f32_e32 v23, v23
	s_mov_b32 s10, 0xcf800000
	v_fma_f32 v26, v23, s10, |v22|
	v_cvt_u32_f32_e32 v26, v26
	v_cvt_u32_f32_e32 v23, v23
	v_ashrrev_i32_e32 v27, 31, v22
	v_xor_b32_e32 v22, v26, v27
	v_xor_b32_e32 v23, v23, v27
	v_sub_co_u32_e32 v22, vcc, v22, v27
	v_subb_co_u32_e32 v23, vcc, v23, v27, vcc
	v_cmp_lt_i64_e32 vcc, -1, v[22:23]
	v_mov_b32_e32 v26, 0
	s_and_saveexec_b64 s[10:11], vcc
	s_cbranch_execz .LBB55_123
; %bb.112:
	v_cmp_lt_i64_e32 vcc, 0, v[22:23]
	v_mov_b32_e32 v26, 1.0
	s_and_saveexec_b64 s[14:15], vcc
	s_cbranch_execz .LBB55_122
; %bb.113:
	v_and_b32_e32 v27, 0xffff0000, v44
	v_cmp_ne_u64_e32 vcc, 1, v[22:23]
                                        ; implicit-def: $vgpr26
	s_and_saveexec_b64 s[20:21], vcc
	s_xor_b64 s[20:21], exec, s[20:21]
	s_cbranch_execz .LBB55_119
; %bb.114:
	s_mov_b64 s[22:23], 0x81
	v_cmp_gt_u64_e32 vcc, s[22:23], v[22:23]
	v_mov_b32_e32 v26, 0x7fc00000
	s_and_saveexec_b64 s[22:23], vcc
	s_cbranch_execz .LBB55_118
; %bb.115:
	s_mov_b64 s[26:27], 1
	s_mov_b64 s[24:25], 0
	v_mov_b32_e32 v44, 1.0
	v_mov_b32_e32 v26, v27
.LBB55_116:                             ; =>This Inner Loop Header: Depth=1
	s_flbit_i32_b32 s28, s27
	s_min_u32 s30, s28, 32
	s_lshl_b64 s[28:29], s[26:27], s30
	s_min_u32 s28, s28, 1
	s_or_b32 s28, s29, s28
	v_cvt_f32_u32_e32 v46, s28
	s_sub_i32 s30, 32, s30
	s_add_u32 s26, s26, 1
	s_addc_u32 s27, s27, 0
	v_ldexp_f32 v46, v46, s30
	v_cmp_eq_u64_e32 vcc, s[26:27], v[22:23]
	v_mul_f32_e32 v46, v44, v46
	s_or_b64 s[24:25], vcc, s[24:25]
	v_mov_b32_e32 v44, v26
	v_fma_f32 v26, v26, v27, -v46
	s_andn2_b64 exec, exec, s[24:25]
	s_cbranch_execnz .LBB55_116
; %bb.117:
	s_or_b64 exec, exec, s[24:25]
.LBB55_118:
	s_or_b64 exec, exec, s[22:23]
                                        ; implicit-def: $vgpr27
.LBB55_119:
	s_andn2_saveexec_b64 s[20:21], s[20:21]
; %bb.120:
	v_mov_b32_e32 v26, v27
; %bb.121:
	s_or_b64 exec, exec, s[20:21]
.LBB55_122:
	s_or_b64 exec, exec, s[14:15]
.LBB55_123:
	s_or_b64 exec, exec, s[10:11]
	v_bfe_u32 v22, v24, 16, 1
	s_movk_i32 s10, 0x7fff
	v_add3_u32 v22, v24, v22, s10
	v_and_b32_e32 v22, 0xffff0000, v22
	v_mov_b32_e32 v23, 0x7fc00000
	v_cmp_o_f32_e32 vcc, v24, v24
	v_cndmask_b32_e32 v22, v23, v22, vcc
	v_trunc_f32_e32 v22, v22
	s_mov_b32 s10, 0x2f800000
	v_mul_f32_e64 v23, |v22|, s10
	v_floor_f32_e32 v23, v23
	s_mov_b32 s10, 0xcf800000
	v_fma_f32 v24, v23, s10, |v22|
	v_cvt_u32_f32_e32 v24, v24
	v_cvt_u32_f32_e32 v23, v23
	v_ashrrev_i32_e32 v27, 31, v22
	v_xor_b32_e32 v22, v24, v27
	v_xor_b32_e32 v23, v23, v27
	v_sub_co_u32_e32 v22, vcc, v22, v27
	v_subb_co_u32_e32 v23, vcc, v23, v27, vcc
	v_cmp_lt_i64_e32 vcc, -1, v[22:23]
	v_mov_b32_e32 v24, 0
	s_and_saveexec_b64 s[10:11], vcc
	s_cbranch_execz .LBB55_135
; %bb.124:
	v_cmp_lt_i64_e32 vcc, 0, v[22:23]
	v_mov_b32_e32 v24, 1.0
	s_and_saveexec_b64 s[14:15], vcc
	s_cbranch_execz .LBB55_134
; %bb.125:
	v_lshlrev_b32_e32 v27, 16, v45
	v_cmp_ne_u64_e32 vcc, 1, v[22:23]
                                        ; implicit-def: $vgpr24
	s_and_saveexec_b64 s[20:21], vcc
	s_xor_b64 s[20:21], exec, s[20:21]
	s_cbranch_execz .LBB55_131
; %bb.126:
	s_mov_b64 s[22:23], 0x81
	v_cmp_gt_u64_e32 vcc, s[22:23], v[22:23]
	v_mov_b32_e32 v24, 0x7fc00000
	s_and_saveexec_b64 s[22:23], vcc
	s_cbranch_execz .LBB55_130
; %bb.127:
	s_mov_b64 s[26:27], 1
	s_mov_b64 s[24:25], 0
	v_mov_b32_e32 v44, 1.0
	v_mov_b32_e32 v24, v27
.LBB55_128:                             ; =>This Inner Loop Header: Depth=1
	s_flbit_i32_b32 s28, s27
	s_min_u32 s30, s28, 32
	s_lshl_b64 s[28:29], s[26:27], s30
	s_min_u32 s28, s28, 1
	s_or_b32 s28, s29, s28
	v_cvt_f32_u32_e32 v46, s28
	s_sub_i32 s30, 32, s30
	s_add_u32 s26, s26, 1
	s_addc_u32 s27, s27, 0
	v_ldexp_f32 v46, v46, s30
	v_cmp_eq_u64_e32 vcc, s[26:27], v[22:23]
	v_mul_f32_e32 v46, v44, v46
	s_or_b64 s[24:25], vcc, s[24:25]
	v_mov_b32_e32 v44, v24
	v_fma_f32 v24, v24, v27, -v46
	s_andn2_b64 exec, exec, s[24:25]
	s_cbranch_execnz .LBB55_128
; %bb.129:
	s_or_b64 exec, exec, s[24:25]
.LBB55_130:
	s_or_b64 exec, exec, s[22:23]
                                        ; implicit-def: $vgpr27
.LBB55_131:
	s_andn2_saveexec_b64 s[20:21], s[20:21]
; %bb.132:
	v_mov_b32_e32 v24, v27
; %bb.133:
	s_or_b64 exec, exec, s[20:21]
.LBB55_134:
	s_or_b64 exec, exec, s[14:15]
.LBB55_135:
	s_or_b64 exec, exec, s[10:11]
	v_bfe_u32 v22, v25, 16, 1
	s_movk_i32 s10, 0x7fff
	v_add3_u32 v22, v25, v22, s10
	v_and_b32_e32 v22, 0xffff0000, v22
	v_mov_b32_e32 v23, 0x7fc00000
	v_cmp_o_f32_e32 vcc, v25, v25
	v_cndmask_b32_e32 v22, v23, v22, vcc
	v_trunc_f32_e32 v22, v22
	s_mov_b32 s10, 0x2f800000
	v_mul_f32_e64 v23, |v22|, s10
	v_floor_f32_e32 v23, v23
	s_mov_b32 s10, 0xcf800000
	v_fma_f32 v25, v23, s10, |v22|
	v_cvt_u32_f32_e32 v25, v25
	v_cvt_u32_f32_e32 v23, v23
	v_ashrrev_i32_e32 v27, 31, v22
	v_xor_b32_e32 v22, v25, v27
	v_xor_b32_e32 v23, v23, v27
	v_sub_co_u32_e32 v22, vcc, v22, v27
	v_subb_co_u32_e32 v23, vcc, v23, v27, vcc
	v_cmp_lt_i64_e32 vcc, -1, v[22:23]
	v_mov_b32_e32 v25, 0
	s_and_saveexec_b64 s[10:11], vcc
	s_cbranch_execz .LBB55_147
; %bb.136:
	v_cmp_lt_i64_e32 vcc, 0, v[22:23]
	v_mov_b32_e32 v25, 1.0
	s_and_saveexec_b64 s[14:15], vcc
	s_cbranch_execz .LBB55_146
; %bb.137:
	v_and_b32_e32 v27, 0xffff0000, v45
	v_cmp_ne_u64_e32 vcc, 1, v[22:23]
                                        ; implicit-def: $vgpr25
	s_and_saveexec_b64 s[20:21], vcc
	s_xor_b64 s[20:21], exec, s[20:21]
	s_cbranch_execz .LBB55_143
; %bb.138:
	s_mov_b64 s[22:23], 0x81
	v_cmp_gt_u64_e32 vcc, s[22:23], v[22:23]
	v_mov_b32_e32 v25, 0x7fc00000
	s_and_saveexec_b64 s[22:23], vcc
	s_cbranch_execz .LBB55_142
; %bb.139:
	s_mov_b64 s[26:27], 1
	s_mov_b64 s[24:25], 0
	v_mov_b32_e32 v44, 1.0
	v_mov_b32_e32 v25, v27
.LBB55_140:                             ; =>This Inner Loop Header: Depth=1
	s_flbit_i32_b32 s28, s27
	s_min_u32 s30, s28, 32
	s_lshl_b64 s[28:29], s[26:27], s30
	s_min_u32 s28, s28, 1
	s_or_b32 s28, s29, s28
	v_cvt_f32_u32_e32 v45, s28
	s_sub_i32 s30, 32, s30
	s_add_u32 s26, s26, 1
	s_addc_u32 s27, s27, 0
	v_ldexp_f32 v45, v45, s30
	v_cmp_eq_u64_e32 vcc, s[26:27], v[22:23]
	v_mul_f32_e32 v45, v44, v45
	s_or_b64 s[24:25], vcc, s[24:25]
	v_mov_b32_e32 v44, v25
	v_fma_f32 v25, v25, v27, -v45
	s_andn2_b64 exec, exec, s[24:25]
	s_cbranch_execnz .LBB55_140
; %bb.141:
	s_or_b64 exec, exec, s[24:25]
.LBB55_142:
	s_or_b64 exec, exec, s[22:23]
                                        ; implicit-def: $vgpr27
.LBB55_143:
	s_andn2_saveexec_b64 s[20:21], s[20:21]
; %bb.144:
	v_mov_b32_e32 v25, v27
; %bb.145:
	s_or_b64 exec, exec, s[20:21]
.LBB55_146:
	s_or_b64 exec, exec, s[14:15]
.LBB55_147:
	s_or_b64 exec, exec, s[10:11]
	s_waitcnt vmcnt(8)
	v_bfe_u32 v22, v18, 16, 1
	s_movk_i32 s10, 0x7fff
	v_add3_u32 v22, v18, v22, s10
	v_and_b32_e32 v22, 0xffff0000, v22
	v_mov_b32_e32 v23, 0x7fc00000
	v_cmp_o_f32_e32 vcc, v18, v18
	v_cndmask_b32_e32 v18, v23, v22, vcc
	v_trunc_f32_e32 v18, v18
	s_mov_b32 s10, 0x2f800000
	v_mul_f32_e64 v22, |v18|, s10
	v_floor_f32_e32 v22, v22
	s_mov_b32 s10, 0xcf800000
	v_fma_f32 v23, v22, s10, |v18|
	v_cvt_u32_f32_e32 v22, v22
	v_cvt_u32_f32_e32 v23, v23
	v_ashrrev_i32_e32 v18, 31, v18
	v_xor_b32_e32 v27, v22, v18
	v_xor_b32_e32 v22, v23, v18
	v_sub_co_u32_e32 v22, vcc, v22, v18
	v_subb_co_u32_e32 v23, vcc, v27, v18, vcc
	v_cmp_lt_i64_e32 vcc, -1, v[22:23]
	v_mov_b32_e32 v27, 0
	s_and_saveexec_b64 s[10:11], vcc
	s_cbranch_execz .LBB55_159
; %bb.148:
	v_cmp_lt_i64_e32 vcc, 0, v[22:23]
	v_mov_b32_e32 v27, 1.0
	s_and_saveexec_b64 s[14:15], vcc
	s_cbranch_execz .LBB55_158
; %bb.149:
	v_lshlrev_b32_e32 v18, 16, v42
	v_cmp_ne_u64_e32 vcc, 1, v[22:23]
                                        ; implicit-def: $vgpr27
	s_and_saveexec_b64 s[20:21], vcc
	s_xor_b64 s[20:21], exec, s[20:21]
	s_cbranch_execz .LBB55_155
; %bb.150:
	s_mov_b64 s[22:23], 0x81
	v_cmp_gt_u64_e32 vcc, s[22:23], v[22:23]
	v_mov_b32_e32 v27, 0x7fc00000
	s_and_saveexec_b64 s[22:23], vcc
	s_cbranch_execz .LBB55_154
; %bb.151:
	s_mov_b64 s[26:27], 1
	s_mov_b64 s[24:25], 0
	v_mov_b32_e32 v44, 1.0
	v_mov_b32_e32 v27, v18
.LBB55_152:                             ; =>This Inner Loop Header: Depth=1
	s_flbit_i32_b32 s28, s27
	s_min_u32 s30, s28, 32
	s_lshl_b64 s[28:29], s[26:27], s30
	s_min_u32 s28, s28, 1
	s_or_b32 s28, s29, s28
	v_cvt_f32_u32_e32 v45, s28
	s_sub_i32 s30, 32, s30
	s_add_u32 s26, s26, 1
	s_addc_u32 s27, s27, 0
	v_ldexp_f32 v45, v45, s30
	v_cmp_eq_u64_e32 vcc, s[26:27], v[22:23]
	v_mul_f32_e32 v45, v44, v45
	s_or_b64 s[24:25], vcc, s[24:25]
	v_mov_b32_e32 v44, v27
	v_fma_f32 v27, v27, v18, -v45
	s_andn2_b64 exec, exec, s[24:25]
	s_cbranch_execnz .LBB55_152
; %bb.153:
	s_or_b64 exec, exec, s[24:25]
.LBB55_154:
	s_or_b64 exec, exec, s[22:23]
                                        ; implicit-def: $vgpr18
.LBB55_155:
	s_andn2_saveexec_b64 s[20:21], s[20:21]
; %bb.156:
	v_mov_b32_e32 v27, v18
; %bb.157:
	s_or_b64 exec, exec, s[20:21]
.LBB55_158:
	s_or_b64 exec, exec, s[14:15]
.LBB55_159:
	s_or_b64 exec, exec, s[10:11]
	v_bfe_u32 v18, v19, 16, 1
	s_movk_i32 s10, 0x7fff
	v_add3_u32 v18, v19, v18, s10
	v_and_b32_e32 v18, 0xffff0000, v18
	v_mov_b32_e32 v22, 0x7fc00000
	v_cmp_o_f32_e32 vcc, v19, v19
	v_cndmask_b32_e32 v18, v22, v18, vcc
	v_trunc_f32_e32 v18, v18
	s_mov_b32 s10, 0x2f800000
	v_mul_f32_e64 v19, |v18|, s10
	v_floor_f32_e32 v19, v19
	s_mov_b32 s10, 0xcf800000
	v_fma_f32 v22, v19, s10, |v18|
	v_cvt_u32_f32_e32 v22, v22
	v_cvt_u32_f32_e32 v19, v19
	v_ashrrev_i32_e32 v23, 31, v18
	v_xor_b32_e32 v18, v22, v23
	v_xor_b32_e32 v19, v19, v23
	v_sub_co_u32_e32 v18, vcc, v18, v23
	v_subb_co_u32_e32 v19, vcc, v19, v23, vcc
	v_cmp_lt_i64_e32 vcc, -1, v[18:19]
	v_mov_b32_e32 v22, 0
	s_and_saveexec_b64 s[10:11], vcc
	s_cbranch_execz .LBB55_171
; %bb.160:
	v_cmp_lt_i64_e32 vcc, 0, v[18:19]
	v_mov_b32_e32 v22, 1.0
	s_and_saveexec_b64 s[14:15], vcc
	s_cbranch_execz .LBB55_170
; %bb.161:
	v_and_b32_e32 v23, 0xffff0000, v42
	v_cmp_ne_u64_e32 vcc, 1, v[18:19]
                                        ; implicit-def: $vgpr22
	s_and_saveexec_b64 s[20:21], vcc
	s_xor_b64 s[20:21], exec, s[20:21]
	s_cbranch_execz .LBB55_167
; %bb.162:
	s_mov_b64 s[22:23], 0x81
	v_cmp_gt_u64_e32 vcc, s[22:23], v[18:19]
	v_mov_b32_e32 v22, 0x7fc00000
	s_and_saveexec_b64 s[22:23], vcc
	s_cbranch_execz .LBB55_166
; %bb.163:
	s_mov_b64 s[26:27], 1
	s_mov_b64 s[24:25], 0
	v_mov_b32_e32 v42, 1.0
	v_mov_b32_e32 v22, v23
.LBB55_164:                             ; =>This Inner Loop Header: Depth=1
	s_flbit_i32_b32 s28, s27
	s_min_u32 s30, s28, 32
	s_lshl_b64 s[28:29], s[26:27], s30
	s_min_u32 s28, s28, 1
	s_or_b32 s28, s29, s28
	v_cvt_f32_u32_e32 v44, s28
	s_sub_i32 s30, 32, s30
	s_add_u32 s26, s26, 1
	s_addc_u32 s27, s27, 0
	v_ldexp_f32 v44, v44, s30
	v_cmp_eq_u64_e32 vcc, s[26:27], v[18:19]
	v_mul_f32_e32 v44, v42, v44
	s_or_b64 s[24:25], vcc, s[24:25]
	v_mov_b32_e32 v42, v22
	v_fma_f32 v22, v22, v23, -v44
	s_andn2_b64 exec, exec, s[24:25]
	s_cbranch_execnz .LBB55_164
; %bb.165:
	s_or_b64 exec, exec, s[24:25]
.LBB55_166:
	s_or_b64 exec, exec, s[22:23]
                                        ; implicit-def: $vgpr23
.LBB55_167:
	s_andn2_saveexec_b64 s[20:21], s[20:21]
; %bb.168:
	v_mov_b32_e32 v22, v23
; %bb.169:
	s_or_b64 exec, exec, s[20:21]
.LBB55_170:
	s_or_b64 exec, exec, s[14:15]
.LBB55_171:
	s_or_b64 exec, exec, s[10:11]
	v_bfe_u32 v18, v20, 16, 1
	s_movk_i32 s10, 0x7fff
	v_add3_u32 v18, v20, v18, s10
	v_and_b32_e32 v18, 0xffff0000, v18
	v_mov_b32_e32 v19, 0x7fc00000
	v_cmp_o_f32_e32 vcc, v20, v20
	v_cndmask_b32_e32 v18, v19, v18, vcc
	v_trunc_f32_e32 v18, v18
	s_mov_b32 s10, 0x2f800000
	v_mul_f32_e64 v19, |v18|, s10
	v_floor_f32_e32 v19, v19
	s_mov_b32 s10, 0xcf800000
	v_fma_f32 v20, v19, s10, |v18|
	v_cvt_u32_f32_e32 v20, v20
	v_cvt_u32_f32_e32 v19, v19
	v_ashrrev_i32_e32 v23, 31, v18
	v_xor_b32_e32 v18, v20, v23
	v_xor_b32_e32 v19, v19, v23
	v_sub_co_u32_e32 v18, vcc, v18, v23
	v_subb_co_u32_e32 v19, vcc, v19, v23, vcc
	v_cmp_lt_i64_e32 vcc, -1, v[18:19]
	v_mov_b32_e32 v20, 0
	s_and_saveexec_b64 s[10:11], vcc
	s_cbranch_execz .LBB55_183
; %bb.172:
	v_cmp_lt_i64_e32 vcc, 0, v[18:19]
	v_mov_b32_e32 v20, 1.0
	s_and_saveexec_b64 s[14:15], vcc
	s_cbranch_execz .LBB55_182
; %bb.173:
	v_lshlrev_b32_e32 v23, 16, v43
	v_cmp_ne_u64_e32 vcc, 1, v[18:19]
                                        ; implicit-def: $vgpr20
	s_and_saveexec_b64 s[20:21], vcc
	s_xor_b64 s[20:21], exec, s[20:21]
	s_cbranch_execz .LBB55_179
; %bb.174:
	s_mov_b64 s[22:23], 0x81
	v_cmp_gt_u64_e32 vcc, s[22:23], v[18:19]
	v_mov_b32_e32 v20, 0x7fc00000
	s_and_saveexec_b64 s[22:23], vcc
	s_cbranch_execz .LBB55_178
; %bb.175:
	s_mov_b64 s[26:27], 1
	s_mov_b64 s[24:25], 0
	v_mov_b32_e32 v42, 1.0
	v_mov_b32_e32 v20, v23
.LBB55_176:                             ; =>This Inner Loop Header: Depth=1
	s_flbit_i32_b32 s28, s27
	s_min_u32 s30, s28, 32
	s_lshl_b64 s[28:29], s[26:27], s30
	s_min_u32 s28, s28, 1
	s_or_b32 s28, s29, s28
	v_cvt_f32_u32_e32 v44, s28
	s_sub_i32 s30, 32, s30
	s_add_u32 s26, s26, 1
	s_addc_u32 s27, s27, 0
	v_ldexp_f32 v44, v44, s30
	v_cmp_eq_u64_e32 vcc, s[26:27], v[18:19]
	v_mul_f32_e32 v44, v42, v44
	s_or_b64 s[24:25], vcc, s[24:25]
	v_mov_b32_e32 v42, v20
	v_fma_f32 v20, v20, v23, -v44
	s_andn2_b64 exec, exec, s[24:25]
	s_cbranch_execnz .LBB55_176
; %bb.177:
	s_or_b64 exec, exec, s[24:25]
.LBB55_178:
	s_or_b64 exec, exec, s[22:23]
                                        ; implicit-def: $vgpr23
.LBB55_179:
	s_andn2_saveexec_b64 s[20:21], s[20:21]
; %bb.180:
	v_mov_b32_e32 v20, v23
; %bb.181:
	s_or_b64 exec, exec, s[20:21]
.LBB55_182:
	s_or_b64 exec, exec, s[14:15]
.LBB55_183:
	s_or_b64 exec, exec, s[10:11]
	v_bfe_u32 v18, v21, 16, 1
	s_movk_i32 s10, 0x7fff
	v_add3_u32 v18, v21, v18, s10
	v_and_b32_e32 v18, 0xffff0000, v18
	v_mov_b32_e32 v19, 0x7fc00000
	v_cmp_o_f32_e32 vcc, v21, v21
	v_cndmask_b32_e32 v18, v19, v18, vcc
	v_trunc_f32_e32 v18, v18
	s_mov_b32 s10, 0x2f800000
	v_mul_f32_e64 v19, |v18|, s10
	v_floor_f32_e32 v19, v19
	s_mov_b32 s10, 0xcf800000
	v_fma_f32 v21, v19, s10, |v18|
	v_cvt_u32_f32_e32 v21, v21
	v_cvt_u32_f32_e32 v19, v19
	v_ashrrev_i32_e32 v23, 31, v18
	v_xor_b32_e32 v18, v21, v23
	v_xor_b32_e32 v19, v19, v23
	v_sub_co_u32_e32 v18, vcc, v18, v23
	v_subb_co_u32_e32 v19, vcc, v19, v23, vcc
	v_cmp_lt_i64_e32 vcc, -1, v[18:19]
	v_mov_b32_e32 v21, 0
	s_and_saveexec_b64 s[10:11], vcc
	s_cbranch_execz .LBB55_195
; %bb.184:
	v_cmp_lt_i64_e32 vcc, 0, v[18:19]
	v_mov_b32_e32 v21, 1.0
	s_and_saveexec_b64 s[14:15], vcc
	s_cbranch_execz .LBB55_194
; %bb.185:
	v_and_b32_e32 v23, 0xffff0000, v43
	v_cmp_ne_u64_e32 vcc, 1, v[18:19]
                                        ; implicit-def: $vgpr21
	s_and_saveexec_b64 s[20:21], vcc
	s_xor_b64 s[20:21], exec, s[20:21]
	s_cbranch_execz .LBB55_191
; %bb.186:
	s_mov_b64 s[22:23], 0x81
	v_cmp_gt_u64_e32 vcc, s[22:23], v[18:19]
	v_mov_b32_e32 v21, 0x7fc00000
	s_and_saveexec_b64 s[22:23], vcc
	s_cbranch_execz .LBB55_190
; %bb.187:
	s_mov_b64 s[26:27], 1
	s_mov_b64 s[24:25], 0
	v_mov_b32_e32 v42, 1.0
	v_mov_b32_e32 v21, v23
.LBB55_188:                             ; =>This Inner Loop Header: Depth=1
	s_flbit_i32_b32 s28, s27
	s_min_u32 s30, s28, 32
	s_lshl_b64 s[28:29], s[26:27], s30
	s_min_u32 s28, s28, 1
	s_or_b32 s28, s29, s28
	v_cvt_f32_u32_e32 v43, s28
	s_sub_i32 s30, 32, s30
	s_add_u32 s26, s26, 1
	s_addc_u32 s27, s27, 0
	v_ldexp_f32 v43, v43, s30
	v_cmp_eq_u64_e32 vcc, s[26:27], v[18:19]
	v_mul_f32_e32 v43, v42, v43
	s_or_b64 s[24:25], vcc, s[24:25]
	v_mov_b32_e32 v42, v21
	v_fma_f32 v21, v21, v23, -v43
	s_andn2_b64 exec, exec, s[24:25]
	s_cbranch_execnz .LBB55_188
; %bb.189:
	s_or_b64 exec, exec, s[24:25]
.LBB55_190:
	s_or_b64 exec, exec, s[22:23]
                                        ; implicit-def: $vgpr23
.LBB55_191:
	s_andn2_saveexec_b64 s[20:21], s[20:21]
; %bb.192:
	v_mov_b32_e32 v21, v23
; %bb.193:
	s_or_b64 exec, exec, s[20:21]
.LBB55_194:
	s_or_b64 exec, exec, s[14:15]
.LBB55_195:
	s_or_b64 exec, exec, s[10:11]
	s_waitcnt vmcnt(7)
	v_bfe_u32 v18, v14, 16, 1
	s_movk_i32 s10, 0x7fff
	v_add3_u32 v18, v14, v18, s10
	v_and_b32_e32 v18, 0xffff0000, v18
	v_mov_b32_e32 v19, 0x7fc00000
	v_cmp_o_f32_e32 vcc, v14, v14
	v_cndmask_b32_e32 v14, v19, v18, vcc
	v_trunc_f32_e32 v14, v14
	s_mov_b32 s10, 0x2f800000
	v_mul_f32_e64 v18, |v14|, s10
	v_floor_f32_e32 v18, v18
	s_mov_b32 s10, 0xcf800000
	v_fma_f32 v19, v18, s10, |v14|
	v_cvt_u32_f32_e32 v18, v18
	v_cvt_u32_f32_e32 v19, v19
	v_ashrrev_i32_e32 v14, 31, v14
	v_xor_b32_e32 v23, v18, v14
	v_xor_b32_e32 v18, v19, v14
	v_sub_co_u32_e32 v18, vcc, v18, v14
	v_subb_co_u32_e32 v19, vcc, v23, v14, vcc
	v_cmp_lt_i64_e32 vcc, -1, v[18:19]
	v_mov_b32_e32 v23, 0
	s_and_saveexec_b64 s[10:11], vcc
	s_cbranch_execz .LBB55_207
; %bb.196:
	v_cmp_lt_i64_e32 vcc, 0, v[18:19]
	v_mov_b32_e32 v23, 1.0
	s_and_saveexec_b64 s[14:15], vcc
	s_cbranch_execz .LBB55_206
; %bb.197:
	s_waitcnt vmcnt(3)
	v_lshlrev_b32_e32 v14, 16, v40
	v_cmp_ne_u64_e32 vcc, 1, v[18:19]
                                        ; implicit-def: $vgpr23
	s_and_saveexec_b64 s[20:21], vcc
	s_xor_b64 s[20:21], exec, s[20:21]
	s_cbranch_execz .LBB55_203
; %bb.198:
	s_mov_b64 s[22:23], 0x81
	v_cmp_gt_u64_e32 vcc, s[22:23], v[18:19]
	v_mov_b32_e32 v23, 0x7fc00000
	s_and_saveexec_b64 s[22:23], vcc
	s_cbranch_execz .LBB55_202
; %bb.199:
	s_mov_b64 s[26:27], 1
	s_mov_b64 s[24:25], 0
	v_mov_b32_e32 v42, 1.0
	v_mov_b32_e32 v23, v14
.LBB55_200:                             ; =>This Inner Loop Header: Depth=1
	s_flbit_i32_b32 s28, s27
	s_min_u32 s30, s28, 32
	s_lshl_b64 s[28:29], s[26:27], s30
	s_min_u32 s28, s28, 1
	s_or_b32 s28, s29, s28
	v_cvt_f32_u32_e32 v43, s28
	s_sub_i32 s30, 32, s30
	s_add_u32 s26, s26, 1
	s_addc_u32 s27, s27, 0
	v_ldexp_f32 v43, v43, s30
	v_cmp_eq_u64_e32 vcc, s[26:27], v[18:19]
	v_mul_f32_e32 v43, v42, v43
	s_or_b64 s[24:25], vcc, s[24:25]
	v_mov_b32_e32 v42, v23
	v_fma_f32 v23, v23, v14, -v43
	s_andn2_b64 exec, exec, s[24:25]
	s_cbranch_execnz .LBB55_200
; %bb.201:
	s_or_b64 exec, exec, s[24:25]
.LBB55_202:
	s_or_b64 exec, exec, s[22:23]
                                        ; implicit-def: $vgpr14
.LBB55_203:
	s_andn2_saveexec_b64 s[20:21], s[20:21]
; %bb.204:
	v_mov_b32_e32 v23, v14
; %bb.205:
	s_or_b64 exec, exec, s[20:21]
.LBB55_206:
	s_or_b64 exec, exec, s[14:15]
.LBB55_207:
	s_or_b64 exec, exec, s[10:11]
	v_bfe_u32 v14, v15, 16, 1
	s_movk_i32 s10, 0x7fff
	v_add3_u32 v14, v15, v14, s10
	v_and_b32_e32 v14, 0xffff0000, v14
	v_mov_b32_e32 v18, 0x7fc00000
	v_cmp_o_f32_e32 vcc, v15, v15
	v_cndmask_b32_e32 v14, v18, v14, vcc
	v_trunc_f32_e32 v14, v14
	s_mov_b32 s10, 0x2f800000
	v_mul_f32_e64 v15, |v14|, s10
	v_floor_f32_e32 v15, v15
	s_mov_b32 s10, 0xcf800000
	v_fma_f32 v18, v15, s10, |v14|
	v_cvt_u32_f32_e32 v18, v18
	v_cvt_u32_f32_e32 v15, v15
	v_ashrrev_i32_e32 v19, 31, v14
	v_xor_b32_e32 v14, v18, v19
	v_xor_b32_e32 v15, v15, v19
	v_sub_co_u32_e32 v14, vcc, v14, v19
	v_subb_co_u32_e32 v15, vcc, v15, v19, vcc
	v_cmp_lt_i64_e32 vcc, -1, v[14:15]
	v_mov_b32_e32 v18, 0
	s_and_saveexec_b64 s[10:11], vcc
	s_cbranch_execz .LBB55_219
; %bb.208:
	v_cmp_lt_i64_e32 vcc, 0, v[14:15]
	v_mov_b32_e32 v18, 1.0
	s_and_saveexec_b64 s[14:15], vcc
	s_cbranch_execz .LBB55_218
; %bb.209:
	s_waitcnt vmcnt(3)
	v_and_b32_e32 v19, 0xffff0000, v40
	v_cmp_ne_u64_e32 vcc, 1, v[14:15]
                                        ; implicit-def: $vgpr18
	s_and_saveexec_b64 s[20:21], vcc
	s_xor_b64 s[20:21], exec, s[20:21]
	s_cbranch_execz .LBB55_215
; %bb.210:
	s_mov_b64 s[22:23], 0x81
	v_cmp_gt_u64_e32 vcc, s[22:23], v[14:15]
	v_mov_b32_e32 v18, 0x7fc00000
	s_and_saveexec_b64 s[22:23], vcc
	s_cbranch_execz .LBB55_214
; %bb.211:
	s_mov_b64 s[26:27], 1
	s_mov_b64 s[24:25], 0
	v_mov_b32_e32 v40, 1.0
	v_mov_b32_e32 v18, v19
.LBB55_212:                             ; =>This Inner Loop Header: Depth=1
	s_flbit_i32_b32 s28, s27
	s_min_u32 s30, s28, 32
	s_lshl_b64 s[28:29], s[26:27], s30
	s_min_u32 s28, s28, 1
	s_or_b32 s28, s29, s28
	v_cvt_f32_u32_e32 v42, s28
	s_sub_i32 s30, 32, s30
	s_add_u32 s26, s26, 1
	s_addc_u32 s27, s27, 0
	v_ldexp_f32 v42, v42, s30
	v_cmp_eq_u64_e32 vcc, s[26:27], v[14:15]
	v_mul_f32_e32 v42, v40, v42
	s_or_b64 s[24:25], vcc, s[24:25]
	v_mov_b32_e32 v40, v18
	v_fma_f32 v18, v18, v19, -v42
	s_andn2_b64 exec, exec, s[24:25]
	s_cbranch_execnz .LBB55_212
; %bb.213:
	s_or_b64 exec, exec, s[24:25]
.LBB55_214:
	s_or_b64 exec, exec, s[22:23]
                                        ; implicit-def: $vgpr19
.LBB55_215:
	s_andn2_saveexec_b64 s[20:21], s[20:21]
; %bb.216:
	v_mov_b32_e32 v18, v19
; %bb.217:
	s_or_b64 exec, exec, s[20:21]
.LBB55_218:
	s_or_b64 exec, exec, s[14:15]
.LBB55_219:
	s_or_b64 exec, exec, s[10:11]
	v_bfe_u32 v14, v16, 16, 1
	s_movk_i32 s10, 0x7fff
	v_add3_u32 v14, v16, v14, s10
	v_and_b32_e32 v14, 0xffff0000, v14
	v_mov_b32_e32 v15, 0x7fc00000
	v_cmp_o_f32_e32 vcc, v16, v16
	v_cndmask_b32_e32 v14, v15, v14, vcc
	v_trunc_f32_e32 v14, v14
	s_mov_b32 s10, 0x2f800000
	v_mul_f32_e64 v15, |v14|, s10
	v_floor_f32_e32 v15, v15
	s_mov_b32 s10, 0xcf800000
	v_fma_f32 v16, v15, s10, |v14|
	v_cvt_u32_f32_e32 v16, v16
	v_cvt_u32_f32_e32 v15, v15
	v_ashrrev_i32_e32 v19, 31, v14
	v_xor_b32_e32 v14, v16, v19
	v_xor_b32_e32 v15, v15, v19
	v_sub_co_u32_e32 v14, vcc, v14, v19
	v_subb_co_u32_e32 v15, vcc, v15, v19, vcc
	v_cmp_lt_i64_e32 vcc, -1, v[14:15]
	v_mov_b32_e32 v16, 0
	s_and_saveexec_b64 s[10:11], vcc
	s_cbranch_execz .LBB55_231
; %bb.220:
	v_cmp_lt_i64_e32 vcc, 0, v[14:15]
	v_mov_b32_e32 v16, 1.0
	s_and_saveexec_b64 s[14:15], vcc
	s_cbranch_execz .LBB55_230
; %bb.221:
	s_waitcnt vmcnt(3)
	v_lshlrev_b32_e32 v19, 16, v41
	v_cmp_ne_u64_e32 vcc, 1, v[14:15]
                                        ; implicit-def: $vgpr16
	s_and_saveexec_b64 s[20:21], vcc
	s_xor_b64 s[20:21], exec, s[20:21]
	s_cbranch_execz .LBB55_227
; %bb.222:
	s_mov_b64 s[22:23], 0x81
	v_cmp_gt_u64_e32 vcc, s[22:23], v[14:15]
	v_mov_b32_e32 v16, 0x7fc00000
	s_and_saveexec_b64 s[22:23], vcc
	s_cbranch_execz .LBB55_226
; %bb.223:
	s_mov_b64 s[26:27], 1
	s_mov_b64 s[24:25], 0
	v_mov_b32_e32 v40, 1.0
	v_mov_b32_e32 v16, v19
.LBB55_224:                             ; =>This Inner Loop Header: Depth=1
	s_flbit_i32_b32 s28, s27
	s_min_u32 s30, s28, 32
	s_lshl_b64 s[28:29], s[26:27], s30
	s_min_u32 s28, s28, 1
	s_or_b32 s28, s29, s28
	v_cvt_f32_u32_e32 v42, s28
	s_sub_i32 s30, 32, s30
	s_add_u32 s26, s26, 1
	s_addc_u32 s27, s27, 0
	v_ldexp_f32 v42, v42, s30
	v_cmp_eq_u64_e32 vcc, s[26:27], v[14:15]
	v_mul_f32_e32 v42, v40, v42
	s_or_b64 s[24:25], vcc, s[24:25]
	v_mov_b32_e32 v40, v16
	v_fma_f32 v16, v16, v19, -v42
	s_andn2_b64 exec, exec, s[24:25]
	s_cbranch_execnz .LBB55_224
; %bb.225:
	s_or_b64 exec, exec, s[24:25]
.LBB55_226:
	s_or_b64 exec, exec, s[22:23]
                                        ; implicit-def: $vgpr19
.LBB55_227:
	s_andn2_saveexec_b64 s[20:21], s[20:21]
; %bb.228:
	v_mov_b32_e32 v16, v19
; %bb.229:
	s_or_b64 exec, exec, s[20:21]
.LBB55_230:
	s_or_b64 exec, exec, s[14:15]
.LBB55_231:
	s_or_b64 exec, exec, s[10:11]
	v_bfe_u32 v14, v17, 16, 1
	s_movk_i32 s10, 0x7fff
	v_add3_u32 v14, v17, v14, s10
	v_and_b32_e32 v14, 0xffff0000, v14
	v_mov_b32_e32 v15, 0x7fc00000
	v_cmp_o_f32_e32 vcc, v17, v17
	v_cndmask_b32_e32 v14, v15, v14, vcc
	v_trunc_f32_e32 v14, v14
	s_mov_b32 s10, 0x2f800000
	v_mul_f32_e64 v15, |v14|, s10
	v_floor_f32_e32 v15, v15
	s_mov_b32 s10, 0xcf800000
	v_fma_f32 v17, v15, s10, |v14|
	v_cvt_u32_f32_e32 v17, v17
	v_cvt_u32_f32_e32 v15, v15
	v_ashrrev_i32_e32 v19, 31, v14
	v_xor_b32_e32 v14, v17, v19
	v_xor_b32_e32 v15, v15, v19
	v_sub_co_u32_e32 v14, vcc, v14, v19
	v_subb_co_u32_e32 v15, vcc, v15, v19, vcc
	v_cmp_lt_i64_e32 vcc, -1, v[14:15]
	v_mov_b32_e32 v17, 0
	s_and_saveexec_b64 s[10:11], vcc
	s_cbranch_execz .LBB55_243
; %bb.232:
	v_cmp_lt_i64_e32 vcc, 0, v[14:15]
	v_mov_b32_e32 v17, 1.0
	s_and_saveexec_b64 s[14:15], vcc
	s_cbranch_execz .LBB55_242
; %bb.233:
	s_waitcnt vmcnt(3)
	v_and_b32_e32 v19, 0xffff0000, v41
	v_cmp_ne_u64_e32 vcc, 1, v[14:15]
                                        ; implicit-def: $vgpr17
	s_and_saveexec_b64 s[20:21], vcc
	s_xor_b64 s[20:21], exec, s[20:21]
	s_cbranch_execz .LBB55_239
; %bb.234:
	s_mov_b64 s[22:23], 0x81
	v_cmp_gt_u64_e32 vcc, s[22:23], v[14:15]
	v_mov_b32_e32 v17, 0x7fc00000
	s_and_saveexec_b64 s[22:23], vcc
	s_cbranch_execz .LBB55_238
; %bb.235:
	s_mov_b64 s[26:27], 1
	s_mov_b64 s[24:25], 0
	v_mov_b32_e32 v40, 1.0
	v_mov_b32_e32 v17, v19
.LBB55_236:                             ; =>This Inner Loop Header: Depth=1
	s_flbit_i32_b32 s28, s27
	s_min_u32 s30, s28, 32
	s_lshl_b64 s[28:29], s[26:27], s30
	s_min_u32 s28, s28, 1
	s_or_b32 s28, s29, s28
	v_cvt_f32_u32_e32 v41, s28
	s_sub_i32 s30, 32, s30
	s_add_u32 s26, s26, 1
	s_addc_u32 s27, s27, 0
	v_ldexp_f32 v41, v41, s30
	v_cmp_eq_u64_e32 vcc, s[26:27], v[14:15]
	v_mul_f32_e32 v41, v40, v41
	s_or_b64 s[24:25], vcc, s[24:25]
	v_mov_b32_e32 v40, v17
	v_fma_f32 v17, v17, v19, -v41
	s_andn2_b64 exec, exec, s[24:25]
	s_cbranch_execnz .LBB55_236
; %bb.237:
	s_or_b64 exec, exec, s[24:25]
.LBB55_238:
	s_or_b64 exec, exec, s[22:23]
                                        ; implicit-def: $vgpr19
.LBB55_239:
	s_andn2_saveexec_b64 s[20:21], s[20:21]
; %bb.240:
	v_mov_b32_e32 v17, v19
; %bb.241:
	s_or_b64 exec, exec, s[20:21]
.LBB55_242:
	s_or_b64 exec, exec, s[14:15]
.LBB55_243:
	s_or_b64 exec, exec, s[10:11]
	s_waitcnt vmcnt(6)
	v_bfe_u32 v14, v10, 16, 1
	s_movk_i32 s10, 0x7fff
	v_add3_u32 v14, v10, v14, s10
	v_and_b32_e32 v14, 0xffff0000, v14
	v_mov_b32_e32 v15, 0x7fc00000
	v_cmp_o_f32_e32 vcc, v10, v10
	v_cndmask_b32_e32 v10, v15, v14, vcc
	v_trunc_f32_e32 v10, v10
	s_mov_b32 s10, 0x2f800000
	v_mul_f32_e64 v14, |v10|, s10
	v_floor_f32_e32 v14, v14
	s_mov_b32 s10, 0xcf800000
	v_fma_f32 v15, v14, s10, |v10|
	v_cvt_u32_f32_e32 v14, v14
	v_cvt_u32_f32_e32 v15, v15
	v_ashrrev_i32_e32 v10, 31, v10
	v_xor_b32_e32 v19, v14, v10
	v_xor_b32_e32 v14, v15, v10
	v_sub_co_u32_e32 v14, vcc, v14, v10
	v_subb_co_u32_e32 v15, vcc, v19, v10, vcc
	v_cmp_lt_i64_e32 vcc, -1, v[14:15]
	v_mov_b32_e32 v19, 0
	s_and_saveexec_b64 s[10:11], vcc
	s_cbranch_execz .LBB55_255
; %bb.244:
	v_cmp_lt_i64_e32 vcc, 0, v[14:15]
	v_mov_b32_e32 v19, 1.0
	s_and_saveexec_b64 s[14:15], vcc
	s_cbranch_execz .LBB55_254
; %bb.245:
	s_waitcnt vmcnt(2)
	v_lshlrev_b32_e32 v10, 16, v38
	v_cmp_ne_u64_e32 vcc, 1, v[14:15]
                                        ; implicit-def: $vgpr19
	s_and_saveexec_b64 s[20:21], vcc
	s_xor_b64 s[20:21], exec, s[20:21]
	s_cbranch_execz .LBB55_251
; %bb.246:
	s_mov_b64 s[22:23], 0x81
	v_cmp_gt_u64_e32 vcc, s[22:23], v[14:15]
	v_mov_b32_e32 v19, 0x7fc00000
	s_and_saveexec_b64 s[22:23], vcc
	s_cbranch_execz .LBB55_250
; %bb.247:
	s_mov_b64 s[26:27], 1
	s_mov_b64 s[24:25], 0
	v_mov_b32_e32 v40, 1.0
	v_mov_b32_e32 v19, v10
.LBB55_248:                             ; =>This Inner Loop Header: Depth=1
	s_flbit_i32_b32 s28, s27
	s_min_u32 s30, s28, 32
	s_lshl_b64 s[28:29], s[26:27], s30
	s_min_u32 s28, s28, 1
	s_or_b32 s28, s29, s28
	v_cvt_f32_u32_e32 v41, s28
	s_sub_i32 s30, 32, s30
	s_add_u32 s26, s26, 1
	s_addc_u32 s27, s27, 0
	v_ldexp_f32 v41, v41, s30
	v_cmp_eq_u64_e32 vcc, s[26:27], v[14:15]
	v_mul_f32_e32 v41, v40, v41
	s_or_b64 s[24:25], vcc, s[24:25]
	v_mov_b32_e32 v40, v19
	v_fma_f32 v19, v19, v10, -v41
	s_andn2_b64 exec, exec, s[24:25]
	s_cbranch_execnz .LBB55_248
; %bb.249:
	s_or_b64 exec, exec, s[24:25]
.LBB55_250:
	s_or_b64 exec, exec, s[22:23]
                                        ; implicit-def: $vgpr10
.LBB55_251:
	s_andn2_saveexec_b64 s[20:21], s[20:21]
; %bb.252:
	v_mov_b32_e32 v19, v10
; %bb.253:
	s_or_b64 exec, exec, s[20:21]
.LBB55_254:
	s_or_b64 exec, exec, s[14:15]
.LBB55_255:
	s_or_b64 exec, exec, s[10:11]
	v_bfe_u32 v10, v11, 16, 1
	s_movk_i32 s10, 0x7fff
	v_add3_u32 v10, v11, v10, s10
	v_and_b32_e32 v10, 0xffff0000, v10
	v_mov_b32_e32 v14, 0x7fc00000
	v_cmp_o_f32_e32 vcc, v11, v11
	v_cndmask_b32_e32 v10, v14, v10, vcc
	v_trunc_f32_e32 v10, v10
	s_mov_b32 s10, 0x2f800000
	v_mul_f32_e64 v11, |v10|, s10
	v_floor_f32_e32 v11, v11
	s_mov_b32 s10, 0xcf800000
	v_fma_f32 v14, v11, s10, |v10|
	v_cvt_u32_f32_e32 v14, v14
	v_cvt_u32_f32_e32 v11, v11
	v_ashrrev_i32_e32 v15, 31, v10
	v_xor_b32_e32 v10, v14, v15
	v_xor_b32_e32 v11, v11, v15
	v_sub_co_u32_e32 v10, vcc, v10, v15
	v_subb_co_u32_e32 v11, vcc, v11, v15, vcc
	v_cmp_lt_i64_e32 vcc, -1, v[10:11]
	v_mov_b32_e32 v14, 0
	s_and_saveexec_b64 s[10:11], vcc
	s_cbranch_execz .LBB55_267
; %bb.256:
	v_cmp_lt_i64_e32 vcc, 0, v[10:11]
	v_mov_b32_e32 v14, 1.0
	s_and_saveexec_b64 s[14:15], vcc
	s_cbranch_execz .LBB55_266
; %bb.257:
	s_waitcnt vmcnt(2)
	v_and_b32_e32 v15, 0xffff0000, v38
	v_cmp_ne_u64_e32 vcc, 1, v[10:11]
                                        ; implicit-def: $vgpr14
	s_and_saveexec_b64 s[20:21], vcc
	s_xor_b64 s[20:21], exec, s[20:21]
	s_cbranch_execz .LBB55_263
; %bb.258:
	s_mov_b64 s[22:23], 0x81
	v_cmp_gt_u64_e32 vcc, s[22:23], v[10:11]
	v_mov_b32_e32 v14, 0x7fc00000
	s_and_saveexec_b64 s[22:23], vcc
	s_cbranch_execz .LBB55_262
; %bb.259:
	s_mov_b64 s[26:27], 1
	s_mov_b64 s[24:25], 0
	v_mov_b32_e32 v38, 1.0
	v_mov_b32_e32 v14, v15
.LBB55_260:                             ; =>This Inner Loop Header: Depth=1
	s_flbit_i32_b32 s28, s27
	s_min_u32 s30, s28, 32
	s_lshl_b64 s[28:29], s[26:27], s30
	s_min_u32 s28, s28, 1
	s_or_b32 s28, s29, s28
	v_cvt_f32_u32_e32 v40, s28
	s_sub_i32 s30, 32, s30
	s_add_u32 s26, s26, 1
	s_addc_u32 s27, s27, 0
	v_ldexp_f32 v40, v40, s30
	v_cmp_eq_u64_e32 vcc, s[26:27], v[10:11]
	v_mul_f32_e32 v40, v38, v40
	s_or_b64 s[24:25], vcc, s[24:25]
	v_mov_b32_e32 v38, v14
	v_fma_f32 v14, v14, v15, -v40
	s_andn2_b64 exec, exec, s[24:25]
	s_cbranch_execnz .LBB55_260
; %bb.261:
	s_or_b64 exec, exec, s[24:25]
.LBB55_262:
	s_or_b64 exec, exec, s[22:23]
                                        ; implicit-def: $vgpr15
.LBB55_263:
	s_andn2_saveexec_b64 s[20:21], s[20:21]
; %bb.264:
	v_mov_b32_e32 v14, v15
; %bb.265:
	s_or_b64 exec, exec, s[20:21]
.LBB55_266:
	s_or_b64 exec, exec, s[14:15]
.LBB55_267:
	s_or_b64 exec, exec, s[10:11]
	v_bfe_u32 v10, v12, 16, 1
	s_movk_i32 s10, 0x7fff
	v_add3_u32 v10, v12, v10, s10
	v_and_b32_e32 v10, 0xffff0000, v10
	v_mov_b32_e32 v11, 0x7fc00000
	v_cmp_o_f32_e32 vcc, v12, v12
	v_cndmask_b32_e32 v10, v11, v10, vcc
	v_trunc_f32_e32 v10, v10
	s_mov_b32 s10, 0x2f800000
	v_mul_f32_e64 v11, |v10|, s10
	v_floor_f32_e32 v11, v11
	s_mov_b32 s10, 0xcf800000
	v_fma_f32 v12, v11, s10, |v10|
	v_cvt_u32_f32_e32 v12, v12
	v_cvt_u32_f32_e32 v11, v11
	v_ashrrev_i32_e32 v15, 31, v10
	v_xor_b32_e32 v10, v12, v15
	v_xor_b32_e32 v11, v11, v15
	v_sub_co_u32_e32 v10, vcc, v10, v15
	v_subb_co_u32_e32 v11, vcc, v11, v15, vcc
	v_cmp_lt_i64_e32 vcc, -1, v[10:11]
	v_mov_b32_e32 v12, 0
	s_and_saveexec_b64 s[10:11], vcc
	s_cbranch_execz .LBB55_279
; %bb.268:
	v_cmp_lt_i64_e32 vcc, 0, v[10:11]
	v_mov_b32_e32 v12, 1.0
	s_and_saveexec_b64 s[14:15], vcc
	s_cbranch_execz .LBB55_278
; %bb.269:
	s_waitcnt vmcnt(2)
	v_lshlrev_b32_e32 v15, 16, v39
	v_cmp_ne_u64_e32 vcc, 1, v[10:11]
                                        ; implicit-def: $vgpr12
	s_and_saveexec_b64 s[20:21], vcc
	s_xor_b64 s[20:21], exec, s[20:21]
	s_cbranch_execz .LBB55_275
; %bb.270:
	s_mov_b64 s[22:23], 0x81
	v_cmp_gt_u64_e32 vcc, s[22:23], v[10:11]
	v_mov_b32_e32 v12, 0x7fc00000
	s_and_saveexec_b64 s[22:23], vcc
	s_cbranch_execz .LBB55_274
; %bb.271:
	s_mov_b64 s[26:27], 1
	s_mov_b64 s[24:25], 0
	v_mov_b32_e32 v38, 1.0
	v_mov_b32_e32 v12, v15
.LBB55_272:                             ; =>This Inner Loop Header: Depth=1
	s_flbit_i32_b32 s28, s27
	s_min_u32 s30, s28, 32
	s_lshl_b64 s[28:29], s[26:27], s30
	s_min_u32 s28, s28, 1
	s_or_b32 s28, s29, s28
	v_cvt_f32_u32_e32 v40, s28
	s_sub_i32 s30, 32, s30
	s_add_u32 s26, s26, 1
	s_addc_u32 s27, s27, 0
	v_ldexp_f32 v40, v40, s30
	v_cmp_eq_u64_e32 vcc, s[26:27], v[10:11]
	v_mul_f32_e32 v40, v38, v40
	s_or_b64 s[24:25], vcc, s[24:25]
	v_mov_b32_e32 v38, v12
	v_fma_f32 v12, v12, v15, -v40
	s_andn2_b64 exec, exec, s[24:25]
	s_cbranch_execnz .LBB55_272
; %bb.273:
	s_or_b64 exec, exec, s[24:25]
.LBB55_274:
	s_or_b64 exec, exec, s[22:23]
                                        ; implicit-def: $vgpr15
.LBB55_275:
	s_andn2_saveexec_b64 s[20:21], s[20:21]
; %bb.276:
	v_mov_b32_e32 v12, v15
; %bb.277:
	s_or_b64 exec, exec, s[20:21]
.LBB55_278:
	s_or_b64 exec, exec, s[14:15]
.LBB55_279:
	s_or_b64 exec, exec, s[10:11]
	v_bfe_u32 v10, v13, 16, 1
	s_movk_i32 s10, 0x7fff
	v_add3_u32 v10, v13, v10, s10
	v_and_b32_e32 v10, 0xffff0000, v10
	v_mov_b32_e32 v11, 0x7fc00000
	v_cmp_o_f32_e32 vcc, v13, v13
	v_cndmask_b32_e32 v10, v11, v10, vcc
	v_trunc_f32_e32 v10, v10
	s_mov_b32 s10, 0x2f800000
	v_mul_f32_e64 v11, |v10|, s10
	v_floor_f32_e32 v11, v11
	s_mov_b32 s10, 0xcf800000
	v_fma_f32 v13, v11, s10, |v10|
	v_cvt_u32_f32_e32 v13, v13
	v_cvt_u32_f32_e32 v11, v11
	v_ashrrev_i32_e32 v15, 31, v10
	v_xor_b32_e32 v10, v13, v15
	v_xor_b32_e32 v11, v11, v15
	v_sub_co_u32_e32 v10, vcc, v10, v15
	v_subb_co_u32_e32 v11, vcc, v11, v15, vcc
	v_cmp_lt_i64_e32 vcc, -1, v[10:11]
	v_mov_b32_e32 v13, 0
	s_and_saveexec_b64 s[10:11], vcc
	s_cbranch_execz .LBB55_291
; %bb.280:
	v_cmp_lt_i64_e32 vcc, 0, v[10:11]
	v_mov_b32_e32 v13, 1.0
	s_and_saveexec_b64 s[14:15], vcc
	s_cbranch_execz .LBB55_290
; %bb.281:
	s_waitcnt vmcnt(2)
	v_and_b32_e32 v15, 0xffff0000, v39
	v_cmp_ne_u64_e32 vcc, 1, v[10:11]
                                        ; implicit-def: $vgpr13
	s_and_saveexec_b64 s[20:21], vcc
	s_xor_b64 s[20:21], exec, s[20:21]
	s_cbranch_execz .LBB55_287
; %bb.282:
	s_mov_b64 s[22:23], 0x81
	v_cmp_gt_u64_e32 vcc, s[22:23], v[10:11]
	v_mov_b32_e32 v13, 0x7fc00000
	s_and_saveexec_b64 s[22:23], vcc
	s_cbranch_execz .LBB55_286
; %bb.283:
	s_mov_b64 s[26:27], 1
	s_mov_b64 s[24:25], 0
	v_mov_b32_e32 v38, 1.0
	v_mov_b32_e32 v13, v15
.LBB55_284:                             ; =>This Inner Loop Header: Depth=1
	s_flbit_i32_b32 s28, s27
	s_min_u32 s30, s28, 32
	s_lshl_b64 s[28:29], s[26:27], s30
	s_min_u32 s28, s28, 1
	s_or_b32 s28, s29, s28
	v_cvt_f32_u32_e32 v39, s28
	s_sub_i32 s30, 32, s30
	s_add_u32 s26, s26, 1
	s_addc_u32 s27, s27, 0
	v_ldexp_f32 v39, v39, s30
	v_cmp_eq_u64_e32 vcc, s[26:27], v[10:11]
	v_mul_f32_e32 v39, v38, v39
	s_or_b64 s[24:25], vcc, s[24:25]
	v_mov_b32_e32 v38, v13
	v_fma_f32 v13, v13, v15, -v39
	s_andn2_b64 exec, exec, s[24:25]
	s_cbranch_execnz .LBB55_284
; %bb.285:
	s_or_b64 exec, exec, s[24:25]
.LBB55_286:
	s_or_b64 exec, exec, s[22:23]
                                        ; implicit-def: $vgpr15
.LBB55_287:
	s_andn2_saveexec_b64 s[20:21], s[20:21]
; %bb.288:
	v_mov_b32_e32 v13, v15
; %bb.289:
	s_or_b64 exec, exec, s[20:21]
.LBB55_290:
	s_or_b64 exec, exec, s[14:15]
.LBB55_291:
	s_or_b64 exec, exec, s[10:11]
	s_waitcnt vmcnt(5)
	v_bfe_u32 v10, v6, 16, 1
	s_movk_i32 s10, 0x7fff
	v_add3_u32 v10, v6, v10, s10
	v_and_b32_e32 v10, 0xffff0000, v10
	v_mov_b32_e32 v11, 0x7fc00000
	v_cmp_o_f32_e32 vcc, v6, v6
	v_cndmask_b32_e32 v6, v11, v10, vcc
	v_trunc_f32_e32 v6, v6
	s_mov_b32 s10, 0x2f800000
	v_mul_f32_e64 v10, |v6|, s10
	v_floor_f32_e32 v10, v10
	s_mov_b32 s10, 0xcf800000
	v_fma_f32 v11, v10, s10, |v6|
	v_cvt_u32_f32_e32 v10, v10
	v_cvt_u32_f32_e32 v11, v11
	v_ashrrev_i32_e32 v6, 31, v6
	v_xor_b32_e32 v15, v10, v6
	v_xor_b32_e32 v10, v11, v6
	v_sub_co_u32_e32 v10, vcc, v10, v6
	v_subb_co_u32_e32 v11, vcc, v15, v6, vcc
	v_cmp_lt_i64_e32 vcc, -1, v[10:11]
	v_mov_b32_e32 v15, 0
	s_and_saveexec_b64 s[10:11], vcc
	s_cbranch_execz .LBB55_303
; %bb.292:
	v_cmp_lt_i64_e32 vcc, 0, v[10:11]
	v_mov_b32_e32 v15, 1.0
	s_and_saveexec_b64 s[14:15], vcc
	s_cbranch_execz .LBB55_302
; %bb.293:
	s_waitcnt vmcnt(1)
	v_lshlrev_b32_e32 v6, 16, v36
	v_cmp_ne_u64_e32 vcc, 1, v[10:11]
                                        ; implicit-def: $vgpr15
	s_and_saveexec_b64 s[20:21], vcc
	s_xor_b64 s[20:21], exec, s[20:21]
	s_cbranch_execz .LBB55_299
; %bb.294:
	s_mov_b64 s[22:23], 0x81
	v_cmp_gt_u64_e32 vcc, s[22:23], v[10:11]
	v_mov_b32_e32 v15, 0x7fc00000
	s_and_saveexec_b64 s[22:23], vcc
	s_cbranch_execz .LBB55_298
; %bb.295:
	s_mov_b64 s[26:27], 1
	s_mov_b64 s[24:25], 0
	v_mov_b32_e32 v38, 1.0
	v_mov_b32_e32 v15, v6
.LBB55_296:                             ; =>This Inner Loop Header: Depth=1
	s_flbit_i32_b32 s28, s27
	s_min_u32 s30, s28, 32
	s_lshl_b64 s[28:29], s[26:27], s30
	s_min_u32 s28, s28, 1
	s_or_b32 s28, s29, s28
	v_cvt_f32_u32_e32 v39, s28
	s_sub_i32 s30, 32, s30
	s_add_u32 s26, s26, 1
	s_addc_u32 s27, s27, 0
	v_ldexp_f32 v39, v39, s30
	v_cmp_eq_u64_e32 vcc, s[26:27], v[10:11]
	v_mul_f32_e32 v39, v38, v39
	s_or_b64 s[24:25], vcc, s[24:25]
	v_mov_b32_e32 v38, v15
	v_fma_f32 v15, v15, v6, -v39
	s_andn2_b64 exec, exec, s[24:25]
	s_cbranch_execnz .LBB55_296
; %bb.297:
	s_or_b64 exec, exec, s[24:25]
.LBB55_298:
	s_or_b64 exec, exec, s[22:23]
                                        ; implicit-def: $vgpr6
.LBB55_299:
	s_andn2_saveexec_b64 s[20:21], s[20:21]
; %bb.300:
	v_mov_b32_e32 v15, v6
; %bb.301:
	s_or_b64 exec, exec, s[20:21]
.LBB55_302:
	s_or_b64 exec, exec, s[14:15]
.LBB55_303:
	s_or_b64 exec, exec, s[10:11]
	v_bfe_u32 v6, v7, 16, 1
	s_movk_i32 s10, 0x7fff
	v_add3_u32 v6, v7, v6, s10
	v_and_b32_e32 v6, 0xffff0000, v6
	v_mov_b32_e32 v10, 0x7fc00000
	v_cmp_o_f32_e32 vcc, v7, v7
	v_cndmask_b32_e32 v6, v10, v6, vcc
	v_trunc_f32_e32 v6, v6
	s_mov_b32 s10, 0x2f800000
	v_mul_f32_e64 v7, |v6|, s10
	v_floor_f32_e32 v7, v7
	s_mov_b32 s10, 0xcf800000
	v_fma_f32 v10, v7, s10, |v6|
	v_cvt_u32_f32_e32 v10, v10
	v_cvt_u32_f32_e32 v7, v7
	v_ashrrev_i32_e32 v11, 31, v6
	v_xor_b32_e32 v6, v10, v11
	v_xor_b32_e32 v7, v7, v11
	v_sub_co_u32_e32 v6, vcc, v6, v11
	v_subb_co_u32_e32 v7, vcc, v7, v11, vcc
	v_cmp_lt_i64_e32 vcc, -1, v[6:7]
	v_mov_b32_e32 v10, 0
	s_and_saveexec_b64 s[10:11], vcc
	s_cbranch_execz .LBB55_315
; %bb.304:
	v_cmp_lt_i64_e32 vcc, 0, v[6:7]
	v_mov_b32_e32 v10, 1.0
	s_and_saveexec_b64 s[14:15], vcc
	s_cbranch_execz .LBB55_314
; %bb.305:
	s_waitcnt vmcnt(1)
	v_and_b32_e32 v11, 0xffff0000, v36
	v_cmp_ne_u64_e32 vcc, 1, v[6:7]
                                        ; implicit-def: $vgpr10
	s_and_saveexec_b64 s[20:21], vcc
	s_xor_b64 s[20:21], exec, s[20:21]
	s_cbranch_execz .LBB55_311
; %bb.306:
	s_mov_b64 s[22:23], 0x81
	v_cmp_gt_u64_e32 vcc, s[22:23], v[6:7]
	v_mov_b32_e32 v10, 0x7fc00000
	s_and_saveexec_b64 s[22:23], vcc
	s_cbranch_execz .LBB55_310
; %bb.307:
	s_mov_b64 s[26:27], 1
	s_mov_b64 s[24:25], 0
	v_mov_b32_e32 v36, 1.0
	v_mov_b32_e32 v10, v11
.LBB55_308:                             ; =>This Inner Loop Header: Depth=1
	s_flbit_i32_b32 s28, s27
	s_min_u32 s30, s28, 32
	s_lshl_b64 s[28:29], s[26:27], s30
	s_min_u32 s28, s28, 1
	s_or_b32 s28, s29, s28
	v_cvt_f32_u32_e32 v38, s28
	s_sub_i32 s30, 32, s30
	s_add_u32 s26, s26, 1
	s_addc_u32 s27, s27, 0
	v_ldexp_f32 v38, v38, s30
	v_cmp_eq_u64_e32 vcc, s[26:27], v[6:7]
	v_mul_f32_e32 v38, v36, v38
	s_or_b64 s[24:25], vcc, s[24:25]
	v_mov_b32_e32 v36, v10
	v_fma_f32 v10, v10, v11, -v38
	s_andn2_b64 exec, exec, s[24:25]
	s_cbranch_execnz .LBB55_308
; %bb.309:
	s_or_b64 exec, exec, s[24:25]
.LBB55_310:
	s_or_b64 exec, exec, s[22:23]
                                        ; implicit-def: $vgpr11
.LBB55_311:
	s_andn2_saveexec_b64 s[20:21], s[20:21]
; %bb.312:
	v_mov_b32_e32 v10, v11
; %bb.313:
	s_or_b64 exec, exec, s[20:21]
.LBB55_314:
	s_or_b64 exec, exec, s[14:15]
.LBB55_315:
	s_or_b64 exec, exec, s[10:11]
	v_bfe_u32 v6, v8, 16, 1
	s_movk_i32 s10, 0x7fff
	v_add3_u32 v6, v8, v6, s10
	v_and_b32_e32 v6, 0xffff0000, v6
	v_mov_b32_e32 v7, 0x7fc00000
	v_cmp_o_f32_e32 vcc, v8, v8
	v_cndmask_b32_e32 v6, v7, v6, vcc
	v_trunc_f32_e32 v6, v6
	s_mov_b32 s10, 0x2f800000
	v_mul_f32_e64 v7, |v6|, s10
	v_floor_f32_e32 v7, v7
	s_mov_b32 s10, 0xcf800000
	v_fma_f32 v8, v7, s10, |v6|
	v_cvt_u32_f32_e32 v8, v8
	v_cvt_u32_f32_e32 v7, v7
	v_ashrrev_i32_e32 v11, 31, v6
	v_xor_b32_e32 v6, v8, v11
	v_xor_b32_e32 v7, v7, v11
	v_sub_co_u32_e32 v6, vcc, v6, v11
	v_subb_co_u32_e32 v7, vcc, v7, v11, vcc
	v_cmp_lt_i64_e32 vcc, -1, v[6:7]
	v_mov_b32_e32 v8, 0
	s_and_saveexec_b64 s[10:11], vcc
	s_cbranch_execz .LBB55_327
; %bb.316:
	v_cmp_lt_i64_e32 vcc, 0, v[6:7]
	v_mov_b32_e32 v8, 1.0
	s_and_saveexec_b64 s[14:15], vcc
	s_cbranch_execz .LBB55_326
; %bb.317:
	s_waitcnt vmcnt(1)
	v_lshlrev_b32_e32 v11, 16, v37
	v_cmp_ne_u64_e32 vcc, 1, v[6:7]
                                        ; implicit-def: $vgpr8
	s_and_saveexec_b64 s[20:21], vcc
	s_xor_b64 s[20:21], exec, s[20:21]
	s_cbranch_execz .LBB55_323
; %bb.318:
	s_mov_b64 s[22:23], 0x81
	v_cmp_gt_u64_e32 vcc, s[22:23], v[6:7]
	v_mov_b32_e32 v8, 0x7fc00000
	s_and_saveexec_b64 s[22:23], vcc
	s_cbranch_execz .LBB55_322
; %bb.319:
	s_mov_b64 s[26:27], 1
	s_mov_b64 s[24:25], 0
	v_mov_b32_e32 v36, 1.0
	v_mov_b32_e32 v8, v11
.LBB55_320:                             ; =>This Inner Loop Header: Depth=1
	s_flbit_i32_b32 s28, s27
	s_min_u32 s30, s28, 32
	s_lshl_b64 s[28:29], s[26:27], s30
	s_min_u32 s28, s28, 1
	s_or_b32 s28, s29, s28
	v_cvt_f32_u32_e32 v38, s28
	s_sub_i32 s30, 32, s30
	s_add_u32 s26, s26, 1
	s_addc_u32 s27, s27, 0
	v_ldexp_f32 v38, v38, s30
	v_cmp_eq_u64_e32 vcc, s[26:27], v[6:7]
	v_mul_f32_e32 v38, v36, v38
	s_or_b64 s[24:25], vcc, s[24:25]
	v_mov_b32_e32 v36, v8
	v_fma_f32 v8, v8, v11, -v38
	s_andn2_b64 exec, exec, s[24:25]
	s_cbranch_execnz .LBB55_320
; %bb.321:
	s_or_b64 exec, exec, s[24:25]
.LBB55_322:
	s_or_b64 exec, exec, s[22:23]
                                        ; implicit-def: $vgpr11
.LBB55_323:
	s_andn2_saveexec_b64 s[20:21], s[20:21]
; %bb.324:
	v_mov_b32_e32 v8, v11
; %bb.325:
	s_or_b64 exec, exec, s[20:21]
.LBB55_326:
	s_or_b64 exec, exec, s[14:15]
.LBB55_327:
	s_or_b64 exec, exec, s[10:11]
	v_bfe_u32 v6, v9, 16, 1
	s_movk_i32 s10, 0x7fff
	v_add3_u32 v6, v9, v6, s10
	v_and_b32_e32 v6, 0xffff0000, v6
	v_mov_b32_e32 v7, 0x7fc00000
	v_cmp_o_f32_e32 vcc, v9, v9
	v_cndmask_b32_e32 v6, v7, v6, vcc
	v_trunc_f32_e32 v6, v6
	s_mov_b32 s10, 0x2f800000
	v_mul_f32_e64 v7, |v6|, s10
	v_floor_f32_e32 v7, v7
	s_mov_b32 s10, 0xcf800000
	v_fma_f32 v9, v7, s10, |v6|
	v_cvt_u32_f32_e32 v9, v9
	v_cvt_u32_f32_e32 v7, v7
	v_ashrrev_i32_e32 v11, 31, v6
	v_xor_b32_e32 v6, v9, v11
	v_xor_b32_e32 v7, v7, v11
	v_sub_co_u32_e32 v6, vcc, v6, v11
	v_subb_co_u32_e32 v7, vcc, v7, v11, vcc
	v_cmp_lt_i64_e32 vcc, -1, v[6:7]
	v_mov_b32_e32 v9, 0
	s_and_saveexec_b64 s[10:11], vcc
	s_cbranch_execz .LBB55_339
; %bb.328:
	v_cmp_lt_i64_e32 vcc, 0, v[6:7]
	v_mov_b32_e32 v9, 1.0
	s_and_saveexec_b64 s[14:15], vcc
	s_cbranch_execz .LBB55_338
; %bb.329:
	s_waitcnt vmcnt(1)
	v_and_b32_e32 v11, 0xffff0000, v37
	v_cmp_ne_u64_e32 vcc, 1, v[6:7]
                                        ; implicit-def: $vgpr9
	s_and_saveexec_b64 s[20:21], vcc
	s_xor_b64 s[20:21], exec, s[20:21]
	s_cbranch_execz .LBB55_335
; %bb.330:
	s_mov_b64 s[22:23], 0x81
	v_cmp_gt_u64_e32 vcc, s[22:23], v[6:7]
	v_mov_b32_e32 v9, 0x7fc00000
	s_and_saveexec_b64 s[22:23], vcc
	s_cbranch_execz .LBB55_334
; %bb.331:
	s_mov_b64 s[26:27], 1
	s_mov_b64 s[24:25], 0
	v_mov_b32_e32 v36, 1.0
	v_mov_b32_e32 v9, v11
.LBB55_332:                             ; =>This Inner Loop Header: Depth=1
	s_flbit_i32_b32 s28, s27
	s_min_u32 s30, s28, 32
	s_lshl_b64 s[28:29], s[26:27], s30
	s_min_u32 s28, s28, 1
	s_or_b32 s28, s29, s28
	v_cvt_f32_u32_e32 v37, s28
	s_sub_i32 s30, 32, s30
	s_add_u32 s26, s26, 1
	s_addc_u32 s27, s27, 0
	v_ldexp_f32 v37, v37, s30
	v_cmp_eq_u64_e32 vcc, s[26:27], v[6:7]
	v_mul_f32_e32 v37, v36, v37
	s_or_b64 s[24:25], vcc, s[24:25]
	v_mov_b32_e32 v36, v9
	v_fma_f32 v9, v9, v11, -v37
	s_andn2_b64 exec, exec, s[24:25]
	s_cbranch_execnz .LBB55_332
; %bb.333:
	s_or_b64 exec, exec, s[24:25]
.LBB55_334:
	s_or_b64 exec, exec, s[22:23]
                                        ; implicit-def: $vgpr11
.LBB55_335:
	s_andn2_saveexec_b64 s[20:21], s[20:21]
; %bb.336:
	v_mov_b32_e32 v9, v11
; %bb.337:
	s_or_b64 exec, exec, s[20:21]
.LBB55_338:
	s_or_b64 exec, exec, s[14:15]
.LBB55_339:
	s_or_b64 exec, exec, s[10:11]
	s_waitcnt vmcnt(4)
	v_bfe_u32 v6, v2, 16, 1
	s_movk_i32 s10, 0x7fff
	v_add3_u32 v6, v2, v6, s10
	v_and_b32_e32 v6, 0xffff0000, v6
	v_mov_b32_e32 v7, 0x7fc00000
	v_cmp_o_f32_e32 vcc, v2, v2
	v_cndmask_b32_e32 v2, v7, v6, vcc
	v_trunc_f32_e32 v2, v2
	s_mov_b32 s10, 0x2f800000
	v_mul_f32_e64 v6, |v2|, s10
	v_floor_f32_e32 v6, v6
	s_mov_b32 s10, 0xcf800000
	v_fma_f32 v7, v6, s10, |v2|
	v_cvt_u32_f32_e32 v6, v6
	v_cvt_u32_f32_e32 v7, v7
	v_ashrrev_i32_e32 v2, 31, v2
	v_xor_b32_e32 v11, v6, v2
	v_xor_b32_e32 v6, v7, v2
	v_sub_co_u32_e32 v6, vcc, v6, v2
	v_subb_co_u32_e32 v7, vcc, v11, v2, vcc
	v_cmp_lt_i64_e32 vcc, -1, v[6:7]
	v_mov_b32_e32 v11, 0
	s_and_saveexec_b64 s[10:11], vcc
	s_cbranch_execz .LBB55_351
; %bb.340:
	v_cmp_lt_i64_e32 vcc, 0, v[6:7]
	v_mov_b32_e32 v11, 1.0
	s_and_saveexec_b64 s[14:15], vcc
	s_cbranch_execz .LBB55_350
; %bb.341:
	s_waitcnt vmcnt(0)
	v_lshlrev_b32_e32 v2, 16, v34
	v_cmp_ne_u64_e32 vcc, 1, v[6:7]
                                        ; implicit-def: $vgpr11
	s_and_saveexec_b64 s[20:21], vcc
	s_xor_b64 s[20:21], exec, s[20:21]
	s_cbranch_execz .LBB55_347
; %bb.342:
	s_mov_b64 s[22:23], 0x81
	v_cmp_gt_u64_e32 vcc, s[22:23], v[6:7]
	v_mov_b32_e32 v11, 0x7fc00000
	s_and_saveexec_b64 s[22:23], vcc
	s_cbranch_execz .LBB55_346
; %bb.343:
	s_mov_b64 s[26:27], 1
	s_mov_b64 s[24:25], 0
	v_mov_b32_e32 v36, 1.0
	v_mov_b32_e32 v11, v2
.LBB55_344:                             ; =>This Inner Loop Header: Depth=1
	s_flbit_i32_b32 s28, s27
	s_min_u32 s30, s28, 32
	s_lshl_b64 s[28:29], s[26:27], s30
	s_min_u32 s28, s28, 1
	s_or_b32 s28, s29, s28
	v_cvt_f32_u32_e32 v37, s28
	s_sub_i32 s30, 32, s30
	s_add_u32 s26, s26, 1
	s_addc_u32 s27, s27, 0
	v_ldexp_f32 v37, v37, s30
	v_cmp_eq_u64_e32 vcc, s[26:27], v[6:7]
	v_mul_f32_e32 v37, v36, v37
	s_or_b64 s[24:25], vcc, s[24:25]
	v_mov_b32_e32 v36, v11
	v_fma_f32 v11, v11, v2, -v37
	s_andn2_b64 exec, exec, s[24:25]
	s_cbranch_execnz .LBB55_344
; %bb.345:
	s_or_b64 exec, exec, s[24:25]
.LBB55_346:
	s_or_b64 exec, exec, s[22:23]
                                        ; implicit-def: $vgpr2
.LBB55_347:
	s_andn2_saveexec_b64 s[20:21], s[20:21]
; %bb.348:
	v_mov_b32_e32 v11, v2
; %bb.349:
	s_or_b64 exec, exec, s[20:21]
.LBB55_350:
	s_or_b64 exec, exec, s[14:15]
.LBB55_351:
	s_or_b64 exec, exec, s[10:11]
	v_bfe_u32 v2, v3, 16, 1
	s_movk_i32 s10, 0x7fff
	v_add3_u32 v2, v3, v2, s10
	v_and_b32_e32 v2, 0xffff0000, v2
	v_mov_b32_e32 v6, 0x7fc00000
	v_cmp_o_f32_e32 vcc, v3, v3
	v_cndmask_b32_e32 v2, v6, v2, vcc
	v_trunc_f32_e32 v2, v2
	s_mov_b32 s10, 0x2f800000
	v_mul_f32_e64 v3, |v2|, s10
	v_floor_f32_e32 v3, v3
	s_mov_b32 s10, 0xcf800000
	v_fma_f32 v6, v3, s10, |v2|
	v_cvt_u32_f32_e32 v6, v6
	v_cvt_u32_f32_e32 v3, v3
	v_ashrrev_i32_e32 v7, 31, v2
	v_xor_b32_e32 v2, v6, v7
	v_xor_b32_e32 v3, v3, v7
	v_sub_co_u32_e32 v2, vcc, v2, v7
	v_subb_co_u32_e32 v3, vcc, v3, v7, vcc
	v_cmp_lt_i64_e32 vcc, -1, v[2:3]
	v_mov_b32_e32 v6, 0
	s_and_saveexec_b64 s[10:11], vcc
	s_cbranch_execz .LBB55_363
; %bb.352:
	v_cmp_lt_i64_e32 vcc, 0, v[2:3]
	v_mov_b32_e32 v6, 1.0
	s_and_saveexec_b64 s[14:15], vcc
	s_cbranch_execz .LBB55_362
; %bb.353:
	s_waitcnt vmcnt(0)
	v_and_b32_e32 v7, 0xffff0000, v34
	v_cmp_ne_u64_e32 vcc, 1, v[2:3]
                                        ; implicit-def: $vgpr6
	s_and_saveexec_b64 s[20:21], vcc
	s_xor_b64 s[20:21], exec, s[20:21]
	s_cbranch_execz .LBB55_359
; %bb.354:
	s_mov_b64 s[22:23], 0x81
	v_cmp_gt_u64_e32 vcc, s[22:23], v[2:3]
	v_mov_b32_e32 v6, 0x7fc00000
	s_and_saveexec_b64 s[22:23], vcc
	s_cbranch_execz .LBB55_358
; %bb.355:
	s_mov_b64 s[26:27], 1
	s_mov_b64 s[24:25], 0
	v_mov_b32_e32 v34, 1.0
	v_mov_b32_e32 v6, v7
.LBB55_356:                             ; =>This Inner Loop Header: Depth=1
	s_flbit_i32_b32 s28, s27
	s_min_u32 s30, s28, 32
	s_lshl_b64 s[28:29], s[26:27], s30
	s_min_u32 s28, s28, 1
	s_or_b32 s28, s29, s28
	v_cvt_f32_u32_e32 v36, s28
	s_sub_i32 s30, 32, s30
	s_add_u32 s26, s26, 1
	s_addc_u32 s27, s27, 0
	v_ldexp_f32 v36, v36, s30
	v_cmp_eq_u64_e32 vcc, s[26:27], v[2:3]
	v_mul_f32_e32 v36, v34, v36
	s_or_b64 s[24:25], vcc, s[24:25]
	v_mov_b32_e32 v34, v6
	v_fma_f32 v6, v6, v7, -v36
	s_andn2_b64 exec, exec, s[24:25]
	s_cbranch_execnz .LBB55_356
; %bb.357:
	s_or_b64 exec, exec, s[24:25]
.LBB55_358:
	s_or_b64 exec, exec, s[22:23]
                                        ; implicit-def: $vgpr7
.LBB55_359:
	s_andn2_saveexec_b64 s[20:21], s[20:21]
; %bb.360:
	v_mov_b32_e32 v6, v7
; %bb.361:
	s_or_b64 exec, exec, s[20:21]
.LBB55_362:
	s_or_b64 exec, exec, s[14:15]
.LBB55_363:
	s_or_b64 exec, exec, s[10:11]
	v_bfe_u32 v2, v4, 16, 1
	s_movk_i32 s10, 0x7fff
	v_add3_u32 v2, v4, v2, s10
	v_and_b32_e32 v2, 0xffff0000, v2
	v_mov_b32_e32 v3, 0x7fc00000
	v_cmp_o_f32_e32 vcc, v4, v4
	v_cndmask_b32_e32 v2, v3, v2, vcc
	v_trunc_f32_e32 v2, v2
	s_mov_b32 s10, 0x2f800000
	v_mul_f32_e64 v3, |v2|, s10
	v_floor_f32_e32 v3, v3
	s_mov_b32 s10, 0xcf800000
	v_fma_f32 v4, v3, s10, |v2|
	v_cvt_u32_f32_e32 v4, v4
	v_cvt_u32_f32_e32 v3, v3
	v_ashrrev_i32_e32 v7, 31, v2
	v_xor_b32_e32 v2, v4, v7
	v_xor_b32_e32 v3, v3, v7
	v_sub_co_u32_e32 v2, vcc, v2, v7
	v_subb_co_u32_e32 v3, vcc, v3, v7, vcc
	v_cmp_lt_i64_e32 vcc, -1, v[2:3]
	v_mov_b32_e32 v4, 0
	s_and_saveexec_b64 s[10:11], vcc
	s_cbranch_execz .LBB55_375
; %bb.364:
	v_cmp_lt_i64_e32 vcc, 0, v[2:3]
	v_mov_b32_e32 v4, 1.0
	s_and_saveexec_b64 s[14:15], vcc
	s_cbranch_execz .LBB55_374
; %bb.365:
	s_waitcnt vmcnt(0)
	v_lshlrev_b32_e32 v7, 16, v35
	v_cmp_ne_u64_e32 vcc, 1, v[2:3]
                                        ; implicit-def: $vgpr4
	s_and_saveexec_b64 s[20:21], vcc
	s_xor_b64 s[20:21], exec, s[20:21]
	s_cbranch_execz .LBB55_371
; %bb.366:
	s_mov_b64 s[22:23], 0x81
	v_cmp_gt_u64_e32 vcc, s[22:23], v[2:3]
	v_mov_b32_e32 v4, 0x7fc00000
	s_and_saveexec_b64 s[22:23], vcc
	s_cbranch_execz .LBB55_370
; %bb.367:
	s_mov_b64 s[26:27], 1
	s_mov_b64 s[24:25], 0
	v_mov_b32_e32 v34, 1.0
	v_mov_b32_e32 v4, v7
.LBB55_368:                             ; =>This Inner Loop Header: Depth=1
	s_flbit_i32_b32 s28, s27
	s_min_u32 s30, s28, 32
	s_lshl_b64 s[28:29], s[26:27], s30
	s_min_u32 s28, s28, 1
	s_or_b32 s28, s29, s28
	v_cvt_f32_u32_e32 v36, s28
	s_sub_i32 s30, 32, s30
	s_add_u32 s26, s26, 1
	s_addc_u32 s27, s27, 0
	v_ldexp_f32 v36, v36, s30
	v_cmp_eq_u64_e32 vcc, s[26:27], v[2:3]
	v_mul_f32_e32 v36, v34, v36
	s_or_b64 s[24:25], vcc, s[24:25]
	v_mov_b32_e32 v34, v4
	v_fma_f32 v4, v4, v7, -v36
	s_andn2_b64 exec, exec, s[24:25]
	s_cbranch_execnz .LBB55_368
; %bb.369:
	s_or_b64 exec, exec, s[24:25]
.LBB55_370:
	s_or_b64 exec, exec, s[22:23]
                                        ; implicit-def: $vgpr7
.LBB55_371:
	s_andn2_saveexec_b64 s[20:21], s[20:21]
; %bb.372:
	v_mov_b32_e32 v4, v7
; %bb.373:
	s_or_b64 exec, exec, s[20:21]
.LBB55_374:
	s_or_b64 exec, exec, s[14:15]
.LBB55_375:
	s_or_b64 exec, exec, s[10:11]
	v_bfe_u32 v2, v5, 16, 1
	s_movk_i32 s10, 0x7fff
	v_add3_u32 v2, v5, v2, s10
	v_and_b32_e32 v2, 0xffff0000, v2
	v_mov_b32_e32 v3, 0x7fc00000
	v_cmp_o_f32_e32 vcc, v5, v5
	v_cndmask_b32_e32 v2, v3, v2, vcc
	v_trunc_f32_e32 v2, v2
	s_mov_b32 s10, 0x2f800000
	v_mul_f32_e64 v3, |v2|, s10
	v_floor_f32_e32 v3, v3
	s_mov_b32 s10, 0xcf800000
	v_fma_f32 v5, v3, s10, |v2|
	v_cvt_u32_f32_e32 v5, v5
	v_cvt_u32_f32_e32 v3, v3
	v_ashrrev_i32_e32 v7, 31, v2
	v_xor_b32_e32 v2, v5, v7
	v_xor_b32_e32 v3, v3, v7
	v_sub_co_u32_e32 v2, vcc, v2, v7
	v_subb_co_u32_e32 v3, vcc, v3, v7, vcc
	v_cmp_lt_i64_e32 vcc, -1, v[2:3]
	v_mov_b32_e32 v5, 0
	s_and_saveexec_b64 s[10:11], vcc
	s_cbranch_execz .LBB55_387
; %bb.376:
	v_cmp_lt_i64_e32 vcc, 0, v[2:3]
	v_mov_b32_e32 v5, 1.0
	s_and_saveexec_b64 s[14:15], vcc
	s_cbranch_execz .LBB55_386
; %bb.377:
	s_waitcnt vmcnt(0)
	v_and_b32_e32 v7, 0xffff0000, v35
	v_cmp_ne_u64_e32 vcc, 1, v[2:3]
                                        ; implicit-def: $vgpr5
	s_and_saveexec_b64 s[20:21], vcc
	s_xor_b64 s[20:21], exec, s[20:21]
	s_cbranch_execz .LBB55_383
; %bb.378:
	s_mov_b64 s[22:23], 0x81
	v_cmp_gt_u64_e32 vcc, s[22:23], v[2:3]
	v_mov_b32_e32 v5, 0x7fc00000
	s_and_saveexec_b64 s[22:23], vcc
	s_cbranch_execz .LBB55_382
; %bb.379:
	s_mov_b64 s[26:27], 1
	s_mov_b64 s[24:25], 0
	v_mov_b32_e32 v34, 1.0
	v_mov_b32_e32 v5, v7
.LBB55_380:                             ; =>This Inner Loop Header: Depth=1
	s_flbit_i32_b32 s28, s27
	s_min_u32 s30, s28, 32
	s_lshl_b64 s[28:29], s[26:27], s30
	s_min_u32 s28, s28, 1
	s_or_b32 s28, s29, s28
	v_cvt_f32_u32_e32 v35, s28
	s_sub_i32 s30, 32, s30
	s_add_u32 s26, s26, 1
	s_addc_u32 s27, s27, 0
	v_ldexp_f32 v35, v35, s30
	v_cmp_eq_u64_e32 vcc, s[26:27], v[2:3]
	v_mul_f32_e32 v35, v34, v35
	s_or_b64 s[24:25], vcc, s[24:25]
	v_mov_b32_e32 v34, v5
	v_fma_f32 v5, v5, v7, -v35
	s_andn2_b64 exec, exec, s[24:25]
	s_cbranch_execnz .LBB55_380
; %bb.381:
	s_or_b64 exec, exec, s[24:25]
.LBB55_382:
	s_or_b64 exec, exec, s[22:23]
                                        ; implicit-def: $vgpr7
.LBB55_383:
	s_andn2_saveexec_b64 s[20:21], s[20:21]
; %bb.384:
	v_mov_b32_e32 v5, v7
; %bb.385:
	s_or_b64 exec, exec, s[20:21]
.LBB55_386:
	s_or_b64 exec, exec, s[14:15]
.LBB55_387:
	s_or_b64 exec, exec, s[10:11]
	s_add_u32 s8, s16, s8
	s_addc_u32 s9, s17, s9
	s_movk_i32 s10, 0x7fff
	s_waitcnt vmcnt(0)
	v_bfe_u32 v34, v33, 16, 1
	v_mov_b32_e32 v35, s9
	v_add_co_u32_e32 v36, vcc, s8, v54
	v_bfe_u32 v7, v32, 16, 1
	v_add3_u32 v34, v33, v34, s10
	v_addc_co_u32_e32 v35, vcc, 0, v35, vcc
	v_bfe_u32 v3, v50, 16, 1
	v_add3_u32 v7, v32, v7, s10
	v_and_b32_e32 v34, 0xffff0000, v34
	v_mov_b32_e32 v37, 0x7fc00000
	v_cmp_o_f32_e32 vcc, v33, v33
	v_bfe_u32 v2, v55, 16, 1
	v_add3_u32 v3, v50, v3, s10
	v_lshrrev_b32_e32 v7, 16, v7
	v_cndmask_b32_e32 v33, v37, v34, vcc
	v_mov_b32_e32 v34, 0x7fc0
	v_cmp_o_f32_e32 vcc, v32, v32
	v_add3_u32 v2, v55, v2, s10
	v_and_b32_e32 v3, 0xffff0000, v3
	v_cndmask_b32_e32 v7, v34, v7, vcc
	v_cmp_o_f32_e32 vcc, v50, v50
	v_lshrrev_b32_e32 v2, 16, v2
	v_cndmask_b32_e32 v3, v37, v3, vcc
	v_cmp_o_f32_e32 vcc, v55, v55
	v_cndmask_b32_e32 v2, v34, v2, vcc
	v_or_b32_e32 v2, v3, v2
	v_bfe_u32 v32, v29, 16, 1
	v_or3_b32 v3, 0, v7, v33
	v_or3_b32 v2, v2, 0, 0
	v_bfe_u32 v7, v28, 16, 1
	v_add3_u32 v32, v29, v32, s10
	global_store_dwordx2 v54, v[2:3], s[8:9]
	v_bfe_u32 v3, v30, 16, 1
	v_add3_u32 v7, v28, v7, s10
	v_and_b32_e32 v32, 0xffff0000, v32
	v_cmp_o_f32_e32 vcc, v29, v29
	v_bfe_u32 v2, v48, 16, 1
	v_add3_u32 v3, v30, v3, s10
	v_lshrrev_b32_e32 v7, 16, v7
	v_cndmask_b32_e32 v29, v37, v32, vcc
	v_cmp_o_f32_e32 vcc, v28, v28
	v_add3_u32 v2, v48, v2, s10
	v_and_b32_e32 v3, 0xffff0000, v3
	v_cndmask_b32_e32 v7, v34, v7, vcc
	v_cmp_o_f32_e32 vcc, v30, v30
	v_lshrrev_b32_e32 v2, 16, v2
	v_cndmask_b32_e32 v3, v37, v3, vcc
	v_cmp_o_f32_e32 vcc, v48, v48
	v_cndmask_b32_e32 v2, v34, v2, vcc
	s_movk_i32 s11, 0x1000
	v_or_b32_e32 v2, v3, v2
	v_add_co_u32_e32 v28, vcc, s11, v36
	v_or3_b32 v3, 0, v7, v29
	v_or3_b32 v2, v2, 0, 0
	v_addc_co_u32_e32 v29, vcc, 0, v35, vcc
	global_store_dwordx2 v[28:29], v[2:3], off
	v_bfe_u32 v28, v25, 16, 1
	v_bfe_u32 v7, v24, 16, 1
	v_add3_u32 v28, v25, v28, s10
	v_bfe_u32 v3, v26, 16, 1
	v_add3_u32 v7, v24, v7, s10
	v_and_b32_e32 v28, 0xffff0000, v28
	v_cmp_o_f32_e32 vcc, v25, v25
	v_bfe_u32 v2, v31, 16, 1
	v_add3_u32 v3, v26, v3, s10
	v_lshrrev_b32_e32 v7, 16, v7
	v_cndmask_b32_e32 v25, v37, v28, vcc
	v_cmp_o_f32_e32 vcc, v24, v24
	v_add3_u32 v2, v31, v2, s10
	v_and_b32_e32 v3, 0xffff0000, v3
	v_cndmask_b32_e32 v7, v34, v7, vcc
	v_cmp_o_f32_e32 vcc, v26, v26
	v_lshrrev_b32_e32 v2, 16, v2
	v_cndmask_b32_e32 v3, v37, v3, vcc
	v_cmp_o_f32_e32 vcc, v31, v31
	v_cndmask_b32_e32 v2, v34, v2, vcc
	v_or_b32_e32 v2, v3, v2
	v_bfe_u32 v24, v21, 16, 1
	v_or3_b32 v3, 0, v7, v25
	v_or3_b32 v2, v2, 0, 0
	v_bfe_u32 v7, v20, 16, 1
	v_add3_u32 v24, v21, v24, s10
	global_store_dwordx2 v53, v[2:3], s[8:9]
	v_bfe_u32 v3, v22, 16, 1
	v_add3_u32 v7, v20, v7, s10
	v_and_b32_e32 v24, 0xffff0000, v24
	v_cmp_o_f32_e32 vcc, v21, v21
	v_bfe_u32 v2, v27, 16, 1
	v_add3_u32 v3, v22, v3, s10
	v_lshrrev_b32_e32 v7, 16, v7
	v_cndmask_b32_e32 v21, v37, v24, vcc
	v_cmp_o_f32_e32 vcc, v20, v20
	v_add3_u32 v2, v27, v2, s10
	v_and_b32_e32 v3, 0xffff0000, v3
	v_cndmask_b32_e32 v7, v34, v7, vcc
	v_cmp_o_f32_e32 vcc, v22, v22
	v_lshrrev_b32_e32 v2, 16, v2
	v_cndmask_b32_e32 v3, v37, v3, vcc
	v_cmp_o_f32_e32 vcc, v27, v27
	v_cndmask_b32_e32 v2, v34, v2, vcc
	s_movk_i32 s11, 0x3000
	v_or_b32_e32 v2, v3, v2
	v_add_co_u32_e32 v20, vcc, s11, v36
	v_or3_b32 v3, 0, v7, v21
	v_or3_b32 v2, v2, 0, 0
	v_addc_co_u32_e32 v21, vcc, 0, v35, vcc
	global_store_dwordx2 v[20:21], v[2:3], off
	v_bfe_u32 v20, v17, 16, 1
	v_bfe_u32 v7, v16, 16, 1
	v_add3_u32 v20, v17, v20, s10
	v_bfe_u32 v3, v18, 16, 1
	v_add3_u32 v7, v16, v7, s10
	v_and_b32_e32 v20, 0xffff0000, v20
	v_cmp_o_f32_e32 vcc, v17, v17
	v_bfe_u32 v2, v23, 16, 1
	v_add3_u32 v3, v18, v3, s10
	v_lshrrev_b32_e32 v7, 16, v7
	v_cndmask_b32_e32 v17, v37, v20, vcc
	;; [unrolled: 51-line block ×3, first 2 shown]
	v_cmp_o_f32_e32 vcc, v8, v8
	v_add3_u32 v2, v15, v2, s10
	v_and_b32_e32 v3, 0xffff0000, v3
	v_cndmask_b32_e32 v7, v34, v7, vcc
	v_cmp_o_f32_e32 vcc, v10, v10
	v_lshrrev_b32_e32 v2, 16, v2
	v_cndmask_b32_e32 v3, v37, v3, vcc
	v_cmp_o_f32_e32 vcc, v15, v15
	v_cndmask_b32_e32 v2, v34, v2, vcc
	v_or_b32_e32 v2, v3, v2
	v_or3_b32 v3, 0, v7, v9
	v_or3_b32 v2, v2, 0, 0
	v_bfe_u32 v7, v5, 16, 1
	global_store_dwordx2 v1, v[2:3], s[8:9]
	v_bfe_u32 v3, v4, 16, 1
	v_add3_u32 v7, v5, v7, s10
	v_bfe_u32 v2, v6, 16, 1
	v_add3_u32 v3, v4, v3, s10
	v_and_b32_e32 v7, 0xffff0000, v7
	v_cmp_o_f32_e32 vcc, v5, v5
	v_bfe_u32 v1, v11, 16, 1
	v_add3_u32 v2, v6, v2, s10
	v_lshrrev_b32_e32 v3, 16, v3
	v_cndmask_b32_e32 v5, v37, v7, vcc
	v_cmp_o_f32_e32 vcc, v4, v4
	v_add3_u32 v1, v11, v1, s10
	v_and_b32_e32 v2, 0xffff0000, v2
	v_cndmask_b32_e32 v3, v34, v3, vcc
	v_cmp_o_f32_e32 vcc, v6, v6
	v_lshrrev_b32_e32 v1, 16, v1
	v_cndmask_b32_e32 v2, v37, v2, vcc
	v_cmp_o_f32_e32 vcc, v11, v11
	v_cndmask_b32_e32 v1, v34, v1, vcc
	v_or_b32_e32 v1, v2, v1
	v_add_co_u32_e32 v4, vcc, 0x7000, v36
	v_or3_b32 v3, 0, v3, v5
	v_or3_b32 v2, v1, 0, 0
	v_addc_co_u32_e32 v5, vcc, 0, v35, vcc
	global_store_dwordx2 v[4:5], v[2:3], off
	s_branch .LBB55_2
.LBB55_388:
	s_load_dword s10, s[4:5], 0x24
	s_load_dwordx4 s[20:23], s[4:5], 0x28
	s_add_u32 s8, s4, 56
	s_addc_u32 s9, s5, 0
	v_mov_b32_e32 v31, v0
	s_waitcnt lgkmcnt(0)
	v_lshrrev_b16_e64 v8, 8, s10
	v_mov_b32_e32 v0, s16
	v_mov_b32_e32 v1, s17
	;; [unrolled: 1-line block ×12, first 2 shown]
	s_getpc_b64 s[4:5]
	s_add_u32 s4, s4, _ZN2at6native25elementwise_kernel_helperILb1ENS0_13BinaryFunctorIfffZZZNS0_12_GLOBAL__N_133hermite_polynomial_he_kernel_cudaERNS_18TensorIteratorBaseEENKUlvE_clEvENKUlvE0_clEvEUlffE_EENS0_6memory8policies11unroll_baseILi512ESt5arrayIPcLm3EE23TrivialOffsetCalculatorILi2EjESG_ILi1EjENSA_12LoadWithCastILi2EEENSA_13StoreWithCastILi1EEELi32ELi1EEEEEvT0_T1_@rel32@lo+4
	s_addc_u32 s5, s5, _ZN2at6native25elementwise_kernel_helperILb1ENS0_13BinaryFunctorIfffZZZNS0_12_GLOBAL__N_133hermite_polynomial_he_kernel_cudaERNS_18TensorIteratorBaseEENKUlvE_clEvENKUlvE0_clEvEUlffE_EENS0_6memory8policies11unroll_baseILi512ESt5arrayIPcLm3EE23TrivialOffsetCalculatorILi2EjESG_ILi1EjENSA_12LoadWithCastILi2EEENSA_13StoreWithCastILi1EEELi32ELi1EEEEEvT0_T1_@rel32@hi+12
	s_swappc_b64 s[30:31], s[4:5]
	s_endpgm
	.section	.rodata,"a",@progbits
	.p2align	6, 0x0
	.amdhsa_kernel _ZN2at6native39vectorized_templated_elementwise_kernelILi4ENS0_13BinaryFunctorIfffZZZNS0_12_GLOBAL__N_133hermite_polynomial_he_kernel_cudaERNS_18TensorIteratorBaseEENKUlvE_clEvENKUlvE0_clEvEUlffE_EESt5arrayIPcLm3EE23TrivialOffsetCalculatorILi2EjESD_ILi1EjENS0_6memory12LoadWithCastILi2EEENSG_13StoreWithCastILi1EEEN3c108BFloat16EJSM_fEEEviT0_T1_T2_T3_T4_T5_
		.amdhsa_group_segment_fixed_size 0
		.amdhsa_private_segment_fixed_size 288
		.amdhsa_kernarg_size 312
		.amdhsa_user_sgpr_count 8
		.amdhsa_user_sgpr_private_segment_buffer 1
		.amdhsa_user_sgpr_dispatch_ptr 0
		.amdhsa_user_sgpr_queue_ptr 0
		.amdhsa_user_sgpr_kernarg_segment_ptr 1
		.amdhsa_user_sgpr_dispatch_id 0
		.amdhsa_user_sgpr_flat_scratch_init 1
		.amdhsa_user_sgpr_kernarg_preload_length 0
		.amdhsa_user_sgpr_kernarg_preload_offset 0
		.amdhsa_user_sgpr_private_segment_size 0
		.amdhsa_uses_dynamic_stack 0
		.amdhsa_system_sgpr_private_segment_wavefront_offset 1
		.amdhsa_system_sgpr_workgroup_id_x 1
		.amdhsa_system_sgpr_workgroup_id_y 0
		.amdhsa_system_sgpr_workgroup_id_z 0
		.amdhsa_system_sgpr_workgroup_info 0
		.amdhsa_system_vgpr_workitem_id 0
		.amdhsa_next_free_vgpr 120
		.amdhsa_next_free_sgpr 98
		.amdhsa_accum_offset 120
		.amdhsa_reserve_vcc 1
		.amdhsa_reserve_flat_scratch 1
		.amdhsa_float_round_mode_32 0
		.amdhsa_float_round_mode_16_64 0
		.amdhsa_float_denorm_mode_32 3
		.amdhsa_float_denorm_mode_16_64 3
		.amdhsa_dx10_clamp 1
		.amdhsa_ieee_mode 1
		.amdhsa_fp16_overflow 0
		.amdhsa_tg_split 0
		.amdhsa_exception_fp_ieee_invalid_op 0
		.amdhsa_exception_fp_denorm_src 0
		.amdhsa_exception_fp_ieee_div_zero 0
		.amdhsa_exception_fp_ieee_overflow 0
		.amdhsa_exception_fp_ieee_underflow 0
		.amdhsa_exception_fp_ieee_inexact 0
		.amdhsa_exception_int_div_zero 0
	.end_amdhsa_kernel
	.section	.text._ZN2at6native39vectorized_templated_elementwise_kernelILi4ENS0_13BinaryFunctorIfffZZZNS0_12_GLOBAL__N_133hermite_polynomial_he_kernel_cudaERNS_18TensorIteratorBaseEENKUlvE_clEvENKUlvE0_clEvEUlffE_EESt5arrayIPcLm3EE23TrivialOffsetCalculatorILi2EjESD_ILi1EjENS0_6memory12LoadWithCastILi2EEENSG_13StoreWithCastILi1EEEN3c108BFloat16EJSM_fEEEviT0_T1_T2_T3_T4_T5_,"axG",@progbits,_ZN2at6native39vectorized_templated_elementwise_kernelILi4ENS0_13BinaryFunctorIfffZZZNS0_12_GLOBAL__N_133hermite_polynomial_he_kernel_cudaERNS_18TensorIteratorBaseEENKUlvE_clEvENKUlvE0_clEvEUlffE_EESt5arrayIPcLm3EE23TrivialOffsetCalculatorILi2EjESD_ILi1EjENS0_6memory12LoadWithCastILi2EEENSG_13StoreWithCastILi1EEEN3c108BFloat16EJSM_fEEEviT0_T1_T2_T3_T4_T5_,comdat
.Lfunc_end55:
	.size	_ZN2at6native39vectorized_templated_elementwise_kernelILi4ENS0_13BinaryFunctorIfffZZZNS0_12_GLOBAL__N_133hermite_polynomial_he_kernel_cudaERNS_18TensorIteratorBaseEENKUlvE_clEvENKUlvE0_clEvEUlffE_EESt5arrayIPcLm3EE23TrivialOffsetCalculatorILi2EjESD_ILi1EjENS0_6memory12LoadWithCastILi2EEENSG_13StoreWithCastILi1EEEN3c108BFloat16EJSM_fEEEviT0_T1_T2_T3_T4_T5_, .Lfunc_end55-_ZN2at6native39vectorized_templated_elementwise_kernelILi4ENS0_13BinaryFunctorIfffZZZNS0_12_GLOBAL__N_133hermite_polynomial_he_kernel_cudaERNS_18TensorIteratorBaseEENKUlvE_clEvENKUlvE0_clEvEUlffE_EESt5arrayIPcLm3EE23TrivialOffsetCalculatorILi2EjESD_ILi1EjENS0_6memory12LoadWithCastILi2EEENSG_13StoreWithCastILi1EEEN3c108BFloat16EJSM_fEEEviT0_T1_T2_T3_T4_T5_
                                        ; -- End function
	.section	.AMDGPU.csdata,"",@progbits
; Kernel info:
; codeLenInByte = 11980
; NumSgprs: 104
; NumVgprs: 120
; NumAgprs: 0
; TotalNumVgprs: 120
; ScratchSize: 288
; MemoryBound: 0
; FloatMode: 240
; IeeeMode: 1
; LDSByteSize: 0 bytes/workgroup (compile time only)
; SGPRBlocks: 12
; VGPRBlocks: 14
; NumSGPRsForWavesPerEU: 104
; NumVGPRsForWavesPerEU: 120
; AccumOffset: 120
; Occupancy: 4
; WaveLimiterHint : 0
; COMPUTE_PGM_RSRC2:SCRATCH_EN: 1
; COMPUTE_PGM_RSRC2:USER_SGPR: 8
; COMPUTE_PGM_RSRC2:TRAP_HANDLER: 0
; COMPUTE_PGM_RSRC2:TGID_X_EN: 1
; COMPUTE_PGM_RSRC2:TGID_Y_EN: 0
; COMPUTE_PGM_RSRC2:TGID_Z_EN: 0
; COMPUTE_PGM_RSRC2:TIDIG_COMP_CNT: 0
; COMPUTE_PGM_RSRC3_GFX90A:ACCUM_OFFSET: 29
; COMPUTE_PGM_RSRC3_GFX90A:TG_SPLIT: 0
	.section	.text._ZN2at6native39vectorized_templated_elementwise_kernelILi2ENS0_13BinaryFunctorIfffZZZNS0_12_GLOBAL__N_133hermite_polynomial_he_kernel_cudaERNS_18TensorIteratorBaseEENKUlvE_clEvENKUlvE0_clEvEUlffE_EESt5arrayIPcLm3EE23TrivialOffsetCalculatorILi2EjESD_ILi1EjENS0_6memory12LoadWithCastILi2EEENSG_13StoreWithCastILi1EEEN3c108BFloat16EJSM_fEEEviT0_T1_T2_T3_T4_T5_,"axG",@progbits,_ZN2at6native39vectorized_templated_elementwise_kernelILi2ENS0_13BinaryFunctorIfffZZZNS0_12_GLOBAL__N_133hermite_polynomial_he_kernel_cudaERNS_18TensorIteratorBaseEENKUlvE_clEvENKUlvE0_clEvEUlffE_EESt5arrayIPcLm3EE23TrivialOffsetCalculatorILi2EjESD_ILi1EjENS0_6memory12LoadWithCastILi2EEENSG_13StoreWithCastILi1EEEN3c108BFloat16EJSM_fEEEviT0_T1_T2_T3_T4_T5_,comdat
	.globl	_ZN2at6native39vectorized_templated_elementwise_kernelILi2ENS0_13BinaryFunctorIfffZZZNS0_12_GLOBAL__N_133hermite_polynomial_he_kernel_cudaERNS_18TensorIteratorBaseEENKUlvE_clEvENKUlvE0_clEvEUlffE_EESt5arrayIPcLm3EE23TrivialOffsetCalculatorILi2EjESD_ILi1EjENS0_6memory12LoadWithCastILi2EEENSG_13StoreWithCastILi1EEEN3c108BFloat16EJSM_fEEEviT0_T1_T2_T3_T4_T5_ ; -- Begin function _ZN2at6native39vectorized_templated_elementwise_kernelILi2ENS0_13BinaryFunctorIfffZZZNS0_12_GLOBAL__N_133hermite_polynomial_he_kernel_cudaERNS_18TensorIteratorBaseEENKUlvE_clEvENKUlvE0_clEvEUlffE_EESt5arrayIPcLm3EE23TrivialOffsetCalculatorILi2EjESD_ILi1EjENS0_6memory12LoadWithCastILi2EEENSG_13StoreWithCastILi1EEEN3c108BFloat16EJSM_fEEEviT0_T1_T2_T3_T4_T5_
	.p2align	8
	.type	_ZN2at6native39vectorized_templated_elementwise_kernelILi2ENS0_13BinaryFunctorIfffZZZNS0_12_GLOBAL__N_133hermite_polynomial_he_kernel_cudaERNS_18TensorIteratorBaseEENKUlvE_clEvENKUlvE0_clEvEUlffE_EESt5arrayIPcLm3EE23TrivialOffsetCalculatorILi2EjESD_ILi1EjENS0_6memory12LoadWithCastILi2EEENSG_13StoreWithCastILi1EEEN3c108BFloat16EJSM_fEEEviT0_T1_T2_T3_T4_T5_,@function
_ZN2at6native39vectorized_templated_elementwise_kernelILi2ENS0_13BinaryFunctorIfffZZZNS0_12_GLOBAL__N_133hermite_polynomial_he_kernel_cudaERNS_18TensorIteratorBaseEENKUlvE_clEvENKUlvE0_clEvEUlffE_EESt5arrayIPcLm3EE23TrivialOffsetCalculatorILi2EjESD_ILi1EjENS0_6memory12LoadWithCastILi2EEENSG_13StoreWithCastILi1EEEN3c108BFloat16EJSM_fEEEviT0_T1_T2_T3_T4_T5_: ; @_ZN2at6native39vectorized_templated_elementwise_kernelILi2ENS0_13BinaryFunctorIfffZZZNS0_12_GLOBAL__N_133hermite_polynomial_he_kernel_cudaERNS_18TensorIteratorBaseEENKUlvE_clEvENKUlvE0_clEvEUlffE_EESt5arrayIPcLm3EE23TrivialOffsetCalculatorILi2EjESD_ILi1EjENS0_6memory12LoadWithCastILi2EEENSG_13StoreWithCastILi1EEEN3c108BFloat16EJSM_fEEEviT0_T1_T2_T3_T4_T5_
; %bb.0:
	s_add_u32 flat_scratch_lo, s6, s9
	s_addc_u32 flat_scratch_hi, s7, 0
	s_add_u32 s0, s0, s9
	s_mov_b32 s12, s8
	s_load_dword s8, s[4:5], 0x38
	s_load_dwordx2 s[6:7], s[4:5], 0x18
	s_load_dword s9, s[4:5], 0x0
	s_load_dwordx4 s[16:19], s[4:5], 0x8
	s_addc_u32 s1, s1, 0
	s_not_b32 s10, s12
	s_waitcnt lgkmcnt(0)
	s_add_i32 s8, s8, s10
	s_lshl_b32 s10, s8, 14
	s_sub_i32 s13, s9, s10
	s_cmpk_gt_i32 s13, 0x3fff
	s_mov_b64 s[8:9], -1
	s_mov_b32 s32, 0
	s_cbranch_scc1 .LBB56_3
; %bb.1:
	s_and_b64 vcc, exec, s[8:9]
	s_cbranch_vccnz .LBB56_388
.LBB56_2:
	s_endpgm
.LBB56_3:
	s_ashr_i32 s11, s10, 31
	s_lshl_b64 s[8:9], s[10:11], 1
	s_add_u32 s14, s18, s8
	s_addc_u32 s15, s19, s9
	s_lshl_b64 s[10:11], s[10:11], 2
	s_add_u32 s10, s6, s10
	s_addc_u32 s11, s7, s11
	v_lshlrev_b32_e32 v11, 3, v0
	global_load_dwordx2 v[32:33], v11, s[10:11]
	v_lshlrev_b32_e32 v39, 2, v0
	v_mov_b32_e32 v1, s15
	v_add_co_u32_e32 v8, vcc, s14, v39
	v_addc_co_u32_e32 v9, vcc, 0, v1, vcc
	s_movk_i32 s20, 0x1000
	v_add_co_u32_e32 v2, vcc, s20, v8
	v_addc_co_u32_e32 v3, vcc, 0, v9, vcc
	s_movk_i32 s21, 0x2000
	;; [unrolled: 3-line block ×3, first 2 shown]
	v_add_co_u32_e32 v6, vcc, s21, v8
	v_or_b32_e32 v10, 0x400, v0
	v_or_b32_e32 v12, 0x800, v0
	;; [unrolled: 1-line block ×3, first 2 shown]
	v_addc_co_u32_e32 v7, vcc, 0, v9, vcc
	s_movk_i32 s22, 0x4000
	v_lshlrev_b32_e32 v38, 2, v10
	v_lshlrev_b32_e32 v42, 2, v12
	;; [unrolled: 1-line block ×3, first 2 shown]
	global_load_dword v59, v39, s[14:15]
	global_load_dword v58, v39, s[14:15] offset:2048
	global_load_dword v57, v38, s[14:15]
	global_load_dword v56, v[2:3], off offset:2048
	global_load_dword v55, v42, s[14:15]
	global_load_dword v54, v[4:5], off offset:2048
	;; [unrolled: 2-line block ×3, first 2 shown]
	v_add_co_u32_e32 v2, vcc, s22, v8
	v_addc_co_u32_e32 v3, vcc, 0, v9, vcc
	s_movk_i32 s22, 0x5000
	v_add_co_u32_e32 v4, vcc, s22, v8
	v_addc_co_u32_e32 v5, vcc, 0, v9, vcc
	s_movk_i32 s23, 0x6000
	;; [unrolled: 3-line block ×3, first 2 shown]
	v_or_b32_e32 v14, 0x1000, v0
	v_add_co_u32_e32 v8, vcc, s23, v8
	v_lshlrev_b32_e32 v40, 2, v14
	v_or_b32_e32 v15, 0x1400, v0
	v_or_b32_e32 v34, 0x1800, v0
	;; [unrolled: 1-line block ×3, first 2 shown]
	v_addc_co_u32_e32 v9, vcc, 0, v9, vcc
	v_lshlrev_b32_e32 v37, 2, v15
	v_lshlrev_b32_e32 v36, 2, v34
	;; [unrolled: 1-line block ×3, first 2 shown]
	global_load_dword v51, v40, s[14:15]
	global_load_dword v50, v[2:3], off offset:2048
	global_load_dword v49, v37, s[14:15]
	global_load_dword v48, v[4:5], off offset:2048
	;; [unrolled: 2-line block ×4, first 2 shown]
	v_mov_b32_e32 v2, s11
	v_add_co_u32_e32 v6, vcc, s10, v11
	v_addc_co_u32_e32 v7, vcc, 0, v2, vcc
	v_add_co_u32_e32 v2, vcc, s20, v6
	v_addc_co_u32_e32 v3, vcc, 0, v7, vcc
	v_add_co_u32_e32 v4, vcc, s21, v6
	v_lshlrev_b32_e32 v8, 3, v10
	v_addc_co_u32_e32 v5, vcc, 0, v7, vcc
	global_load_dwordx2 v[30:31], v[2:3], off
	global_load_dwordx2 v[28:29], v8, s[10:11]
	global_load_dwordx2 v[26:27], v[4:5], off
	s_movk_i32 s14, 0x7fff
	v_mov_b32_e32 v3, 0x7fc00000
	v_lshlrev_b32_e32 v9, 3, v12
	v_lshlrev_b32_e32 v10, 3, v13
	s_mov_b32 s15, 0x2f800000
	v_lshlrev_b32_e32 v44, 3, v35
	s_waitcnt vmcnt(19)
	v_bfe_u32 v2, v32, 16, 1
	v_add3_u32 v2, v32, v2, s14
	v_and_b32_e32 v2, 0xffff0000, v2
	v_cmp_o_f32_e32 vcc, v32, v32
	v_cndmask_b32_e32 v8, v3, v2, vcc
	v_add_co_u32_e32 v2, vcc, s22, v6
	v_addc_co_u32_e32 v3, vcc, 0, v7, vcc
	v_add_co_u32_e32 v4, vcc, s23, v6
	v_addc_co_u32_e32 v5, vcc, 0, v7, vcc
	s_mov_b32 s14, 0x9000
	global_load_dwordx2 v[24:25], v9, s[10:11]
	global_load_dwordx2 v[22:23], v[2:3], off
	global_load_dwordx2 v[20:21], v10, s[10:11]
	global_load_dwordx2 v[18:19], v[4:5], off
	v_add_co_u32_e32 v2, vcc, s14, v6
	v_addc_co_u32_e32 v3, vcc, 0, v7, vcc
	s_mov_b32 s14, 0xb000
	v_lshlrev_b32_e32 v9, 3, v14
	v_add_co_u32_e32 v4, vcc, s14, v6
	v_lshlrev_b32_e32 v32, 3, v15
	v_addc_co_u32_e32 v5, vcc, 0, v7, vcc
	global_load_dwordx2 v[16:17], v9, s[10:11]
	global_load_dwordx2 v[14:15], v[2:3], off
	global_load_dwordx2 v[12:13], v32, s[10:11]
	global_load_dwordx2 v[10:11], v[4:5], off
	v_trunc_f32_e32 v2, v8
	v_mul_f32_e64 v3, |v2|, s15
	v_floor_f32_e32 v3, v3
	s_mov_b32 s15, 0xcf800000
	v_fma_f32 v4, v3, s15, |v2|
	s_mov_b32 s14, 0xd000
	v_cvt_u32_f32_e32 v4, v4
	v_add_co_u32_e32 v60, vcc, s14, v6
	v_cvt_u32_f32_e32 v3, v3
	v_addc_co_u32_e32 v61, vcc, 0, v7, vcc
	s_mov_b32 s14, 0xf000
	v_add_co_u32_e32 v62, vcc, s14, v6
	v_ashrrev_i32_e32 v2, 31, v2
	v_addc_co_u32_e32 v63, vcc, 0, v7, vcc
	v_xor_b32_e32 v4, v4, v2
	v_lshlrev_b32_e32 v32, 3, v34
	v_xor_b32_e32 v3, v3, v2
	v_sub_co_u32_e32 v34, vcc, v4, v2
	v_subb_co_u32_e32 v35, vcc, v3, v2, vcc
	global_load_dwordx2 v[8:9], v32, s[10:11]
	global_load_dwordx2 v[6:7], v[60:61], off
	global_load_dwordx2 v[4:5], v44, s[10:11]
	global_load_dwordx2 v[2:3], v[62:63], off
	v_cmp_lt_i64_e32 vcc, -1, v[34:35]
	v_mov_b32_e32 v44, 0
	s_and_saveexec_b64 s[10:11], vcc
	s_cbranch_execz .LBB56_15
; %bb.4:
	v_cmp_lt_i64_e32 vcc, 0, v[34:35]
	v_mov_b32_e32 v44, 1.0
	s_and_saveexec_b64 s[14:15], vcc
	s_cbranch_execz .LBB56_14
; %bb.5:
	s_waitcnt vmcnt(30)
	v_lshlrev_b32_e32 v32, 16, v59
	v_cmp_ne_u64_e32 vcc, 1, v[34:35]
                                        ; implicit-def: $vgpr44
	s_and_saveexec_b64 s[20:21], vcc
	s_xor_b64 s[20:21], exec, s[20:21]
	s_cbranch_execz .LBB56_11
; %bb.6:
	s_mov_b64 s[22:23], 0x81
	v_cmp_gt_u64_e32 vcc, s[22:23], v[34:35]
	v_mov_b32_e32 v44, 0x7fc00000
	s_and_saveexec_b64 s[22:23], vcc
	s_cbranch_execz .LBB56_10
; %bb.7:
	s_mov_b64 s[26:27], 1
	s_mov_b64 s[24:25], 0
	v_mov_b32_e32 v60, 1.0
	v_mov_b32_e32 v44, v32
.LBB56_8:                               ; =>This Inner Loop Header: Depth=1
	s_flbit_i32_b32 s28, s27
	s_min_u32 s30, s28, 32
	s_lshl_b64 s[28:29], s[26:27], s30
	s_min_u32 s28, s28, 1
	s_or_b32 s28, s29, s28
	v_cvt_f32_u32_e32 v61, s28
	s_sub_i32 s30, 32, s30
	s_add_u32 s26, s26, 1
	s_addc_u32 s27, s27, 0
	v_ldexp_f32 v61, v61, s30
	v_cmp_eq_u64_e32 vcc, s[26:27], v[34:35]
	v_mul_f32_e32 v61, v60, v61
	s_or_b64 s[24:25], vcc, s[24:25]
	v_mov_b32_e32 v60, v44
	v_fma_f32 v44, v44, v32, -v61
	s_andn2_b64 exec, exec, s[24:25]
	s_cbranch_execnz .LBB56_8
; %bb.9:
	s_or_b64 exec, exec, s[24:25]
.LBB56_10:
	s_or_b64 exec, exec, s[22:23]
                                        ; implicit-def: $vgpr32
.LBB56_11:
	s_andn2_saveexec_b64 s[20:21], s[20:21]
; %bb.12:
	v_mov_b32_e32 v44, v32
; %bb.13:
	s_or_b64 exec, exec, s[20:21]
.LBB56_14:
	s_or_b64 exec, exec, s[14:15]
.LBB56_15:
	s_or_b64 exec, exec, s[10:11]
	v_bfe_u32 v32, v33, 16, 1
	s_movk_i32 s10, 0x7fff
	v_add3_u32 v32, v33, v32, s10
	v_and_b32_e32 v32, 0xffff0000, v32
	v_mov_b32_e32 v34, 0x7fc00000
	v_cmp_o_f32_e32 vcc, v33, v33
	v_cndmask_b32_e32 v32, v34, v32, vcc
	v_trunc_f32_e32 v32, v32
	s_mov_b32 s10, 0x2f800000
	v_mul_f32_e64 v33, |v32|, s10
	v_floor_f32_e32 v33, v33
	s_mov_b32 s10, 0xcf800000
	v_fma_f32 v34, v33, s10, |v32|
	v_cvt_u32_f32_e32 v34, v34
	v_cvt_u32_f32_e32 v33, v33
	v_ashrrev_i32_e32 v35, 31, v32
	v_xor_b32_e32 v32, v34, v35
	v_xor_b32_e32 v33, v33, v35
	v_sub_co_u32_e32 v32, vcc, v32, v35
	v_subb_co_u32_e32 v33, vcc, v33, v35, vcc
	v_cmp_lt_i64_e32 vcc, -1, v[32:33]
	v_mov_b32_e32 v34, 0
	s_and_saveexec_b64 s[10:11], vcc
	s_cbranch_execz .LBB56_27
; %bb.16:
	v_cmp_lt_i64_e32 vcc, 0, v[32:33]
	v_mov_b32_e32 v34, 1.0
	s_and_saveexec_b64 s[14:15], vcc
	s_cbranch_execz .LBB56_26
; %bb.17:
	s_waitcnt vmcnt(30)
	v_and_b32_e32 v35, 0xffff0000, v59
	v_cmp_ne_u64_e32 vcc, 1, v[32:33]
                                        ; implicit-def: $vgpr34
	s_and_saveexec_b64 s[20:21], vcc
	s_xor_b64 s[20:21], exec, s[20:21]
	s_cbranch_execz .LBB56_23
; %bb.18:
	s_mov_b64 s[22:23], 0x81
	v_cmp_gt_u64_e32 vcc, s[22:23], v[32:33]
	v_mov_b32_e32 v34, 0x7fc00000
	s_and_saveexec_b64 s[22:23], vcc
	s_cbranch_execz .LBB56_22
; %bb.19:
	s_mov_b64 s[26:27], 1
	s_mov_b64 s[24:25], 0
	v_mov_b32_e32 v59, 1.0
	v_mov_b32_e32 v34, v35
.LBB56_20:                              ; =>This Inner Loop Header: Depth=1
	s_flbit_i32_b32 s28, s27
	s_min_u32 s30, s28, 32
	s_lshl_b64 s[28:29], s[26:27], s30
	s_min_u32 s28, s28, 1
	s_or_b32 s28, s29, s28
	v_cvt_f32_u32_e32 v60, s28
	s_sub_i32 s30, 32, s30
	s_add_u32 s26, s26, 1
	s_addc_u32 s27, s27, 0
	v_ldexp_f32 v60, v60, s30
	v_cmp_eq_u64_e32 vcc, s[26:27], v[32:33]
	v_mul_f32_e32 v60, v59, v60
	s_or_b64 s[24:25], vcc, s[24:25]
	v_mov_b32_e32 v59, v34
	v_fma_f32 v34, v34, v35, -v60
	s_andn2_b64 exec, exec, s[24:25]
	s_cbranch_execnz .LBB56_20
; %bb.21:
	s_or_b64 exec, exec, s[24:25]
.LBB56_22:
	s_or_b64 exec, exec, s[22:23]
                                        ; implicit-def: $vgpr35
.LBB56_23:
	s_andn2_saveexec_b64 s[20:21], s[20:21]
; %bb.24:
	v_mov_b32_e32 v34, v35
; %bb.25:
	s_or_b64 exec, exec, s[20:21]
.LBB56_26:
	s_or_b64 exec, exec, s[14:15]
.LBB56_27:
	s_or_b64 exec, exec, s[10:11]
	s_waitcnt vmcnt(14)
	v_bfe_u32 v32, v30, 16, 1
	s_movk_i32 s10, 0x7fff
	v_add3_u32 v32, v30, v32, s10
	v_and_b32_e32 v32, 0xffff0000, v32
	v_mov_b32_e32 v33, 0x7fc00000
	v_cmp_o_f32_e32 vcc, v30, v30
	v_cndmask_b32_e32 v30, v33, v32, vcc
	v_trunc_f32_e32 v30, v30
	s_mov_b32 s10, 0x2f800000
	v_mul_f32_e64 v32, |v30|, s10
	v_floor_f32_e32 v32, v32
	s_mov_b32 s10, 0xcf800000
	v_fma_f32 v33, v32, s10, |v30|
	v_cvt_u32_f32_e32 v32, v32
	v_cvt_u32_f32_e32 v33, v33
	v_ashrrev_i32_e32 v30, 31, v30
	v_xor_b32_e32 v35, v32, v30
	v_xor_b32_e32 v32, v33, v30
	v_sub_co_u32_e32 v32, vcc, v32, v30
	v_subb_co_u32_e32 v33, vcc, v35, v30, vcc
	v_cmp_lt_i64_e32 vcc, -1, v[32:33]
	v_mov_b32_e32 v35, 0
	s_and_saveexec_b64 s[10:11], vcc
	s_cbranch_execz .LBB56_39
; %bb.28:
	v_cmp_lt_i64_e32 vcc, 0, v[32:33]
	v_mov_b32_e32 v35, 1.0
	s_and_saveexec_b64 s[14:15], vcc
	s_cbranch_execz .LBB56_38
; %bb.29:
	v_lshlrev_b32_e32 v30, 16, v58
	v_cmp_ne_u64_e32 vcc, 1, v[32:33]
                                        ; implicit-def: $vgpr35
	s_and_saveexec_b64 s[20:21], vcc
	s_xor_b64 s[20:21], exec, s[20:21]
	s_cbranch_execz .LBB56_35
; %bb.30:
	s_mov_b64 s[22:23], 0x81
	v_cmp_gt_u64_e32 vcc, s[22:23], v[32:33]
	v_mov_b32_e32 v35, 0x7fc00000
	s_and_saveexec_b64 s[22:23], vcc
	s_cbranch_execz .LBB56_34
; %bb.31:
	s_mov_b64 s[26:27], 1
	s_mov_b64 s[24:25], 0
	v_mov_b32_e32 v59, 1.0
	v_mov_b32_e32 v35, v30
.LBB56_32:                              ; =>This Inner Loop Header: Depth=1
	s_flbit_i32_b32 s28, s27
	s_min_u32 s30, s28, 32
	s_lshl_b64 s[28:29], s[26:27], s30
	s_min_u32 s28, s28, 1
	s_or_b32 s28, s29, s28
	v_cvt_f32_u32_e32 v60, s28
	s_sub_i32 s30, 32, s30
	s_add_u32 s26, s26, 1
	s_addc_u32 s27, s27, 0
	v_ldexp_f32 v60, v60, s30
	v_cmp_eq_u64_e32 vcc, s[26:27], v[32:33]
	v_mul_f32_e32 v60, v59, v60
	s_or_b64 s[24:25], vcc, s[24:25]
	v_mov_b32_e32 v59, v35
	v_fma_f32 v35, v35, v30, -v60
	s_andn2_b64 exec, exec, s[24:25]
	s_cbranch_execnz .LBB56_32
; %bb.33:
	s_or_b64 exec, exec, s[24:25]
.LBB56_34:
	s_or_b64 exec, exec, s[22:23]
                                        ; implicit-def: $vgpr30
.LBB56_35:
	s_andn2_saveexec_b64 s[20:21], s[20:21]
; %bb.36:
	v_mov_b32_e32 v35, v30
; %bb.37:
	s_or_b64 exec, exec, s[20:21]
.LBB56_38:
	s_or_b64 exec, exec, s[14:15]
.LBB56_39:
	s_or_b64 exec, exec, s[10:11]
	v_bfe_u32 v30, v31, 16, 1
	s_movk_i32 s10, 0x7fff
	v_add3_u32 v30, v31, v30, s10
	v_and_b32_e32 v30, 0xffff0000, v30
	v_mov_b32_e32 v32, 0x7fc00000
	v_cmp_o_f32_e32 vcc, v31, v31
	v_cndmask_b32_e32 v30, v32, v30, vcc
	v_trunc_f32_e32 v30, v30
	s_mov_b32 s10, 0x2f800000
	v_mul_f32_e64 v31, |v30|, s10
	v_floor_f32_e32 v31, v31
	s_mov_b32 s10, 0xcf800000
	v_fma_f32 v32, v31, s10, |v30|
	v_cvt_u32_f32_e32 v32, v32
	v_cvt_u32_f32_e32 v31, v31
	v_ashrrev_i32_e32 v33, 31, v30
	v_xor_b32_e32 v30, v32, v33
	v_xor_b32_e32 v31, v31, v33
	v_sub_co_u32_e32 v30, vcc, v30, v33
	v_subb_co_u32_e32 v31, vcc, v31, v33, vcc
	v_cmp_lt_i64_e32 vcc, -1, v[30:31]
	v_mov_b32_e32 v32, 0
	s_and_saveexec_b64 s[10:11], vcc
	s_cbranch_execz .LBB56_51
; %bb.40:
	v_cmp_lt_i64_e32 vcc, 0, v[30:31]
	v_mov_b32_e32 v32, 1.0
	s_and_saveexec_b64 s[14:15], vcc
	s_cbranch_execz .LBB56_50
; %bb.41:
	v_and_b32_e32 v33, 0xffff0000, v58
	v_cmp_ne_u64_e32 vcc, 1, v[30:31]
                                        ; implicit-def: $vgpr32
	s_and_saveexec_b64 s[20:21], vcc
	s_xor_b64 s[20:21], exec, s[20:21]
	s_cbranch_execz .LBB56_47
; %bb.42:
	s_mov_b64 s[22:23], 0x81
	v_cmp_gt_u64_e32 vcc, s[22:23], v[30:31]
	v_mov_b32_e32 v32, 0x7fc00000
	s_and_saveexec_b64 s[22:23], vcc
	s_cbranch_execz .LBB56_46
; %bb.43:
	s_mov_b64 s[26:27], 1
	s_mov_b64 s[24:25], 0
	v_mov_b32_e32 v58, 1.0
	v_mov_b32_e32 v32, v33
.LBB56_44:                              ; =>This Inner Loop Header: Depth=1
	s_flbit_i32_b32 s28, s27
	s_min_u32 s30, s28, 32
	s_lshl_b64 s[28:29], s[26:27], s30
	s_min_u32 s28, s28, 1
	s_or_b32 s28, s29, s28
	v_cvt_f32_u32_e32 v59, s28
	s_sub_i32 s30, 32, s30
	s_add_u32 s26, s26, 1
	s_addc_u32 s27, s27, 0
	v_ldexp_f32 v59, v59, s30
	v_cmp_eq_u64_e32 vcc, s[26:27], v[30:31]
	v_mul_f32_e32 v59, v58, v59
	s_or_b64 s[24:25], vcc, s[24:25]
	v_mov_b32_e32 v58, v32
	v_fma_f32 v32, v32, v33, -v59
	s_andn2_b64 exec, exec, s[24:25]
	s_cbranch_execnz .LBB56_44
; %bb.45:
	s_or_b64 exec, exec, s[24:25]
.LBB56_46:
	s_or_b64 exec, exec, s[22:23]
                                        ; implicit-def: $vgpr33
.LBB56_47:
	s_andn2_saveexec_b64 s[20:21], s[20:21]
; %bb.48:
	v_mov_b32_e32 v32, v33
; %bb.49:
	s_or_b64 exec, exec, s[20:21]
.LBB56_50:
	s_or_b64 exec, exec, s[14:15]
.LBB56_51:
	s_or_b64 exec, exec, s[10:11]
	s_waitcnt vmcnt(13)
	v_bfe_u32 v30, v28, 16, 1
	s_movk_i32 s10, 0x7fff
	v_add3_u32 v30, v28, v30, s10
	v_and_b32_e32 v30, 0xffff0000, v30
	v_mov_b32_e32 v31, 0x7fc00000
	v_cmp_o_f32_e32 vcc, v28, v28
	v_cndmask_b32_e32 v28, v31, v30, vcc
	v_trunc_f32_e32 v28, v28
	s_mov_b32 s10, 0x2f800000
	v_mul_f32_e64 v30, |v28|, s10
	v_floor_f32_e32 v30, v30
	s_mov_b32 s10, 0xcf800000
	v_fma_f32 v31, v30, s10, |v28|
	v_cvt_u32_f32_e32 v30, v30
	v_cvt_u32_f32_e32 v31, v31
	v_ashrrev_i32_e32 v28, 31, v28
	v_xor_b32_e32 v33, v30, v28
	v_xor_b32_e32 v30, v31, v28
	v_sub_co_u32_e32 v30, vcc, v30, v28
	v_subb_co_u32_e32 v31, vcc, v33, v28, vcc
	v_cmp_lt_i64_e32 vcc, -1, v[30:31]
	v_mov_b32_e32 v33, 0
	s_and_saveexec_b64 s[10:11], vcc
	s_cbranch_execz .LBB56_63
; %bb.52:
	v_cmp_lt_i64_e32 vcc, 0, v[30:31]
	v_mov_b32_e32 v33, 1.0
	s_and_saveexec_b64 s[14:15], vcc
	s_cbranch_execz .LBB56_62
; %bb.53:
	v_lshlrev_b32_e32 v28, 16, v57
	v_cmp_ne_u64_e32 vcc, 1, v[30:31]
                                        ; implicit-def: $vgpr33
	s_and_saveexec_b64 s[20:21], vcc
	s_xor_b64 s[20:21], exec, s[20:21]
	s_cbranch_execz .LBB56_59
; %bb.54:
	s_mov_b64 s[22:23], 0x81
	v_cmp_gt_u64_e32 vcc, s[22:23], v[30:31]
	v_mov_b32_e32 v33, 0x7fc00000
	s_and_saveexec_b64 s[22:23], vcc
	s_cbranch_execz .LBB56_58
; %bb.55:
	s_mov_b64 s[26:27], 1
	s_mov_b64 s[24:25], 0
	v_mov_b32_e32 v58, 1.0
	v_mov_b32_e32 v33, v28
.LBB56_56:                              ; =>This Inner Loop Header: Depth=1
	s_flbit_i32_b32 s28, s27
	s_min_u32 s30, s28, 32
	s_lshl_b64 s[28:29], s[26:27], s30
	s_min_u32 s28, s28, 1
	s_or_b32 s28, s29, s28
	v_cvt_f32_u32_e32 v59, s28
	s_sub_i32 s30, 32, s30
	s_add_u32 s26, s26, 1
	s_addc_u32 s27, s27, 0
	v_ldexp_f32 v59, v59, s30
	v_cmp_eq_u64_e32 vcc, s[26:27], v[30:31]
	v_mul_f32_e32 v59, v58, v59
	s_or_b64 s[24:25], vcc, s[24:25]
	v_mov_b32_e32 v58, v33
	v_fma_f32 v33, v33, v28, -v59
	s_andn2_b64 exec, exec, s[24:25]
	s_cbranch_execnz .LBB56_56
; %bb.57:
	s_or_b64 exec, exec, s[24:25]
.LBB56_58:
	s_or_b64 exec, exec, s[22:23]
                                        ; implicit-def: $vgpr28
.LBB56_59:
	s_andn2_saveexec_b64 s[20:21], s[20:21]
; %bb.60:
	v_mov_b32_e32 v33, v28
; %bb.61:
	s_or_b64 exec, exec, s[20:21]
.LBB56_62:
	s_or_b64 exec, exec, s[14:15]
.LBB56_63:
	s_or_b64 exec, exec, s[10:11]
	v_bfe_u32 v28, v29, 16, 1
	s_movk_i32 s10, 0x7fff
	v_add3_u32 v28, v29, v28, s10
	v_and_b32_e32 v28, 0xffff0000, v28
	v_mov_b32_e32 v30, 0x7fc00000
	v_cmp_o_f32_e32 vcc, v29, v29
	v_cndmask_b32_e32 v28, v30, v28, vcc
	v_trunc_f32_e32 v28, v28
	s_mov_b32 s10, 0x2f800000
	v_mul_f32_e64 v29, |v28|, s10
	v_floor_f32_e32 v29, v29
	s_mov_b32 s10, 0xcf800000
	v_fma_f32 v30, v29, s10, |v28|
	v_cvt_u32_f32_e32 v30, v30
	v_cvt_u32_f32_e32 v29, v29
	v_ashrrev_i32_e32 v31, 31, v28
	v_xor_b32_e32 v28, v30, v31
	v_xor_b32_e32 v29, v29, v31
	v_sub_co_u32_e32 v28, vcc, v28, v31
	v_subb_co_u32_e32 v29, vcc, v29, v31, vcc
	v_cmp_lt_i64_e32 vcc, -1, v[28:29]
	v_mov_b32_e32 v30, 0
	s_and_saveexec_b64 s[10:11], vcc
	s_cbranch_execz .LBB56_75
; %bb.64:
	v_cmp_lt_i64_e32 vcc, 0, v[28:29]
	v_mov_b32_e32 v30, 1.0
	s_and_saveexec_b64 s[14:15], vcc
	s_cbranch_execz .LBB56_74
; %bb.65:
	v_and_b32_e32 v31, 0xffff0000, v57
	v_cmp_ne_u64_e32 vcc, 1, v[28:29]
                                        ; implicit-def: $vgpr30
	s_and_saveexec_b64 s[20:21], vcc
	s_xor_b64 s[20:21], exec, s[20:21]
	s_cbranch_execz .LBB56_71
; %bb.66:
	s_mov_b64 s[22:23], 0x81
	v_cmp_gt_u64_e32 vcc, s[22:23], v[28:29]
	v_mov_b32_e32 v30, 0x7fc00000
	s_and_saveexec_b64 s[22:23], vcc
	s_cbranch_execz .LBB56_70
; %bb.67:
	s_mov_b64 s[26:27], 1
	s_mov_b64 s[24:25], 0
	v_mov_b32_e32 v57, 1.0
	v_mov_b32_e32 v30, v31
.LBB56_68:                              ; =>This Inner Loop Header: Depth=1
	s_flbit_i32_b32 s28, s27
	s_min_u32 s30, s28, 32
	s_lshl_b64 s[28:29], s[26:27], s30
	s_min_u32 s28, s28, 1
	s_or_b32 s28, s29, s28
	v_cvt_f32_u32_e32 v58, s28
	s_sub_i32 s30, 32, s30
	s_add_u32 s26, s26, 1
	s_addc_u32 s27, s27, 0
	v_ldexp_f32 v58, v58, s30
	v_cmp_eq_u64_e32 vcc, s[26:27], v[28:29]
	v_mul_f32_e32 v58, v57, v58
	s_or_b64 s[24:25], vcc, s[24:25]
	v_mov_b32_e32 v57, v30
	v_fma_f32 v30, v30, v31, -v58
	s_andn2_b64 exec, exec, s[24:25]
	s_cbranch_execnz .LBB56_68
; %bb.69:
	s_or_b64 exec, exec, s[24:25]
.LBB56_70:
	s_or_b64 exec, exec, s[22:23]
                                        ; implicit-def: $vgpr31
.LBB56_71:
	s_andn2_saveexec_b64 s[20:21], s[20:21]
; %bb.72:
	v_mov_b32_e32 v30, v31
; %bb.73:
	s_or_b64 exec, exec, s[20:21]
.LBB56_74:
	s_or_b64 exec, exec, s[14:15]
.LBB56_75:
	s_or_b64 exec, exec, s[10:11]
	s_waitcnt vmcnt(12)
	v_bfe_u32 v28, v26, 16, 1
	s_movk_i32 s10, 0x7fff
	v_add3_u32 v28, v26, v28, s10
	v_and_b32_e32 v28, 0xffff0000, v28
	v_mov_b32_e32 v29, 0x7fc00000
	v_cmp_o_f32_e32 vcc, v26, v26
	v_cndmask_b32_e32 v26, v29, v28, vcc
	v_trunc_f32_e32 v26, v26
	s_mov_b32 s10, 0x2f800000
	v_mul_f32_e64 v28, |v26|, s10
	v_floor_f32_e32 v28, v28
	s_mov_b32 s10, 0xcf800000
	v_fma_f32 v29, v28, s10, |v26|
	v_cvt_u32_f32_e32 v28, v28
	v_cvt_u32_f32_e32 v29, v29
	v_ashrrev_i32_e32 v26, 31, v26
	v_xor_b32_e32 v31, v28, v26
	v_xor_b32_e32 v28, v29, v26
	v_sub_co_u32_e32 v28, vcc, v28, v26
	v_subb_co_u32_e32 v29, vcc, v31, v26, vcc
	v_cmp_lt_i64_e32 vcc, -1, v[28:29]
	v_mov_b32_e32 v31, 0
	s_and_saveexec_b64 s[10:11], vcc
	s_cbranch_execz .LBB56_87
; %bb.76:
	v_cmp_lt_i64_e32 vcc, 0, v[28:29]
	v_mov_b32_e32 v31, 1.0
	s_and_saveexec_b64 s[14:15], vcc
	s_cbranch_execz .LBB56_86
; %bb.77:
	v_lshlrev_b32_e32 v26, 16, v56
	v_cmp_ne_u64_e32 vcc, 1, v[28:29]
                                        ; implicit-def: $vgpr31
	s_and_saveexec_b64 s[20:21], vcc
	s_xor_b64 s[20:21], exec, s[20:21]
	s_cbranch_execz .LBB56_83
; %bb.78:
	s_mov_b64 s[22:23], 0x81
	v_cmp_gt_u64_e32 vcc, s[22:23], v[28:29]
	v_mov_b32_e32 v31, 0x7fc00000
	s_and_saveexec_b64 s[22:23], vcc
	s_cbranch_execz .LBB56_82
; %bb.79:
	s_mov_b64 s[26:27], 1
	s_mov_b64 s[24:25], 0
	v_mov_b32_e32 v57, 1.0
	v_mov_b32_e32 v31, v26
.LBB56_80:                              ; =>This Inner Loop Header: Depth=1
	s_flbit_i32_b32 s28, s27
	s_min_u32 s30, s28, 32
	s_lshl_b64 s[28:29], s[26:27], s30
	s_min_u32 s28, s28, 1
	s_or_b32 s28, s29, s28
	v_cvt_f32_u32_e32 v58, s28
	s_sub_i32 s30, 32, s30
	s_add_u32 s26, s26, 1
	s_addc_u32 s27, s27, 0
	v_ldexp_f32 v58, v58, s30
	v_cmp_eq_u64_e32 vcc, s[26:27], v[28:29]
	v_mul_f32_e32 v58, v57, v58
	s_or_b64 s[24:25], vcc, s[24:25]
	v_mov_b32_e32 v57, v31
	v_fma_f32 v31, v31, v26, -v58
	s_andn2_b64 exec, exec, s[24:25]
	s_cbranch_execnz .LBB56_80
; %bb.81:
	s_or_b64 exec, exec, s[24:25]
.LBB56_82:
	s_or_b64 exec, exec, s[22:23]
                                        ; implicit-def: $vgpr26
.LBB56_83:
	s_andn2_saveexec_b64 s[20:21], s[20:21]
; %bb.84:
	v_mov_b32_e32 v31, v26
; %bb.85:
	s_or_b64 exec, exec, s[20:21]
.LBB56_86:
	s_or_b64 exec, exec, s[14:15]
.LBB56_87:
	s_or_b64 exec, exec, s[10:11]
	v_bfe_u32 v26, v27, 16, 1
	s_movk_i32 s10, 0x7fff
	v_add3_u32 v26, v27, v26, s10
	v_and_b32_e32 v26, 0xffff0000, v26
	v_mov_b32_e32 v28, 0x7fc00000
	v_cmp_o_f32_e32 vcc, v27, v27
	v_cndmask_b32_e32 v26, v28, v26, vcc
	v_trunc_f32_e32 v26, v26
	s_mov_b32 s10, 0x2f800000
	v_mul_f32_e64 v27, |v26|, s10
	v_floor_f32_e32 v27, v27
	s_mov_b32 s10, 0xcf800000
	v_fma_f32 v28, v27, s10, |v26|
	v_cvt_u32_f32_e32 v28, v28
	v_cvt_u32_f32_e32 v27, v27
	v_ashrrev_i32_e32 v29, 31, v26
	v_xor_b32_e32 v26, v28, v29
	v_xor_b32_e32 v27, v27, v29
	v_sub_co_u32_e32 v26, vcc, v26, v29
	v_subb_co_u32_e32 v27, vcc, v27, v29, vcc
	v_cmp_lt_i64_e32 vcc, -1, v[26:27]
	v_mov_b32_e32 v28, 0
	s_and_saveexec_b64 s[10:11], vcc
	s_cbranch_execz .LBB56_99
; %bb.88:
	v_cmp_lt_i64_e32 vcc, 0, v[26:27]
	v_mov_b32_e32 v28, 1.0
	s_and_saveexec_b64 s[14:15], vcc
	s_cbranch_execz .LBB56_98
; %bb.89:
	v_and_b32_e32 v29, 0xffff0000, v56
	v_cmp_ne_u64_e32 vcc, 1, v[26:27]
                                        ; implicit-def: $vgpr28
	s_and_saveexec_b64 s[20:21], vcc
	s_xor_b64 s[20:21], exec, s[20:21]
	s_cbranch_execz .LBB56_95
; %bb.90:
	s_mov_b64 s[22:23], 0x81
	v_cmp_gt_u64_e32 vcc, s[22:23], v[26:27]
	v_mov_b32_e32 v28, 0x7fc00000
	s_and_saveexec_b64 s[22:23], vcc
	s_cbranch_execz .LBB56_94
; %bb.91:
	s_mov_b64 s[26:27], 1
	s_mov_b64 s[24:25], 0
	v_mov_b32_e32 v56, 1.0
	v_mov_b32_e32 v28, v29
.LBB56_92:                              ; =>This Inner Loop Header: Depth=1
	s_flbit_i32_b32 s28, s27
	s_min_u32 s30, s28, 32
	s_lshl_b64 s[28:29], s[26:27], s30
	s_min_u32 s28, s28, 1
	s_or_b32 s28, s29, s28
	v_cvt_f32_u32_e32 v57, s28
	s_sub_i32 s30, 32, s30
	s_add_u32 s26, s26, 1
	s_addc_u32 s27, s27, 0
	v_ldexp_f32 v57, v57, s30
	v_cmp_eq_u64_e32 vcc, s[26:27], v[26:27]
	v_mul_f32_e32 v57, v56, v57
	s_or_b64 s[24:25], vcc, s[24:25]
	v_mov_b32_e32 v56, v28
	v_fma_f32 v28, v28, v29, -v57
	s_andn2_b64 exec, exec, s[24:25]
	s_cbranch_execnz .LBB56_92
; %bb.93:
	s_or_b64 exec, exec, s[24:25]
.LBB56_94:
	s_or_b64 exec, exec, s[22:23]
                                        ; implicit-def: $vgpr29
.LBB56_95:
	s_andn2_saveexec_b64 s[20:21], s[20:21]
; %bb.96:
	v_mov_b32_e32 v28, v29
; %bb.97:
	s_or_b64 exec, exec, s[20:21]
.LBB56_98:
	s_or_b64 exec, exec, s[14:15]
.LBB56_99:
	s_or_b64 exec, exec, s[10:11]
	s_waitcnt vmcnt(11)
	v_bfe_u32 v26, v24, 16, 1
	s_movk_i32 s10, 0x7fff
	v_add3_u32 v26, v24, v26, s10
	v_and_b32_e32 v26, 0xffff0000, v26
	v_mov_b32_e32 v27, 0x7fc00000
	v_cmp_o_f32_e32 vcc, v24, v24
	v_cndmask_b32_e32 v24, v27, v26, vcc
	v_trunc_f32_e32 v24, v24
	s_mov_b32 s10, 0x2f800000
	v_mul_f32_e64 v26, |v24|, s10
	v_floor_f32_e32 v26, v26
	s_mov_b32 s10, 0xcf800000
	v_fma_f32 v27, v26, s10, |v24|
	v_cvt_u32_f32_e32 v26, v26
	v_cvt_u32_f32_e32 v27, v27
	v_ashrrev_i32_e32 v24, 31, v24
	v_xor_b32_e32 v29, v26, v24
	v_xor_b32_e32 v26, v27, v24
	v_sub_co_u32_e32 v26, vcc, v26, v24
	v_subb_co_u32_e32 v27, vcc, v29, v24, vcc
	v_cmp_lt_i64_e32 vcc, -1, v[26:27]
	v_mov_b32_e32 v29, 0
	s_and_saveexec_b64 s[10:11], vcc
	s_cbranch_execz .LBB56_111
; %bb.100:
	v_cmp_lt_i64_e32 vcc, 0, v[26:27]
	v_mov_b32_e32 v29, 1.0
	s_and_saveexec_b64 s[14:15], vcc
	s_cbranch_execz .LBB56_110
; %bb.101:
	v_lshlrev_b32_e32 v24, 16, v55
	v_cmp_ne_u64_e32 vcc, 1, v[26:27]
                                        ; implicit-def: $vgpr29
	s_and_saveexec_b64 s[20:21], vcc
	s_xor_b64 s[20:21], exec, s[20:21]
	s_cbranch_execz .LBB56_107
; %bb.102:
	s_mov_b64 s[22:23], 0x81
	v_cmp_gt_u64_e32 vcc, s[22:23], v[26:27]
	v_mov_b32_e32 v29, 0x7fc00000
	s_and_saveexec_b64 s[22:23], vcc
	s_cbranch_execz .LBB56_106
; %bb.103:
	s_mov_b64 s[26:27], 1
	s_mov_b64 s[24:25], 0
	v_mov_b32_e32 v56, 1.0
	v_mov_b32_e32 v29, v24
.LBB56_104:                             ; =>This Inner Loop Header: Depth=1
	s_flbit_i32_b32 s28, s27
	s_min_u32 s30, s28, 32
	s_lshl_b64 s[28:29], s[26:27], s30
	s_min_u32 s28, s28, 1
	s_or_b32 s28, s29, s28
	v_cvt_f32_u32_e32 v57, s28
	s_sub_i32 s30, 32, s30
	s_add_u32 s26, s26, 1
	s_addc_u32 s27, s27, 0
	v_ldexp_f32 v57, v57, s30
	v_cmp_eq_u64_e32 vcc, s[26:27], v[26:27]
	v_mul_f32_e32 v57, v56, v57
	s_or_b64 s[24:25], vcc, s[24:25]
	v_mov_b32_e32 v56, v29
	v_fma_f32 v29, v29, v24, -v57
	s_andn2_b64 exec, exec, s[24:25]
	s_cbranch_execnz .LBB56_104
; %bb.105:
	s_or_b64 exec, exec, s[24:25]
.LBB56_106:
	s_or_b64 exec, exec, s[22:23]
                                        ; implicit-def: $vgpr24
.LBB56_107:
	s_andn2_saveexec_b64 s[20:21], s[20:21]
; %bb.108:
	v_mov_b32_e32 v29, v24
; %bb.109:
	s_or_b64 exec, exec, s[20:21]
.LBB56_110:
	s_or_b64 exec, exec, s[14:15]
.LBB56_111:
	s_or_b64 exec, exec, s[10:11]
	v_bfe_u32 v24, v25, 16, 1
	s_movk_i32 s10, 0x7fff
	v_add3_u32 v24, v25, v24, s10
	v_and_b32_e32 v24, 0xffff0000, v24
	v_mov_b32_e32 v26, 0x7fc00000
	v_cmp_o_f32_e32 vcc, v25, v25
	v_cndmask_b32_e32 v24, v26, v24, vcc
	v_trunc_f32_e32 v24, v24
	s_mov_b32 s10, 0x2f800000
	v_mul_f32_e64 v25, |v24|, s10
	v_floor_f32_e32 v25, v25
	s_mov_b32 s10, 0xcf800000
	v_fma_f32 v26, v25, s10, |v24|
	v_cvt_u32_f32_e32 v26, v26
	v_cvt_u32_f32_e32 v25, v25
	v_ashrrev_i32_e32 v27, 31, v24
	v_xor_b32_e32 v24, v26, v27
	v_xor_b32_e32 v25, v25, v27
	v_sub_co_u32_e32 v24, vcc, v24, v27
	v_subb_co_u32_e32 v25, vcc, v25, v27, vcc
	v_cmp_lt_i64_e32 vcc, -1, v[24:25]
	v_mov_b32_e32 v26, 0
	s_and_saveexec_b64 s[10:11], vcc
	s_cbranch_execz .LBB56_123
; %bb.112:
	v_cmp_lt_i64_e32 vcc, 0, v[24:25]
	v_mov_b32_e32 v26, 1.0
	s_and_saveexec_b64 s[14:15], vcc
	s_cbranch_execz .LBB56_122
; %bb.113:
	v_and_b32_e32 v27, 0xffff0000, v55
	v_cmp_ne_u64_e32 vcc, 1, v[24:25]
                                        ; implicit-def: $vgpr26
	s_and_saveexec_b64 s[20:21], vcc
	s_xor_b64 s[20:21], exec, s[20:21]
	s_cbranch_execz .LBB56_119
; %bb.114:
	s_mov_b64 s[22:23], 0x81
	v_cmp_gt_u64_e32 vcc, s[22:23], v[24:25]
	v_mov_b32_e32 v26, 0x7fc00000
	s_and_saveexec_b64 s[22:23], vcc
	s_cbranch_execz .LBB56_118
; %bb.115:
	s_mov_b64 s[26:27], 1
	s_mov_b64 s[24:25], 0
	v_mov_b32_e32 v55, 1.0
	v_mov_b32_e32 v26, v27
.LBB56_116:                             ; =>This Inner Loop Header: Depth=1
	s_flbit_i32_b32 s28, s27
	s_min_u32 s30, s28, 32
	s_lshl_b64 s[28:29], s[26:27], s30
	s_min_u32 s28, s28, 1
	s_or_b32 s28, s29, s28
	v_cvt_f32_u32_e32 v56, s28
	s_sub_i32 s30, 32, s30
	s_add_u32 s26, s26, 1
	s_addc_u32 s27, s27, 0
	v_ldexp_f32 v56, v56, s30
	v_cmp_eq_u64_e32 vcc, s[26:27], v[24:25]
	v_mul_f32_e32 v56, v55, v56
	s_or_b64 s[24:25], vcc, s[24:25]
	v_mov_b32_e32 v55, v26
	v_fma_f32 v26, v26, v27, -v56
	s_andn2_b64 exec, exec, s[24:25]
	s_cbranch_execnz .LBB56_116
; %bb.117:
	s_or_b64 exec, exec, s[24:25]
.LBB56_118:
	s_or_b64 exec, exec, s[22:23]
                                        ; implicit-def: $vgpr27
.LBB56_119:
	s_andn2_saveexec_b64 s[20:21], s[20:21]
; %bb.120:
	v_mov_b32_e32 v26, v27
; %bb.121:
	s_or_b64 exec, exec, s[20:21]
.LBB56_122:
	s_or_b64 exec, exec, s[14:15]
.LBB56_123:
	s_or_b64 exec, exec, s[10:11]
	s_waitcnt vmcnt(10)
	v_bfe_u32 v24, v22, 16, 1
	s_movk_i32 s10, 0x7fff
	v_add3_u32 v24, v22, v24, s10
	v_and_b32_e32 v24, 0xffff0000, v24
	v_mov_b32_e32 v25, 0x7fc00000
	v_cmp_o_f32_e32 vcc, v22, v22
	v_cndmask_b32_e32 v22, v25, v24, vcc
	v_trunc_f32_e32 v22, v22
	s_mov_b32 s10, 0x2f800000
	v_mul_f32_e64 v24, |v22|, s10
	v_floor_f32_e32 v24, v24
	s_mov_b32 s10, 0xcf800000
	v_fma_f32 v25, v24, s10, |v22|
	v_cvt_u32_f32_e32 v24, v24
	v_cvt_u32_f32_e32 v25, v25
	v_ashrrev_i32_e32 v22, 31, v22
	v_xor_b32_e32 v27, v24, v22
	v_xor_b32_e32 v24, v25, v22
	v_sub_co_u32_e32 v24, vcc, v24, v22
	v_subb_co_u32_e32 v25, vcc, v27, v22, vcc
	v_cmp_lt_i64_e32 vcc, -1, v[24:25]
	v_mov_b32_e32 v27, 0
	s_and_saveexec_b64 s[10:11], vcc
	s_cbranch_execz .LBB56_135
; %bb.124:
	v_cmp_lt_i64_e32 vcc, 0, v[24:25]
	v_mov_b32_e32 v27, 1.0
	s_and_saveexec_b64 s[14:15], vcc
	s_cbranch_execz .LBB56_134
; %bb.125:
	v_lshlrev_b32_e32 v22, 16, v54
	v_cmp_ne_u64_e32 vcc, 1, v[24:25]
                                        ; implicit-def: $vgpr27
	s_and_saveexec_b64 s[20:21], vcc
	s_xor_b64 s[20:21], exec, s[20:21]
	s_cbranch_execz .LBB56_131
; %bb.126:
	s_mov_b64 s[22:23], 0x81
	v_cmp_gt_u64_e32 vcc, s[22:23], v[24:25]
	v_mov_b32_e32 v27, 0x7fc00000
	s_and_saveexec_b64 s[22:23], vcc
	s_cbranch_execz .LBB56_130
; %bb.127:
	s_mov_b64 s[26:27], 1
	s_mov_b64 s[24:25], 0
	v_mov_b32_e32 v55, 1.0
	v_mov_b32_e32 v27, v22
.LBB56_128:                             ; =>This Inner Loop Header: Depth=1
	s_flbit_i32_b32 s28, s27
	s_min_u32 s30, s28, 32
	s_lshl_b64 s[28:29], s[26:27], s30
	s_min_u32 s28, s28, 1
	s_or_b32 s28, s29, s28
	v_cvt_f32_u32_e32 v56, s28
	s_sub_i32 s30, 32, s30
	s_add_u32 s26, s26, 1
	s_addc_u32 s27, s27, 0
	v_ldexp_f32 v56, v56, s30
	v_cmp_eq_u64_e32 vcc, s[26:27], v[24:25]
	v_mul_f32_e32 v56, v55, v56
	s_or_b64 s[24:25], vcc, s[24:25]
	v_mov_b32_e32 v55, v27
	v_fma_f32 v27, v27, v22, -v56
	s_andn2_b64 exec, exec, s[24:25]
	s_cbranch_execnz .LBB56_128
; %bb.129:
	s_or_b64 exec, exec, s[24:25]
.LBB56_130:
	s_or_b64 exec, exec, s[22:23]
                                        ; implicit-def: $vgpr22
.LBB56_131:
	s_andn2_saveexec_b64 s[20:21], s[20:21]
; %bb.132:
	v_mov_b32_e32 v27, v22
; %bb.133:
	s_or_b64 exec, exec, s[20:21]
.LBB56_134:
	s_or_b64 exec, exec, s[14:15]
.LBB56_135:
	s_or_b64 exec, exec, s[10:11]
	v_bfe_u32 v22, v23, 16, 1
	s_movk_i32 s10, 0x7fff
	v_add3_u32 v22, v23, v22, s10
	v_and_b32_e32 v22, 0xffff0000, v22
	v_mov_b32_e32 v24, 0x7fc00000
	v_cmp_o_f32_e32 vcc, v23, v23
	v_cndmask_b32_e32 v22, v24, v22, vcc
	v_trunc_f32_e32 v22, v22
	s_mov_b32 s10, 0x2f800000
	v_mul_f32_e64 v23, |v22|, s10
	v_floor_f32_e32 v23, v23
	s_mov_b32 s10, 0xcf800000
	v_fma_f32 v24, v23, s10, |v22|
	v_cvt_u32_f32_e32 v24, v24
	v_cvt_u32_f32_e32 v23, v23
	v_ashrrev_i32_e32 v25, 31, v22
	v_xor_b32_e32 v22, v24, v25
	v_xor_b32_e32 v23, v23, v25
	v_sub_co_u32_e32 v22, vcc, v22, v25
	v_subb_co_u32_e32 v23, vcc, v23, v25, vcc
	v_cmp_lt_i64_e32 vcc, -1, v[22:23]
	v_mov_b32_e32 v24, 0
	s_and_saveexec_b64 s[10:11], vcc
	s_cbranch_execz .LBB56_147
; %bb.136:
	v_cmp_lt_i64_e32 vcc, 0, v[22:23]
	v_mov_b32_e32 v24, 1.0
	s_and_saveexec_b64 s[14:15], vcc
	s_cbranch_execz .LBB56_146
; %bb.137:
	v_and_b32_e32 v25, 0xffff0000, v54
	v_cmp_ne_u64_e32 vcc, 1, v[22:23]
                                        ; implicit-def: $vgpr24
	s_and_saveexec_b64 s[20:21], vcc
	s_xor_b64 s[20:21], exec, s[20:21]
	s_cbranch_execz .LBB56_143
; %bb.138:
	s_mov_b64 s[22:23], 0x81
	v_cmp_gt_u64_e32 vcc, s[22:23], v[22:23]
	v_mov_b32_e32 v24, 0x7fc00000
	s_and_saveexec_b64 s[22:23], vcc
	s_cbranch_execz .LBB56_142
; %bb.139:
	s_mov_b64 s[26:27], 1
	s_mov_b64 s[24:25], 0
	v_mov_b32_e32 v54, 1.0
	v_mov_b32_e32 v24, v25
.LBB56_140:                             ; =>This Inner Loop Header: Depth=1
	s_flbit_i32_b32 s28, s27
	s_min_u32 s30, s28, 32
	s_lshl_b64 s[28:29], s[26:27], s30
	s_min_u32 s28, s28, 1
	s_or_b32 s28, s29, s28
	v_cvt_f32_u32_e32 v55, s28
	s_sub_i32 s30, 32, s30
	s_add_u32 s26, s26, 1
	s_addc_u32 s27, s27, 0
	v_ldexp_f32 v55, v55, s30
	v_cmp_eq_u64_e32 vcc, s[26:27], v[22:23]
	v_mul_f32_e32 v55, v54, v55
	s_or_b64 s[24:25], vcc, s[24:25]
	v_mov_b32_e32 v54, v24
	v_fma_f32 v24, v24, v25, -v55
	s_andn2_b64 exec, exec, s[24:25]
	s_cbranch_execnz .LBB56_140
; %bb.141:
	s_or_b64 exec, exec, s[24:25]
.LBB56_142:
	s_or_b64 exec, exec, s[22:23]
                                        ; implicit-def: $vgpr25
.LBB56_143:
	s_andn2_saveexec_b64 s[20:21], s[20:21]
; %bb.144:
	v_mov_b32_e32 v24, v25
; %bb.145:
	s_or_b64 exec, exec, s[20:21]
.LBB56_146:
	s_or_b64 exec, exec, s[14:15]
.LBB56_147:
	s_or_b64 exec, exec, s[10:11]
	s_waitcnt vmcnt(9)
	v_bfe_u32 v22, v20, 16, 1
	s_movk_i32 s10, 0x7fff
	v_add3_u32 v22, v20, v22, s10
	v_and_b32_e32 v22, 0xffff0000, v22
	v_mov_b32_e32 v23, 0x7fc00000
	v_cmp_o_f32_e32 vcc, v20, v20
	v_cndmask_b32_e32 v20, v23, v22, vcc
	v_trunc_f32_e32 v20, v20
	s_mov_b32 s10, 0x2f800000
	v_mul_f32_e64 v22, |v20|, s10
	v_floor_f32_e32 v22, v22
	s_mov_b32 s10, 0xcf800000
	v_fma_f32 v23, v22, s10, |v20|
	v_cvt_u32_f32_e32 v22, v22
	v_cvt_u32_f32_e32 v23, v23
	v_ashrrev_i32_e32 v20, 31, v20
	v_xor_b32_e32 v25, v22, v20
	v_xor_b32_e32 v22, v23, v20
	v_sub_co_u32_e32 v22, vcc, v22, v20
	v_subb_co_u32_e32 v23, vcc, v25, v20, vcc
	v_cmp_lt_i64_e32 vcc, -1, v[22:23]
	v_mov_b32_e32 v25, 0
	s_and_saveexec_b64 s[10:11], vcc
	s_cbranch_execz .LBB56_159
; %bb.148:
	v_cmp_lt_i64_e32 vcc, 0, v[22:23]
	v_mov_b32_e32 v25, 1.0
	s_and_saveexec_b64 s[14:15], vcc
	s_cbranch_execz .LBB56_158
; %bb.149:
	v_lshlrev_b32_e32 v20, 16, v53
	v_cmp_ne_u64_e32 vcc, 1, v[22:23]
                                        ; implicit-def: $vgpr25
	s_and_saveexec_b64 s[20:21], vcc
	s_xor_b64 s[20:21], exec, s[20:21]
	s_cbranch_execz .LBB56_155
; %bb.150:
	s_mov_b64 s[22:23], 0x81
	v_cmp_gt_u64_e32 vcc, s[22:23], v[22:23]
	v_mov_b32_e32 v25, 0x7fc00000
	s_and_saveexec_b64 s[22:23], vcc
	s_cbranch_execz .LBB56_154
; %bb.151:
	s_mov_b64 s[26:27], 1
	s_mov_b64 s[24:25], 0
	v_mov_b32_e32 v54, 1.0
	v_mov_b32_e32 v25, v20
.LBB56_152:                             ; =>This Inner Loop Header: Depth=1
	s_flbit_i32_b32 s28, s27
	s_min_u32 s30, s28, 32
	s_lshl_b64 s[28:29], s[26:27], s30
	s_min_u32 s28, s28, 1
	s_or_b32 s28, s29, s28
	v_cvt_f32_u32_e32 v55, s28
	s_sub_i32 s30, 32, s30
	s_add_u32 s26, s26, 1
	s_addc_u32 s27, s27, 0
	v_ldexp_f32 v55, v55, s30
	v_cmp_eq_u64_e32 vcc, s[26:27], v[22:23]
	v_mul_f32_e32 v55, v54, v55
	s_or_b64 s[24:25], vcc, s[24:25]
	v_mov_b32_e32 v54, v25
	v_fma_f32 v25, v25, v20, -v55
	s_andn2_b64 exec, exec, s[24:25]
	s_cbranch_execnz .LBB56_152
; %bb.153:
	s_or_b64 exec, exec, s[24:25]
.LBB56_154:
	s_or_b64 exec, exec, s[22:23]
                                        ; implicit-def: $vgpr20
.LBB56_155:
	s_andn2_saveexec_b64 s[20:21], s[20:21]
; %bb.156:
	v_mov_b32_e32 v25, v20
; %bb.157:
	s_or_b64 exec, exec, s[20:21]
.LBB56_158:
	s_or_b64 exec, exec, s[14:15]
.LBB56_159:
	s_or_b64 exec, exec, s[10:11]
	v_bfe_u32 v20, v21, 16, 1
	s_movk_i32 s10, 0x7fff
	v_add3_u32 v20, v21, v20, s10
	v_and_b32_e32 v20, 0xffff0000, v20
	v_mov_b32_e32 v22, 0x7fc00000
	v_cmp_o_f32_e32 vcc, v21, v21
	v_cndmask_b32_e32 v20, v22, v20, vcc
	v_trunc_f32_e32 v20, v20
	s_mov_b32 s10, 0x2f800000
	v_mul_f32_e64 v21, |v20|, s10
	v_floor_f32_e32 v21, v21
	s_mov_b32 s10, 0xcf800000
	v_fma_f32 v22, v21, s10, |v20|
	v_cvt_u32_f32_e32 v22, v22
	v_cvt_u32_f32_e32 v21, v21
	v_ashrrev_i32_e32 v23, 31, v20
	v_xor_b32_e32 v20, v22, v23
	v_xor_b32_e32 v21, v21, v23
	v_sub_co_u32_e32 v20, vcc, v20, v23
	v_subb_co_u32_e32 v21, vcc, v21, v23, vcc
	v_cmp_lt_i64_e32 vcc, -1, v[20:21]
	v_mov_b32_e32 v22, 0
	s_and_saveexec_b64 s[10:11], vcc
	s_cbranch_execz .LBB56_171
; %bb.160:
	v_cmp_lt_i64_e32 vcc, 0, v[20:21]
	v_mov_b32_e32 v22, 1.0
	s_and_saveexec_b64 s[14:15], vcc
	s_cbranch_execz .LBB56_170
; %bb.161:
	v_and_b32_e32 v23, 0xffff0000, v53
	v_cmp_ne_u64_e32 vcc, 1, v[20:21]
                                        ; implicit-def: $vgpr22
	s_and_saveexec_b64 s[20:21], vcc
	s_xor_b64 s[20:21], exec, s[20:21]
	s_cbranch_execz .LBB56_167
; %bb.162:
	s_mov_b64 s[22:23], 0x81
	v_cmp_gt_u64_e32 vcc, s[22:23], v[20:21]
	v_mov_b32_e32 v22, 0x7fc00000
	s_and_saveexec_b64 s[22:23], vcc
	s_cbranch_execz .LBB56_166
; %bb.163:
	s_mov_b64 s[26:27], 1
	s_mov_b64 s[24:25], 0
	v_mov_b32_e32 v53, 1.0
	v_mov_b32_e32 v22, v23
.LBB56_164:                             ; =>This Inner Loop Header: Depth=1
	s_flbit_i32_b32 s28, s27
	s_min_u32 s30, s28, 32
	s_lshl_b64 s[28:29], s[26:27], s30
	s_min_u32 s28, s28, 1
	s_or_b32 s28, s29, s28
	v_cvt_f32_u32_e32 v54, s28
	s_sub_i32 s30, 32, s30
	s_add_u32 s26, s26, 1
	s_addc_u32 s27, s27, 0
	v_ldexp_f32 v54, v54, s30
	v_cmp_eq_u64_e32 vcc, s[26:27], v[20:21]
	v_mul_f32_e32 v54, v53, v54
	s_or_b64 s[24:25], vcc, s[24:25]
	v_mov_b32_e32 v53, v22
	v_fma_f32 v22, v22, v23, -v54
	s_andn2_b64 exec, exec, s[24:25]
	s_cbranch_execnz .LBB56_164
; %bb.165:
	s_or_b64 exec, exec, s[24:25]
.LBB56_166:
	s_or_b64 exec, exec, s[22:23]
                                        ; implicit-def: $vgpr23
.LBB56_167:
	s_andn2_saveexec_b64 s[20:21], s[20:21]
; %bb.168:
	v_mov_b32_e32 v22, v23
; %bb.169:
	s_or_b64 exec, exec, s[20:21]
.LBB56_170:
	s_or_b64 exec, exec, s[14:15]
.LBB56_171:
	s_or_b64 exec, exec, s[10:11]
	s_waitcnt vmcnt(8)
	v_bfe_u32 v20, v18, 16, 1
	s_movk_i32 s10, 0x7fff
	v_add3_u32 v20, v18, v20, s10
	v_and_b32_e32 v20, 0xffff0000, v20
	v_mov_b32_e32 v21, 0x7fc00000
	v_cmp_o_f32_e32 vcc, v18, v18
	v_cndmask_b32_e32 v18, v21, v20, vcc
	v_trunc_f32_e32 v18, v18
	s_mov_b32 s10, 0x2f800000
	v_mul_f32_e64 v20, |v18|, s10
	v_floor_f32_e32 v20, v20
	s_mov_b32 s10, 0xcf800000
	v_fma_f32 v21, v20, s10, |v18|
	v_cvt_u32_f32_e32 v20, v20
	v_cvt_u32_f32_e32 v21, v21
	v_ashrrev_i32_e32 v18, 31, v18
	v_xor_b32_e32 v23, v20, v18
	v_xor_b32_e32 v20, v21, v18
	v_sub_co_u32_e32 v20, vcc, v20, v18
	v_subb_co_u32_e32 v21, vcc, v23, v18, vcc
	v_cmp_lt_i64_e32 vcc, -1, v[20:21]
	v_mov_b32_e32 v23, 0
	s_and_saveexec_b64 s[10:11], vcc
	s_cbranch_execz .LBB56_183
; %bb.172:
	v_cmp_lt_i64_e32 vcc, 0, v[20:21]
	v_mov_b32_e32 v23, 1.0
	s_and_saveexec_b64 s[14:15], vcc
	s_cbranch_execz .LBB56_182
; %bb.173:
	v_lshlrev_b32_e32 v18, 16, v52
	v_cmp_ne_u64_e32 vcc, 1, v[20:21]
                                        ; implicit-def: $vgpr23
	s_and_saveexec_b64 s[20:21], vcc
	s_xor_b64 s[20:21], exec, s[20:21]
	s_cbranch_execz .LBB56_179
; %bb.174:
	s_mov_b64 s[22:23], 0x81
	v_cmp_gt_u64_e32 vcc, s[22:23], v[20:21]
	v_mov_b32_e32 v23, 0x7fc00000
	s_and_saveexec_b64 s[22:23], vcc
	s_cbranch_execz .LBB56_178
; %bb.175:
	s_mov_b64 s[26:27], 1
	s_mov_b64 s[24:25], 0
	v_mov_b32_e32 v53, 1.0
	v_mov_b32_e32 v23, v18
.LBB56_176:                             ; =>This Inner Loop Header: Depth=1
	s_flbit_i32_b32 s28, s27
	s_min_u32 s30, s28, 32
	s_lshl_b64 s[28:29], s[26:27], s30
	s_min_u32 s28, s28, 1
	s_or_b32 s28, s29, s28
	v_cvt_f32_u32_e32 v54, s28
	s_sub_i32 s30, 32, s30
	s_add_u32 s26, s26, 1
	s_addc_u32 s27, s27, 0
	v_ldexp_f32 v54, v54, s30
	v_cmp_eq_u64_e32 vcc, s[26:27], v[20:21]
	v_mul_f32_e32 v54, v53, v54
	s_or_b64 s[24:25], vcc, s[24:25]
	v_mov_b32_e32 v53, v23
	v_fma_f32 v23, v23, v18, -v54
	s_andn2_b64 exec, exec, s[24:25]
	s_cbranch_execnz .LBB56_176
; %bb.177:
	s_or_b64 exec, exec, s[24:25]
.LBB56_178:
	s_or_b64 exec, exec, s[22:23]
                                        ; implicit-def: $vgpr18
.LBB56_179:
	s_andn2_saveexec_b64 s[20:21], s[20:21]
; %bb.180:
	v_mov_b32_e32 v23, v18
; %bb.181:
	s_or_b64 exec, exec, s[20:21]
.LBB56_182:
	s_or_b64 exec, exec, s[14:15]
.LBB56_183:
	s_or_b64 exec, exec, s[10:11]
	v_bfe_u32 v18, v19, 16, 1
	s_movk_i32 s10, 0x7fff
	v_add3_u32 v18, v19, v18, s10
	v_and_b32_e32 v18, 0xffff0000, v18
	v_mov_b32_e32 v20, 0x7fc00000
	v_cmp_o_f32_e32 vcc, v19, v19
	v_cndmask_b32_e32 v18, v20, v18, vcc
	v_trunc_f32_e32 v18, v18
	s_mov_b32 s10, 0x2f800000
	v_mul_f32_e64 v19, |v18|, s10
	v_floor_f32_e32 v19, v19
	s_mov_b32 s10, 0xcf800000
	v_fma_f32 v20, v19, s10, |v18|
	v_cvt_u32_f32_e32 v20, v20
	v_cvt_u32_f32_e32 v19, v19
	v_ashrrev_i32_e32 v21, 31, v18
	v_xor_b32_e32 v18, v20, v21
	v_xor_b32_e32 v19, v19, v21
	v_sub_co_u32_e32 v18, vcc, v18, v21
	v_subb_co_u32_e32 v19, vcc, v19, v21, vcc
	v_cmp_lt_i64_e32 vcc, -1, v[18:19]
	v_mov_b32_e32 v20, 0
	s_and_saveexec_b64 s[10:11], vcc
	s_cbranch_execz .LBB56_195
; %bb.184:
	v_cmp_lt_i64_e32 vcc, 0, v[18:19]
	v_mov_b32_e32 v20, 1.0
	s_and_saveexec_b64 s[14:15], vcc
	s_cbranch_execz .LBB56_194
; %bb.185:
	v_and_b32_e32 v21, 0xffff0000, v52
	v_cmp_ne_u64_e32 vcc, 1, v[18:19]
                                        ; implicit-def: $vgpr20
	s_and_saveexec_b64 s[20:21], vcc
	s_xor_b64 s[20:21], exec, s[20:21]
	s_cbranch_execz .LBB56_191
; %bb.186:
	s_mov_b64 s[22:23], 0x81
	v_cmp_gt_u64_e32 vcc, s[22:23], v[18:19]
	v_mov_b32_e32 v20, 0x7fc00000
	s_and_saveexec_b64 s[22:23], vcc
	s_cbranch_execz .LBB56_190
; %bb.187:
	s_mov_b64 s[26:27], 1
	s_mov_b64 s[24:25], 0
	v_mov_b32_e32 v52, 1.0
	v_mov_b32_e32 v20, v21
.LBB56_188:                             ; =>This Inner Loop Header: Depth=1
	s_flbit_i32_b32 s28, s27
	s_min_u32 s30, s28, 32
	s_lshl_b64 s[28:29], s[26:27], s30
	s_min_u32 s28, s28, 1
	s_or_b32 s28, s29, s28
	v_cvt_f32_u32_e32 v53, s28
	s_sub_i32 s30, 32, s30
	s_add_u32 s26, s26, 1
	s_addc_u32 s27, s27, 0
	v_ldexp_f32 v53, v53, s30
	v_cmp_eq_u64_e32 vcc, s[26:27], v[18:19]
	v_mul_f32_e32 v53, v52, v53
	s_or_b64 s[24:25], vcc, s[24:25]
	v_mov_b32_e32 v52, v20
	v_fma_f32 v20, v20, v21, -v53
	s_andn2_b64 exec, exec, s[24:25]
	s_cbranch_execnz .LBB56_188
; %bb.189:
	s_or_b64 exec, exec, s[24:25]
.LBB56_190:
	s_or_b64 exec, exec, s[22:23]
                                        ; implicit-def: $vgpr21
.LBB56_191:
	s_andn2_saveexec_b64 s[20:21], s[20:21]
; %bb.192:
	v_mov_b32_e32 v20, v21
; %bb.193:
	s_or_b64 exec, exec, s[20:21]
.LBB56_194:
	s_or_b64 exec, exec, s[14:15]
.LBB56_195:
	s_or_b64 exec, exec, s[10:11]
	s_waitcnt vmcnt(7)
	v_bfe_u32 v18, v16, 16, 1
	s_movk_i32 s10, 0x7fff
	v_add3_u32 v18, v16, v18, s10
	v_and_b32_e32 v18, 0xffff0000, v18
	v_mov_b32_e32 v19, 0x7fc00000
	v_cmp_o_f32_e32 vcc, v16, v16
	v_cndmask_b32_e32 v16, v19, v18, vcc
	v_trunc_f32_e32 v16, v16
	s_mov_b32 s10, 0x2f800000
	v_mul_f32_e64 v18, |v16|, s10
	v_floor_f32_e32 v18, v18
	s_mov_b32 s10, 0xcf800000
	v_fma_f32 v19, v18, s10, |v16|
	v_cvt_u32_f32_e32 v18, v18
	v_cvt_u32_f32_e32 v19, v19
	v_ashrrev_i32_e32 v16, 31, v16
	v_xor_b32_e32 v21, v18, v16
	v_xor_b32_e32 v18, v19, v16
	v_sub_co_u32_e32 v18, vcc, v18, v16
	v_subb_co_u32_e32 v19, vcc, v21, v16, vcc
	v_cmp_lt_i64_e32 vcc, -1, v[18:19]
	v_mov_b32_e32 v21, 0
	s_and_saveexec_b64 s[10:11], vcc
	s_cbranch_execz .LBB56_207
; %bb.196:
	v_cmp_lt_i64_e32 vcc, 0, v[18:19]
	v_mov_b32_e32 v21, 1.0
	s_and_saveexec_b64 s[14:15], vcc
	s_cbranch_execz .LBB56_206
; %bb.197:
	v_lshlrev_b32_e32 v16, 16, v51
	v_cmp_ne_u64_e32 vcc, 1, v[18:19]
                                        ; implicit-def: $vgpr21
	s_and_saveexec_b64 s[20:21], vcc
	s_xor_b64 s[20:21], exec, s[20:21]
	s_cbranch_execz .LBB56_203
; %bb.198:
	s_mov_b64 s[22:23], 0x81
	v_cmp_gt_u64_e32 vcc, s[22:23], v[18:19]
	v_mov_b32_e32 v21, 0x7fc00000
	s_and_saveexec_b64 s[22:23], vcc
	s_cbranch_execz .LBB56_202
; %bb.199:
	s_mov_b64 s[26:27], 1
	s_mov_b64 s[24:25], 0
	v_mov_b32_e32 v52, 1.0
	v_mov_b32_e32 v21, v16
.LBB56_200:                             ; =>This Inner Loop Header: Depth=1
	s_flbit_i32_b32 s28, s27
	s_min_u32 s30, s28, 32
	s_lshl_b64 s[28:29], s[26:27], s30
	s_min_u32 s28, s28, 1
	s_or_b32 s28, s29, s28
	v_cvt_f32_u32_e32 v53, s28
	s_sub_i32 s30, 32, s30
	s_add_u32 s26, s26, 1
	s_addc_u32 s27, s27, 0
	v_ldexp_f32 v53, v53, s30
	v_cmp_eq_u64_e32 vcc, s[26:27], v[18:19]
	v_mul_f32_e32 v53, v52, v53
	s_or_b64 s[24:25], vcc, s[24:25]
	v_mov_b32_e32 v52, v21
	v_fma_f32 v21, v21, v16, -v53
	s_andn2_b64 exec, exec, s[24:25]
	s_cbranch_execnz .LBB56_200
; %bb.201:
	s_or_b64 exec, exec, s[24:25]
.LBB56_202:
	s_or_b64 exec, exec, s[22:23]
                                        ; implicit-def: $vgpr16
.LBB56_203:
	s_andn2_saveexec_b64 s[20:21], s[20:21]
; %bb.204:
	v_mov_b32_e32 v21, v16
; %bb.205:
	s_or_b64 exec, exec, s[20:21]
.LBB56_206:
	s_or_b64 exec, exec, s[14:15]
.LBB56_207:
	s_or_b64 exec, exec, s[10:11]
	v_bfe_u32 v16, v17, 16, 1
	s_movk_i32 s10, 0x7fff
	v_add3_u32 v16, v17, v16, s10
	v_and_b32_e32 v16, 0xffff0000, v16
	v_mov_b32_e32 v18, 0x7fc00000
	v_cmp_o_f32_e32 vcc, v17, v17
	v_cndmask_b32_e32 v16, v18, v16, vcc
	v_trunc_f32_e32 v16, v16
	s_mov_b32 s10, 0x2f800000
	v_mul_f32_e64 v17, |v16|, s10
	v_floor_f32_e32 v17, v17
	s_mov_b32 s10, 0xcf800000
	v_fma_f32 v18, v17, s10, |v16|
	v_cvt_u32_f32_e32 v18, v18
	v_cvt_u32_f32_e32 v17, v17
	v_ashrrev_i32_e32 v19, 31, v16
	v_xor_b32_e32 v16, v18, v19
	v_xor_b32_e32 v17, v17, v19
	v_sub_co_u32_e32 v16, vcc, v16, v19
	v_subb_co_u32_e32 v17, vcc, v17, v19, vcc
	v_cmp_lt_i64_e32 vcc, -1, v[16:17]
	v_mov_b32_e32 v18, 0
	s_and_saveexec_b64 s[10:11], vcc
	s_cbranch_execz .LBB56_219
; %bb.208:
	v_cmp_lt_i64_e32 vcc, 0, v[16:17]
	v_mov_b32_e32 v18, 1.0
	s_and_saveexec_b64 s[14:15], vcc
	s_cbranch_execz .LBB56_218
; %bb.209:
	v_and_b32_e32 v19, 0xffff0000, v51
	v_cmp_ne_u64_e32 vcc, 1, v[16:17]
                                        ; implicit-def: $vgpr18
	s_and_saveexec_b64 s[20:21], vcc
	s_xor_b64 s[20:21], exec, s[20:21]
	s_cbranch_execz .LBB56_215
; %bb.210:
	s_mov_b64 s[22:23], 0x81
	v_cmp_gt_u64_e32 vcc, s[22:23], v[16:17]
	v_mov_b32_e32 v18, 0x7fc00000
	s_and_saveexec_b64 s[22:23], vcc
	s_cbranch_execz .LBB56_214
; %bb.211:
	s_mov_b64 s[26:27], 1
	s_mov_b64 s[24:25], 0
	v_mov_b32_e32 v51, 1.0
	v_mov_b32_e32 v18, v19
.LBB56_212:                             ; =>This Inner Loop Header: Depth=1
	s_flbit_i32_b32 s28, s27
	s_min_u32 s30, s28, 32
	s_lshl_b64 s[28:29], s[26:27], s30
	s_min_u32 s28, s28, 1
	s_or_b32 s28, s29, s28
	v_cvt_f32_u32_e32 v52, s28
	s_sub_i32 s30, 32, s30
	s_add_u32 s26, s26, 1
	s_addc_u32 s27, s27, 0
	v_ldexp_f32 v52, v52, s30
	v_cmp_eq_u64_e32 vcc, s[26:27], v[16:17]
	v_mul_f32_e32 v52, v51, v52
	s_or_b64 s[24:25], vcc, s[24:25]
	v_mov_b32_e32 v51, v18
	v_fma_f32 v18, v18, v19, -v52
	s_andn2_b64 exec, exec, s[24:25]
	s_cbranch_execnz .LBB56_212
; %bb.213:
	s_or_b64 exec, exec, s[24:25]
.LBB56_214:
	s_or_b64 exec, exec, s[22:23]
                                        ; implicit-def: $vgpr19
.LBB56_215:
	s_andn2_saveexec_b64 s[20:21], s[20:21]
; %bb.216:
	v_mov_b32_e32 v18, v19
; %bb.217:
	s_or_b64 exec, exec, s[20:21]
.LBB56_218:
	s_or_b64 exec, exec, s[14:15]
.LBB56_219:
	s_or_b64 exec, exec, s[10:11]
	s_waitcnt vmcnt(6)
	v_bfe_u32 v16, v14, 16, 1
	s_movk_i32 s10, 0x7fff
	v_add3_u32 v16, v14, v16, s10
	v_and_b32_e32 v16, 0xffff0000, v16
	v_mov_b32_e32 v17, 0x7fc00000
	v_cmp_o_f32_e32 vcc, v14, v14
	v_cndmask_b32_e32 v14, v17, v16, vcc
	v_trunc_f32_e32 v14, v14
	s_mov_b32 s10, 0x2f800000
	v_mul_f32_e64 v16, |v14|, s10
	v_floor_f32_e32 v16, v16
	s_mov_b32 s10, 0xcf800000
	v_fma_f32 v17, v16, s10, |v14|
	v_cvt_u32_f32_e32 v16, v16
	v_cvt_u32_f32_e32 v17, v17
	v_ashrrev_i32_e32 v14, 31, v14
	v_xor_b32_e32 v19, v16, v14
	v_xor_b32_e32 v16, v17, v14
	v_sub_co_u32_e32 v16, vcc, v16, v14
	v_subb_co_u32_e32 v17, vcc, v19, v14, vcc
	v_cmp_lt_i64_e32 vcc, -1, v[16:17]
	v_mov_b32_e32 v19, 0
	s_and_saveexec_b64 s[10:11], vcc
	s_cbranch_execz .LBB56_231
; %bb.220:
	v_cmp_lt_i64_e32 vcc, 0, v[16:17]
	v_mov_b32_e32 v19, 1.0
	s_and_saveexec_b64 s[14:15], vcc
	s_cbranch_execz .LBB56_230
; %bb.221:
	v_lshlrev_b32_e32 v14, 16, v50
	v_cmp_ne_u64_e32 vcc, 1, v[16:17]
                                        ; implicit-def: $vgpr19
	s_and_saveexec_b64 s[20:21], vcc
	s_xor_b64 s[20:21], exec, s[20:21]
	s_cbranch_execz .LBB56_227
; %bb.222:
	s_mov_b64 s[22:23], 0x81
	v_cmp_gt_u64_e32 vcc, s[22:23], v[16:17]
	v_mov_b32_e32 v19, 0x7fc00000
	s_and_saveexec_b64 s[22:23], vcc
	s_cbranch_execz .LBB56_226
; %bb.223:
	s_mov_b64 s[26:27], 1
	s_mov_b64 s[24:25], 0
	v_mov_b32_e32 v51, 1.0
	v_mov_b32_e32 v19, v14
.LBB56_224:                             ; =>This Inner Loop Header: Depth=1
	s_flbit_i32_b32 s28, s27
	s_min_u32 s30, s28, 32
	s_lshl_b64 s[28:29], s[26:27], s30
	s_min_u32 s28, s28, 1
	s_or_b32 s28, s29, s28
	v_cvt_f32_u32_e32 v52, s28
	s_sub_i32 s30, 32, s30
	s_add_u32 s26, s26, 1
	s_addc_u32 s27, s27, 0
	v_ldexp_f32 v52, v52, s30
	v_cmp_eq_u64_e32 vcc, s[26:27], v[16:17]
	v_mul_f32_e32 v52, v51, v52
	s_or_b64 s[24:25], vcc, s[24:25]
	v_mov_b32_e32 v51, v19
	v_fma_f32 v19, v19, v14, -v52
	s_andn2_b64 exec, exec, s[24:25]
	s_cbranch_execnz .LBB56_224
; %bb.225:
	s_or_b64 exec, exec, s[24:25]
.LBB56_226:
	s_or_b64 exec, exec, s[22:23]
                                        ; implicit-def: $vgpr14
.LBB56_227:
	s_andn2_saveexec_b64 s[20:21], s[20:21]
; %bb.228:
	v_mov_b32_e32 v19, v14
; %bb.229:
	s_or_b64 exec, exec, s[20:21]
.LBB56_230:
	s_or_b64 exec, exec, s[14:15]
.LBB56_231:
	s_or_b64 exec, exec, s[10:11]
	v_bfe_u32 v14, v15, 16, 1
	s_movk_i32 s10, 0x7fff
	v_add3_u32 v14, v15, v14, s10
	v_and_b32_e32 v14, 0xffff0000, v14
	v_mov_b32_e32 v16, 0x7fc00000
	v_cmp_o_f32_e32 vcc, v15, v15
	v_cndmask_b32_e32 v14, v16, v14, vcc
	v_trunc_f32_e32 v14, v14
	s_mov_b32 s10, 0x2f800000
	v_mul_f32_e64 v15, |v14|, s10
	v_floor_f32_e32 v15, v15
	s_mov_b32 s10, 0xcf800000
	v_fma_f32 v16, v15, s10, |v14|
	v_cvt_u32_f32_e32 v16, v16
	v_cvt_u32_f32_e32 v15, v15
	v_ashrrev_i32_e32 v17, 31, v14
	v_xor_b32_e32 v14, v16, v17
	v_xor_b32_e32 v15, v15, v17
	v_sub_co_u32_e32 v14, vcc, v14, v17
	v_subb_co_u32_e32 v15, vcc, v15, v17, vcc
	v_cmp_lt_i64_e32 vcc, -1, v[14:15]
	v_mov_b32_e32 v16, 0
	s_and_saveexec_b64 s[10:11], vcc
	s_cbranch_execz .LBB56_243
; %bb.232:
	v_cmp_lt_i64_e32 vcc, 0, v[14:15]
	v_mov_b32_e32 v16, 1.0
	s_and_saveexec_b64 s[14:15], vcc
	s_cbranch_execz .LBB56_242
; %bb.233:
	v_and_b32_e32 v17, 0xffff0000, v50
	v_cmp_ne_u64_e32 vcc, 1, v[14:15]
                                        ; implicit-def: $vgpr16
	s_and_saveexec_b64 s[20:21], vcc
	s_xor_b64 s[20:21], exec, s[20:21]
	s_cbranch_execz .LBB56_239
; %bb.234:
	s_mov_b64 s[22:23], 0x81
	v_cmp_gt_u64_e32 vcc, s[22:23], v[14:15]
	v_mov_b32_e32 v16, 0x7fc00000
	s_and_saveexec_b64 s[22:23], vcc
	s_cbranch_execz .LBB56_238
; %bb.235:
	s_mov_b64 s[26:27], 1
	s_mov_b64 s[24:25], 0
	v_mov_b32_e32 v50, 1.0
	v_mov_b32_e32 v16, v17
.LBB56_236:                             ; =>This Inner Loop Header: Depth=1
	s_flbit_i32_b32 s28, s27
	s_min_u32 s30, s28, 32
	s_lshl_b64 s[28:29], s[26:27], s30
	s_min_u32 s28, s28, 1
	s_or_b32 s28, s29, s28
	v_cvt_f32_u32_e32 v51, s28
	s_sub_i32 s30, 32, s30
	s_add_u32 s26, s26, 1
	s_addc_u32 s27, s27, 0
	v_ldexp_f32 v51, v51, s30
	v_cmp_eq_u64_e32 vcc, s[26:27], v[14:15]
	v_mul_f32_e32 v51, v50, v51
	s_or_b64 s[24:25], vcc, s[24:25]
	v_mov_b32_e32 v50, v16
	v_fma_f32 v16, v16, v17, -v51
	s_andn2_b64 exec, exec, s[24:25]
	s_cbranch_execnz .LBB56_236
; %bb.237:
	s_or_b64 exec, exec, s[24:25]
.LBB56_238:
	s_or_b64 exec, exec, s[22:23]
                                        ; implicit-def: $vgpr17
.LBB56_239:
	s_andn2_saveexec_b64 s[20:21], s[20:21]
; %bb.240:
	v_mov_b32_e32 v16, v17
; %bb.241:
	s_or_b64 exec, exec, s[20:21]
.LBB56_242:
	s_or_b64 exec, exec, s[14:15]
.LBB56_243:
	s_or_b64 exec, exec, s[10:11]
	s_waitcnt vmcnt(5)
	v_bfe_u32 v14, v12, 16, 1
	s_movk_i32 s10, 0x7fff
	v_add3_u32 v14, v12, v14, s10
	v_and_b32_e32 v14, 0xffff0000, v14
	v_mov_b32_e32 v15, 0x7fc00000
	v_cmp_o_f32_e32 vcc, v12, v12
	v_cndmask_b32_e32 v12, v15, v14, vcc
	v_trunc_f32_e32 v12, v12
	s_mov_b32 s10, 0x2f800000
	v_mul_f32_e64 v14, |v12|, s10
	v_floor_f32_e32 v14, v14
	s_mov_b32 s10, 0xcf800000
	v_fma_f32 v15, v14, s10, |v12|
	v_cvt_u32_f32_e32 v14, v14
	v_cvt_u32_f32_e32 v15, v15
	v_ashrrev_i32_e32 v12, 31, v12
	v_xor_b32_e32 v17, v14, v12
	v_xor_b32_e32 v14, v15, v12
	v_sub_co_u32_e32 v14, vcc, v14, v12
	v_subb_co_u32_e32 v15, vcc, v17, v12, vcc
	v_cmp_lt_i64_e32 vcc, -1, v[14:15]
	v_mov_b32_e32 v17, 0
	s_and_saveexec_b64 s[10:11], vcc
	s_cbranch_execz .LBB56_255
; %bb.244:
	v_cmp_lt_i64_e32 vcc, 0, v[14:15]
	v_mov_b32_e32 v17, 1.0
	s_and_saveexec_b64 s[14:15], vcc
	s_cbranch_execz .LBB56_254
; %bb.245:
	v_lshlrev_b32_e32 v12, 16, v49
	v_cmp_ne_u64_e32 vcc, 1, v[14:15]
                                        ; implicit-def: $vgpr17
	s_and_saveexec_b64 s[20:21], vcc
	s_xor_b64 s[20:21], exec, s[20:21]
	s_cbranch_execz .LBB56_251
; %bb.246:
	s_mov_b64 s[22:23], 0x81
	v_cmp_gt_u64_e32 vcc, s[22:23], v[14:15]
	v_mov_b32_e32 v17, 0x7fc00000
	s_and_saveexec_b64 s[22:23], vcc
	s_cbranch_execz .LBB56_250
; %bb.247:
	s_mov_b64 s[26:27], 1
	s_mov_b64 s[24:25], 0
	v_mov_b32_e32 v50, 1.0
	v_mov_b32_e32 v17, v12
.LBB56_248:                             ; =>This Inner Loop Header: Depth=1
	s_flbit_i32_b32 s28, s27
	s_min_u32 s30, s28, 32
	s_lshl_b64 s[28:29], s[26:27], s30
	s_min_u32 s28, s28, 1
	s_or_b32 s28, s29, s28
	v_cvt_f32_u32_e32 v51, s28
	s_sub_i32 s30, 32, s30
	s_add_u32 s26, s26, 1
	s_addc_u32 s27, s27, 0
	v_ldexp_f32 v51, v51, s30
	v_cmp_eq_u64_e32 vcc, s[26:27], v[14:15]
	v_mul_f32_e32 v51, v50, v51
	s_or_b64 s[24:25], vcc, s[24:25]
	v_mov_b32_e32 v50, v17
	v_fma_f32 v17, v17, v12, -v51
	s_andn2_b64 exec, exec, s[24:25]
	s_cbranch_execnz .LBB56_248
; %bb.249:
	s_or_b64 exec, exec, s[24:25]
.LBB56_250:
	s_or_b64 exec, exec, s[22:23]
                                        ; implicit-def: $vgpr12
.LBB56_251:
	s_andn2_saveexec_b64 s[20:21], s[20:21]
; %bb.252:
	v_mov_b32_e32 v17, v12
; %bb.253:
	s_or_b64 exec, exec, s[20:21]
.LBB56_254:
	s_or_b64 exec, exec, s[14:15]
.LBB56_255:
	s_or_b64 exec, exec, s[10:11]
	v_bfe_u32 v12, v13, 16, 1
	s_movk_i32 s10, 0x7fff
	v_add3_u32 v12, v13, v12, s10
	v_and_b32_e32 v12, 0xffff0000, v12
	v_mov_b32_e32 v14, 0x7fc00000
	v_cmp_o_f32_e32 vcc, v13, v13
	v_cndmask_b32_e32 v12, v14, v12, vcc
	v_trunc_f32_e32 v12, v12
	s_mov_b32 s10, 0x2f800000
	v_mul_f32_e64 v13, |v12|, s10
	v_floor_f32_e32 v13, v13
	s_mov_b32 s10, 0xcf800000
	v_fma_f32 v14, v13, s10, |v12|
	v_cvt_u32_f32_e32 v14, v14
	v_cvt_u32_f32_e32 v13, v13
	v_ashrrev_i32_e32 v15, 31, v12
	v_xor_b32_e32 v12, v14, v15
	v_xor_b32_e32 v13, v13, v15
	v_sub_co_u32_e32 v12, vcc, v12, v15
	v_subb_co_u32_e32 v13, vcc, v13, v15, vcc
	v_cmp_lt_i64_e32 vcc, -1, v[12:13]
	v_mov_b32_e32 v14, 0
	s_and_saveexec_b64 s[10:11], vcc
	s_cbranch_execz .LBB56_267
; %bb.256:
	v_cmp_lt_i64_e32 vcc, 0, v[12:13]
	v_mov_b32_e32 v14, 1.0
	s_and_saveexec_b64 s[14:15], vcc
	s_cbranch_execz .LBB56_266
; %bb.257:
	v_and_b32_e32 v15, 0xffff0000, v49
	v_cmp_ne_u64_e32 vcc, 1, v[12:13]
                                        ; implicit-def: $vgpr14
	s_and_saveexec_b64 s[20:21], vcc
	s_xor_b64 s[20:21], exec, s[20:21]
	s_cbranch_execz .LBB56_263
; %bb.258:
	s_mov_b64 s[22:23], 0x81
	v_cmp_gt_u64_e32 vcc, s[22:23], v[12:13]
	v_mov_b32_e32 v14, 0x7fc00000
	s_and_saveexec_b64 s[22:23], vcc
	s_cbranch_execz .LBB56_262
; %bb.259:
	s_mov_b64 s[26:27], 1
	s_mov_b64 s[24:25], 0
	v_mov_b32_e32 v49, 1.0
	v_mov_b32_e32 v14, v15
.LBB56_260:                             ; =>This Inner Loop Header: Depth=1
	s_flbit_i32_b32 s28, s27
	s_min_u32 s30, s28, 32
	s_lshl_b64 s[28:29], s[26:27], s30
	s_min_u32 s28, s28, 1
	s_or_b32 s28, s29, s28
	v_cvt_f32_u32_e32 v50, s28
	s_sub_i32 s30, 32, s30
	s_add_u32 s26, s26, 1
	s_addc_u32 s27, s27, 0
	v_ldexp_f32 v50, v50, s30
	v_cmp_eq_u64_e32 vcc, s[26:27], v[12:13]
	v_mul_f32_e32 v50, v49, v50
	s_or_b64 s[24:25], vcc, s[24:25]
	v_mov_b32_e32 v49, v14
	v_fma_f32 v14, v14, v15, -v50
	s_andn2_b64 exec, exec, s[24:25]
	s_cbranch_execnz .LBB56_260
; %bb.261:
	s_or_b64 exec, exec, s[24:25]
.LBB56_262:
	s_or_b64 exec, exec, s[22:23]
                                        ; implicit-def: $vgpr15
.LBB56_263:
	s_andn2_saveexec_b64 s[20:21], s[20:21]
; %bb.264:
	v_mov_b32_e32 v14, v15
; %bb.265:
	s_or_b64 exec, exec, s[20:21]
.LBB56_266:
	s_or_b64 exec, exec, s[14:15]
.LBB56_267:
	s_or_b64 exec, exec, s[10:11]
	s_waitcnt vmcnt(4)
	v_bfe_u32 v12, v10, 16, 1
	s_movk_i32 s10, 0x7fff
	v_add3_u32 v12, v10, v12, s10
	v_and_b32_e32 v12, 0xffff0000, v12
	v_mov_b32_e32 v13, 0x7fc00000
	v_cmp_o_f32_e32 vcc, v10, v10
	v_cndmask_b32_e32 v10, v13, v12, vcc
	v_trunc_f32_e32 v10, v10
	s_mov_b32 s10, 0x2f800000
	v_mul_f32_e64 v12, |v10|, s10
	v_floor_f32_e32 v12, v12
	s_mov_b32 s10, 0xcf800000
	v_fma_f32 v13, v12, s10, |v10|
	v_cvt_u32_f32_e32 v12, v12
	v_cvt_u32_f32_e32 v13, v13
	v_ashrrev_i32_e32 v10, 31, v10
	v_xor_b32_e32 v15, v12, v10
	v_xor_b32_e32 v12, v13, v10
	v_sub_co_u32_e32 v12, vcc, v12, v10
	v_subb_co_u32_e32 v13, vcc, v15, v10, vcc
	v_cmp_lt_i64_e32 vcc, -1, v[12:13]
	v_mov_b32_e32 v15, 0
	s_and_saveexec_b64 s[10:11], vcc
	s_cbranch_execz .LBB56_279
; %bb.268:
	v_cmp_lt_i64_e32 vcc, 0, v[12:13]
	v_mov_b32_e32 v15, 1.0
	s_and_saveexec_b64 s[14:15], vcc
	s_cbranch_execz .LBB56_278
; %bb.269:
	v_lshlrev_b32_e32 v10, 16, v48
	v_cmp_ne_u64_e32 vcc, 1, v[12:13]
                                        ; implicit-def: $vgpr15
	s_and_saveexec_b64 s[20:21], vcc
	s_xor_b64 s[20:21], exec, s[20:21]
	s_cbranch_execz .LBB56_275
; %bb.270:
	s_mov_b64 s[22:23], 0x81
	v_cmp_gt_u64_e32 vcc, s[22:23], v[12:13]
	v_mov_b32_e32 v15, 0x7fc00000
	s_and_saveexec_b64 s[22:23], vcc
	s_cbranch_execz .LBB56_274
; %bb.271:
	s_mov_b64 s[26:27], 1
	s_mov_b64 s[24:25], 0
	v_mov_b32_e32 v49, 1.0
	v_mov_b32_e32 v15, v10
.LBB56_272:                             ; =>This Inner Loop Header: Depth=1
	s_flbit_i32_b32 s28, s27
	s_min_u32 s30, s28, 32
	s_lshl_b64 s[28:29], s[26:27], s30
	s_min_u32 s28, s28, 1
	s_or_b32 s28, s29, s28
	v_cvt_f32_u32_e32 v50, s28
	s_sub_i32 s30, 32, s30
	s_add_u32 s26, s26, 1
	s_addc_u32 s27, s27, 0
	v_ldexp_f32 v50, v50, s30
	v_cmp_eq_u64_e32 vcc, s[26:27], v[12:13]
	v_mul_f32_e32 v50, v49, v50
	s_or_b64 s[24:25], vcc, s[24:25]
	v_mov_b32_e32 v49, v15
	v_fma_f32 v15, v15, v10, -v50
	s_andn2_b64 exec, exec, s[24:25]
	s_cbranch_execnz .LBB56_272
; %bb.273:
	s_or_b64 exec, exec, s[24:25]
.LBB56_274:
	s_or_b64 exec, exec, s[22:23]
                                        ; implicit-def: $vgpr10
.LBB56_275:
	s_andn2_saveexec_b64 s[20:21], s[20:21]
; %bb.276:
	v_mov_b32_e32 v15, v10
; %bb.277:
	s_or_b64 exec, exec, s[20:21]
.LBB56_278:
	s_or_b64 exec, exec, s[14:15]
.LBB56_279:
	s_or_b64 exec, exec, s[10:11]
	v_bfe_u32 v10, v11, 16, 1
	s_movk_i32 s10, 0x7fff
	v_add3_u32 v10, v11, v10, s10
	v_and_b32_e32 v10, 0xffff0000, v10
	v_mov_b32_e32 v12, 0x7fc00000
	v_cmp_o_f32_e32 vcc, v11, v11
	v_cndmask_b32_e32 v10, v12, v10, vcc
	v_trunc_f32_e32 v10, v10
	s_mov_b32 s10, 0x2f800000
	v_mul_f32_e64 v11, |v10|, s10
	v_floor_f32_e32 v11, v11
	s_mov_b32 s10, 0xcf800000
	v_fma_f32 v12, v11, s10, |v10|
	v_cvt_u32_f32_e32 v12, v12
	v_cvt_u32_f32_e32 v11, v11
	v_ashrrev_i32_e32 v13, 31, v10
	v_xor_b32_e32 v10, v12, v13
	v_xor_b32_e32 v11, v11, v13
	v_sub_co_u32_e32 v10, vcc, v10, v13
	v_subb_co_u32_e32 v11, vcc, v11, v13, vcc
	v_cmp_lt_i64_e32 vcc, -1, v[10:11]
	v_mov_b32_e32 v12, 0
	s_and_saveexec_b64 s[10:11], vcc
	s_cbranch_execz .LBB56_291
; %bb.280:
	v_cmp_lt_i64_e32 vcc, 0, v[10:11]
	v_mov_b32_e32 v12, 1.0
	s_and_saveexec_b64 s[14:15], vcc
	s_cbranch_execz .LBB56_290
; %bb.281:
	v_and_b32_e32 v13, 0xffff0000, v48
	v_cmp_ne_u64_e32 vcc, 1, v[10:11]
                                        ; implicit-def: $vgpr12
	s_and_saveexec_b64 s[20:21], vcc
	s_xor_b64 s[20:21], exec, s[20:21]
	s_cbranch_execz .LBB56_287
; %bb.282:
	s_mov_b64 s[22:23], 0x81
	v_cmp_gt_u64_e32 vcc, s[22:23], v[10:11]
	v_mov_b32_e32 v12, 0x7fc00000
	s_and_saveexec_b64 s[22:23], vcc
	s_cbranch_execz .LBB56_286
; %bb.283:
	s_mov_b64 s[26:27], 1
	s_mov_b64 s[24:25], 0
	v_mov_b32_e32 v48, 1.0
	v_mov_b32_e32 v12, v13
.LBB56_284:                             ; =>This Inner Loop Header: Depth=1
	s_flbit_i32_b32 s28, s27
	s_min_u32 s30, s28, 32
	s_lshl_b64 s[28:29], s[26:27], s30
	s_min_u32 s28, s28, 1
	s_or_b32 s28, s29, s28
	v_cvt_f32_u32_e32 v49, s28
	s_sub_i32 s30, 32, s30
	s_add_u32 s26, s26, 1
	s_addc_u32 s27, s27, 0
	v_ldexp_f32 v49, v49, s30
	v_cmp_eq_u64_e32 vcc, s[26:27], v[10:11]
	v_mul_f32_e32 v49, v48, v49
	s_or_b64 s[24:25], vcc, s[24:25]
	v_mov_b32_e32 v48, v12
	v_fma_f32 v12, v12, v13, -v49
	s_andn2_b64 exec, exec, s[24:25]
	s_cbranch_execnz .LBB56_284
; %bb.285:
	s_or_b64 exec, exec, s[24:25]
.LBB56_286:
	s_or_b64 exec, exec, s[22:23]
                                        ; implicit-def: $vgpr13
.LBB56_287:
	s_andn2_saveexec_b64 s[20:21], s[20:21]
; %bb.288:
	v_mov_b32_e32 v12, v13
; %bb.289:
	s_or_b64 exec, exec, s[20:21]
.LBB56_290:
	s_or_b64 exec, exec, s[14:15]
.LBB56_291:
	s_or_b64 exec, exec, s[10:11]
	s_waitcnt vmcnt(3)
	v_bfe_u32 v10, v8, 16, 1
	s_movk_i32 s10, 0x7fff
	v_add3_u32 v10, v8, v10, s10
	v_and_b32_e32 v10, 0xffff0000, v10
	v_mov_b32_e32 v11, 0x7fc00000
	v_cmp_o_f32_e32 vcc, v8, v8
	v_cndmask_b32_e32 v8, v11, v10, vcc
	v_trunc_f32_e32 v8, v8
	s_mov_b32 s10, 0x2f800000
	v_mul_f32_e64 v10, |v8|, s10
	v_floor_f32_e32 v10, v10
	s_mov_b32 s10, 0xcf800000
	v_fma_f32 v11, v10, s10, |v8|
	v_cvt_u32_f32_e32 v10, v10
	v_cvt_u32_f32_e32 v11, v11
	v_ashrrev_i32_e32 v8, 31, v8
	v_xor_b32_e32 v13, v10, v8
	v_xor_b32_e32 v10, v11, v8
	v_sub_co_u32_e32 v10, vcc, v10, v8
	v_subb_co_u32_e32 v11, vcc, v13, v8, vcc
	v_cmp_lt_i64_e32 vcc, -1, v[10:11]
	v_mov_b32_e32 v13, 0
	s_and_saveexec_b64 s[10:11], vcc
	s_cbranch_execz .LBB56_303
; %bb.292:
	v_cmp_lt_i64_e32 vcc, 0, v[10:11]
	v_mov_b32_e32 v13, 1.0
	s_and_saveexec_b64 s[14:15], vcc
	s_cbranch_execz .LBB56_302
; %bb.293:
	v_lshlrev_b32_e32 v8, 16, v47
	v_cmp_ne_u64_e32 vcc, 1, v[10:11]
                                        ; implicit-def: $vgpr13
	s_and_saveexec_b64 s[20:21], vcc
	s_xor_b64 s[20:21], exec, s[20:21]
	s_cbranch_execz .LBB56_299
; %bb.294:
	s_mov_b64 s[22:23], 0x81
	v_cmp_gt_u64_e32 vcc, s[22:23], v[10:11]
	v_mov_b32_e32 v13, 0x7fc00000
	s_and_saveexec_b64 s[22:23], vcc
	s_cbranch_execz .LBB56_298
; %bb.295:
	s_mov_b64 s[26:27], 1
	s_mov_b64 s[24:25], 0
	v_mov_b32_e32 v48, 1.0
	v_mov_b32_e32 v13, v8
.LBB56_296:                             ; =>This Inner Loop Header: Depth=1
	s_flbit_i32_b32 s28, s27
	s_min_u32 s30, s28, 32
	s_lshl_b64 s[28:29], s[26:27], s30
	s_min_u32 s28, s28, 1
	s_or_b32 s28, s29, s28
	v_cvt_f32_u32_e32 v49, s28
	s_sub_i32 s30, 32, s30
	s_add_u32 s26, s26, 1
	s_addc_u32 s27, s27, 0
	v_ldexp_f32 v49, v49, s30
	v_cmp_eq_u64_e32 vcc, s[26:27], v[10:11]
	v_mul_f32_e32 v49, v48, v49
	s_or_b64 s[24:25], vcc, s[24:25]
	v_mov_b32_e32 v48, v13
	v_fma_f32 v13, v13, v8, -v49
	s_andn2_b64 exec, exec, s[24:25]
	s_cbranch_execnz .LBB56_296
; %bb.297:
	s_or_b64 exec, exec, s[24:25]
.LBB56_298:
	s_or_b64 exec, exec, s[22:23]
                                        ; implicit-def: $vgpr8
.LBB56_299:
	s_andn2_saveexec_b64 s[20:21], s[20:21]
; %bb.300:
	v_mov_b32_e32 v13, v8
; %bb.301:
	s_or_b64 exec, exec, s[20:21]
.LBB56_302:
	s_or_b64 exec, exec, s[14:15]
.LBB56_303:
	s_or_b64 exec, exec, s[10:11]
	v_bfe_u32 v8, v9, 16, 1
	s_movk_i32 s10, 0x7fff
	v_add3_u32 v8, v9, v8, s10
	v_and_b32_e32 v8, 0xffff0000, v8
	v_mov_b32_e32 v10, 0x7fc00000
	v_cmp_o_f32_e32 vcc, v9, v9
	v_cndmask_b32_e32 v8, v10, v8, vcc
	v_trunc_f32_e32 v8, v8
	s_mov_b32 s10, 0x2f800000
	v_mul_f32_e64 v9, |v8|, s10
	v_floor_f32_e32 v9, v9
	s_mov_b32 s10, 0xcf800000
	v_fma_f32 v10, v9, s10, |v8|
	v_cvt_u32_f32_e32 v10, v10
	v_cvt_u32_f32_e32 v9, v9
	v_ashrrev_i32_e32 v11, 31, v8
	v_xor_b32_e32 v8, v10, v11
	v_xor_b32_e32 v9, v9, v11
	v_sub_co_u32_e32 v8, vcc, v8, v11
	v_subb_co_u32_e32 v9, vcc, v9, v11, vcc
	v_cmp_lt_i64_e32 vcc, -1, v[8:9]
	v_mov_b32_e32 v10, 0
	s_and_saveexec_b64 s[10:11], vcc
	s_cbranch_execz .LBB56_315
; %bb.304:
	v_cmp_lt_i64_e32 vcc, 0, v[8:9]
	v_mov_b32_e32 v10, 1.0
	s_and_saveexec_b64 s[14:15], vcc
	s_cbranch_execz .LBB56_314
; %bb.305:
	v_and_b32_e32 v11, 0xffff0000, v47
	v_cmp_ne_u64_e32 vcc, 1, v[8:9]
                                        ; implicit-def: $vgpr10
	s_and_saveexec_b64 s[20:21], vcc
	s_xor_b64 s[20:21], exec, s[20:21]
	s_cbranch_execz .LBB56_311
; %bb.306:
	s_mov_b64 s[22:23], 0x81
	v_cmp_gt_u64_e32 vcc, s[22:23], v[8:9]
	v_mov_b32_e32 v10, 0x7fc00000
	s_and_saveexec_b64 s[22:23], vcc
	s_cbranch_execz .LBB56_310
; %bb.307:
	s_mov_b64 s[26:27], 1
	s_mov_b64 s[24:25], 0
	v_mov_b32_e32 v47, 1.0
	v_mov_b32_e32 v10, v11
.LBB56_308:                             ; =>This Inner Loop Header: Depth=1
	s_flbit_i32_b32 s28, s27
	s_min_u32 s30, s28, 32
	s_lshl_b64 s[28:29], s[26:27], s30
	s_min_u32 s28, s28, 1
	s_or_b32 s28, s29, s28
	v_cvt_f32_u32_e32 v48, s28
	s_sub_i32 s30, 32, s30
	s_add_u32 s26, s26, 1
	s_addc_u32 s27, s27, 0
	v_ldexp_f32 v48, v48, s30
	v_cmp_eq_u64_e32 vcc, s[26:27], v[8:9]
	v_mul_f32_e32 v48, v47, v48
	s_or_b64 s[24:25], vcc, s[24:25]
	v_mov_b32_e32 v47, v10
	v_fma_f32 v10, v10, v11, -v48
	s_andn2_b64 exec, exec, s[24:25]
	s_cbranch_execnz .LBB56_308
; %bb.309:
	s_or_b64 exec, exec, s[24:25]
.LBB56_310:
	s_or_b64 exec, exec, s[22:23]
                                        ; implicit-def: $vgpr11
.LBB56_311:
	s_andn2_saveexec_b64 s[20:21], s[20:21]
; %bb.312:
	v_mov_b32_e32 v10, v11
; %bb.313:
	s_or_b64 exec, exec, s[20:21]
.LBB56_314:
	s_or_b64 exec, exec, s[14:15]
.LBB56_315:
	s_or_b64 exec, exec, s[10:11]
	s_waitcnt vmcnt(2)
	v_bfe_u32 v8, v6, 16, 1
	s_movk_i32 s10, 0x7fff
	v_add3_u32 v8, v6, v8, s10
	v_and_b32_e32 v8, 0xffff0000, v8
	v_mov_b32_e32 v9, 0x7fc00000
	v_cmp_o_f32_e32 vcc, v6, v6
	v_cndmask_b32_e32 v6, v9, v8, vcc
	v_trunc_f32_e32 v6, v6
	s_mov_b32 s10, 0x2f800000
	v_mul_f32_e64 v8, |v6|, s10
	v_floor_f32_e32 v8, v8
	s_mov_b32 s10, 0xcf800000
	v_fma_f32 v9, v8, s10, |v6|
	v_cvt_u32_f32_e32 v8, v8
	v_cvt_u32_f32_e32 v9, v9
	v_ashrrev_i32_e32 v6, 31, v6
	v_xor_b32_e32 v11, v8, v6
	v_xor_b32_e32 v8, v9, v6
	v_sub_co_u32_e32 v8, vcc, v8, v6
	v_subb_co_u32_e32 v9, vcc, v11, v6, vcc
	v_cmp_lt_i64_e32 vcc, -1, v[8:9]
	v_mov_b32_e32 v11, 0
	s_and_saveexec_b64 s[10:11], vcc
	s_cbranch_execz .LBB56_327
; %bb.316:
	v_cmp_lt_i64_e32 vcc, 0, v[8:9]
	v_mov_b32_e32 v11, 1.0
	s_and_saveexec_b64 s[14:15], vcc
	s_cbranch_execz .LBB56_326
; %bb.317:
	v_lshlrev_b32_e32 v6, 16, v46
	v_cmp_ne_u64_e32 vcc, 1, v[8:9]
                                        ; implicit-def: $vgpr11
	s_and_saveexec_b64 s[20:21], vcc
	s_xor_b64 s[20:21], exec, s[20:21]
	s_cbranch_execz .LBB56_323
; %bb.318:
	s_mov_b64 s[22:23], 0x81
	v_cmp_gt_u64_e32 vcc, s[22:23], v[8:9]
	v_mov_b32_e32 v11, 0x7fc00000
	s_and_saveexec_b64 s[22:23], vcc
	s_cbranch_execz .LBB56_322
; %bb.319:
	s_mov_b64 s[26:27], 1
	s_mov_b64 s[24:25], 0
	v_mov_b32_e32 v47, 1.0
	v_mov_b32_e32 v11, v6
.LBB56_320:                             ; =>This Inner Loop Header: Depth=1
	s_flbit_i32_b32 s28, s27
	s_min_u32 s30, s28, 32
	s_lshl_b64 s[28:29], s[26:27], s30
	s_min_u32 s28, s28, 1
	s_or_b32 s28, s29, s28
	v_cvt_f32_u32_e32 v48, s28
	s_sub_i32 s30, 32, s30
	s_add_u32 s26, s26, 1
	s_addc_u32 s27, s27, 0
	v_ldexp_f32 v48, v48, s30
	v_cmp_eq_u64_e32 vcc, s[26:27], v[8:9]
	v_mul_f32_e32 v48, v47, v48
	s_or_b64 s[24:25], vcc, s[24:25]
	v_mov_b32_e32 v47, v11
	v_fma_f32 v11, v11, v6, -v48
	s_andn2_b64 exec, exec, s[24:25]
	s_cbranch_execnz .LBB56_320
; %bb.321:
	s_or_b64 exec, exec, s[24:25]
.LBB56_322:
	s_or_b64 exec, exec, s[22:23]
                                        ; implicit-def: $vgpr6
.LBB56_323:
	s_andn2_saveexec_b64 s[20:21], s[20:21]
; %bb.324:
	v_mov_b32_e32 v11, v6
; %bb.325:
	s_or_b64 exec, exec, s[20:21]
.LBB56_326:
	s_or_b64 exec, exec, s[14:15]
.LBB56_327:
	s_or_b64 exec, exec, s[10:11]
	v_bfe_u32 v6, v7, 16, 1
	s_movk_i32 s10, 0x7fff
	v_add3_u32 v6, v7, v6, s10
	v_and_b32_e32 v6, 0xffff0000, v6
	v_mov_b32_e32 v8, 0x7fc00000
	v_cmp_o_f32_e32 vcc, v7, v7
	v_cndmask_b32_e32 v6, v8, v6, vcc
	v_trunc_f32_e32 v6, v6
	s_mov_b32 s10, 0x2f800000
	v_mul_f32_e64 v7, |v6|, s10
	v_floor_f32_e32 v7, v7
	s_mov_b32 s10, 0xcf800000
	v_fma_f32 v8, v7, s10, |v6|
	v_cvt_u32_f32_e32 v8, v8
	v_cvt_u32_f32_e32 v7, v7
	v_ashrrev_i32_e32 v9, 31, v6
	v_xor_b32_e32 v6, v8, v9
	v_xor_b32_e32 v7, v7, v9
	v_sub_co_u32_e32 v6, vcc, v6, v9
	v_subb_co_u32_e32 v7, vcc, v7, v9, vcc
	v_cmp_lt_i64_e32 vcc, -1, v[6:7]
	v_mov_b32_e32 v8, 0
	s_and_saveexec_b64 s[10:11], vcc
	s_cbranch_execz .LBB56_339
; %bb.328:
	v_cmp_lt_i64_e32 vcc, 0, v[6:7]
	v_mov_b32_e32 v8, 1.0
	s_and_saveexec_b64 s[14:15], vcc
	s_cbranch_execz .LBB56_338
; %bb.329:
	v_and_b32_e32 v9, 0xffff0000, v46
	v_cmp_ne_u64_e32 vcc, 1, v[6:7]
                                        ; implicit-def: $vgpr8
	s_and_saveexec_b64 s[20:21], vcc
	s_xor_b64 s[20:21], exec, s[20:21]
	s_cbranch_execz .LBB56_335
; %bb.330:
	s_mov_b64 s[22:23], 0x81
	v_cmp_gt_u64_e32 vcc, s[22:23], v[6:7]
	v_mov_b32_e32 v8, 0x7fc00000
	s_and_saveexec_b64 s[22:23], vcc
	s_cbranch_execz .LBB56_334
; %bb.331:
	s_mov_b64 s[26:27], 1
	s_mov_b64 s[24:25], 0
	v_mov_b32_e32 v46, 1.0
	v_mov_b32_e32 v8, v9
.LBB56_332:                             ; =>This Inner Loop Header: Depth=1
	s_flbit_i32_b32 s28, s27
	s_min_u32 s30, s28, 32
	s_lshl_b64 s[28:29], s[26:27], s30
	s_min_u32 s28, s28, 1
	s_or_b32 s28, s29, s28
	v_cvt_f32_u32_e32 v47, s28
	s_sub_i32 s30, 32, s30
	s_add_u32 s26, s26, 1
	s_addc_u32 s27, s27, 0
	v_ldexp_f32 v47, v47, s30
	v_cmp_eq_u64_e32 vcc, s[26:27], v[6:7]
	v_mul_f32_e32 v47, v46, v47
	s_or_b64 s[24:25], vcc, s[24:25]
	v_mov_b32_e32 v46, v8
	v_fma_f32 v8, v8, v9, -v47
	s_andn2_b64 exec, exec, s[24:25]
	s_cbranch_execnz .LBB56_332
; %bb.333:
	s_or_b64 exec, exec, s[24:25]
.LBB56_334:
	s_or_b64 exec, exec, s[22:23]
                                        ; implicit-def: $vgpr9
.LBB56_335:
	s_andn2_saveexec_b64 s[20:21], s[20:21]
; %bb.336:
	v_mov_b32_e32 v8, v9
; %bb.337:
	s_or_b64 exec, exec, s[20:21]
.LBB56_338:
	s_or_b64 exec, exec, s[14:15]
.LBB56_339:
	s_or_b64 exec, exec, s[10:11]
	s_waitcnt vmcnt(1)
	v_bfe_u32 v6, v4, 16, 1
	s_movk_i32 s10, 0x7fff
	v_add3_u32 v6, v4, v6, s10
	v_and_b32_e32 v6, 0xffff0000, v6
	v_mov_b32_e32 v7, 0x7fc00000
	v_cmp_o_f32_e32 vcc, v4, v4
	v_cndmask_b32_e32 v4, v7, v6, vcc
	v_trunc_f32_e32 v4, v4
	s_mov_b32 s10, 0x2f800000
	v_mul_f32_e64 v6, |v4|, s10
	v_floor_f32_e32 v6, v6
	s_mov_b32 s10, 0xcf800000
	v_fma_f32 v7, v6, s10, |v4|
	v_cvt_u32_f32_e32 v6, v6
	v_cvt_u32_f32_e32 v7, v7
	v_ashrrev_i32_e32 v4, 31, v4
	v_xor_b32_e32 v9, v6, v4
	v_xor_b32_e32 v6, v7, v4
	v_sub_co_u32_e32 v6, vcc, v6, v4
	v_subb_co_u32_e32 v7, vcc, v9, v4, vcc
	v_cmp_lt_i64_e32 vcc, -1, v[6:7]
	v_mov_b32_e32 v9, 0
	s_and_saveexec_b64 s[10:11], vcc
	s_cbranch_execz .LBB56_351
; %bb.340:
	v_cmp_lt_i64_e32 vcc, 0, v[6:7]
	v_mov_b32_e32 v9, 1.0
	s_and_saveexec_b64 s[14:15], vcc
	s_cbranch_execz .LBB56_350
; %bb.341:
	v_lshlrev_b32_e32 v4, 16, v45
	v_cmp_ne_u64_e32 vcc, 1, v[6:7]
                                        ; implicit-def: $vgpr9
	s_and_saveexec_b64 s[20:21], vcc
	s_xor_b64 s[20:21], exec, s[20:21]
	s_cbranch_execz .LBB56_347
; %bb.342:
	s_mov_b64 s[22:23], 0x81
	v_cmp_gt_u64_e32 vcc, s[22:23], v[6:7]
	v_mov_b32_e32 v9, 0x7fc00000
	s_and_saveexec_b64 s[22:23], vcc
	s_cbranch_execz .LBB56_346
; %bb.343:
	s_mov_b64 s[26:27], 1
	s_mov_b64 s[24:25], 0
	v_mov_b32_e32 v46, 1.0
	v_mov_b32_e32 v9, v4
.LBB56_344:                             ; =>This Inner Loop Header: Depth=1
	s_flbit_i32_b32 s28, s27
	s_min_u32 s30, s28, 32
	s_lshl_b64 s[28:29], s[26:27], s30
	s_min_u32 s28, s28, 1
	s_or_b32 s28, s29, s28
	v_cvt_f32_u32_e32 v47, s28
	s_sub_i32 s30, 32, s30
	s_add_u32 s26, s26, 1
	s_addc_u32 s27, s27, 0
	v_ldexp_f32 v47, v47, s30
	v_cmp_eq_u64_e32 vcc, s[26:27], v[6:7]
	v_mul_f32_e32 v47, v46, v47
	s_or_b64 s[24:25], vcc, s[24:25]
	v_mov_b32_e32 v46, v9
	v_fma_f32 v9, v9, v4, -v47
	s_andn2_b64 exec, exec, s[24:25]
	s_cbranch_execnz .LBB56_344
; %bb.345:
	s_or_b64 exec, exec, s[24:25]
.LBB56_346:
	s_or_b64 exec, exec, s[22:23]
                                        ; implicit-def: $vgpr4
.LBB56_347:
	s_andn2_saveexec_b64 s[20:21], s[20:21]
; %bb.348:
	v_mov_b32_e32 v9, v4
; %bb.349:
	s_or_b64 exec, exec, s[20:21]
.LBB56_350:
	s_or_b64 exec, exec, s[14:15]
.LBB56_351:
	s_or_b64 exec, exec, s[10:11]
	v_bfe_u32 v4, v5, 16, 1
	s_movk_i32 s10, 0x7fff
	v_add3_u32 v4, v5, v4, s10
	v_and_b32_e32 v4, 0xffff0000, v4
	v_mov_b32_e32 v6, 0x7fc00000
	v_cmp_o_f32_e32 vcc, v5, v5
	v_cndmask_b32_e32 v4, v6, v4, vcc
	v_trunc_f32_e32 v4, v4
	s_mov_b32 s10, 0x2f800000
	v_mul_f32_e64 v5, |v4|, s10
	v_floor_f32_e32 v5, v5
	s_mov_b32 s10, 0xcf800000
	v_fma_f32 v6, v5, s10, |v4|
	v_cvt_u32_f32_e32 v6, v6
	v_cvt_u32_f32_e32 v5, v5
	v_ashrrev_i32_e32 v7, 31, v4
	v_xor_b32_e32 v4, v6, v7
	v_xor_b32_e32 v5, v5, v7
	v_sub_co_u32_e32 v4, vcc, v4, v7
	v_subb_co_u32_e32 v5, vcc, v5, v7, vcc
	v_cmp_lt_i64_e32 vcc, -1, v[4:5]
	v_mov_b32_e32 v6, 0
	s_and_saveexec_b64 s[10:11], vcc
	s_cbranch_execz .LBB56_363
; %bb.352:
	v_cmp_lt_i64_e32 vcc, 0, v[4:5]
	v_mov_b32_e32 v6, 1.0
	s_and_saveexec_b64 s[14:15], vcc
	s_cbranch_execz .LBB56_362
; %bb.353:
	v_and_b32_e32 v7, 0xffff0000, v45
	v_cmp_ne_u64_e32 vcc, 1, v[4:5]
                                        ; implicit-def: $vgpr6
	s_and_saveexec_b64 s[20:21], vcc
	s_xor_b64 s[20:21], exec, s[20:21]
	s_cbranch_execz .LBB56_359
; %bb.354:
	s_mov_b64 s[22:23], 0x81
	v_cmp_gt_u64_e32 vcc, s[22:23], v[4:5]
	v_mov_b32_e32 v6, 0x7fc00000
	s_and_saveexec_b64 s[22:23], vcc
	s_cbranch_execz .LBB56_358
; %bb.355:
	s_mov_b64 s[26:27], 1
	s_mov_b64 s[24:25], 0
	v_mov_b32_e32 v45, 1.0
	v_mov_b32_e32 v6, v7
.LBB56_356:                             ; =>This Inner Loop Header: Depth=1
	s_flbit_i32_b32 s28, s27
	s_min_u32 s30, s28, 32
	s_lshl_b64 s[28:29], s[26:27], s30
	s_min_u32 s28, s28, 1
	s_or_b32 s28, s29, s28
	v_cvt_f32_u32_e32 v46, s28
	s_sub_i32 s30, 32, s30
	s_add_u32 s26, s26, 1
	s_addc_u32 s27, s27, 0
	v_ldexp_f32 v46, v46, s30
	v_cmp_eq_u64_e32 vcc, s[26:27], v[4:5]
	v_mul_f32_e32 v46, v45, v46
	s_or_b64 s[24:25], vcc, s[24:25]
	v_mov_b32_e32 v45, v6
	v_fma_f32 v6, v6, v7, -v46
	s_andn2_b64 exec, exec, s[24:25]
	s_cbranch_execnz .LBB56_356
; %bb.357:
	s_or_b64 exec, exec, s[24:25]
.LBB56_358:
	s_or_b64 exec, exec, s[22:23]
                                        ; implicit-def: $vgpr7
.LBB56_359:
	s_andn2_saveexec_b64 s[20:21], s[20:21]
; %bb.360:
	v_mov_b32_e32 v6, v7
; %bb.361:
	s_or_b64 exec, exec, s[20:21]
.LBB56_362:
	s_or_b64 exec, exec, s[14:15]
.LBB56_363:
	s_or_b64 exec, exec, s[10:11]
	s_waitcnt vmcnt(0)
	v_bfe_u32 v4, v2, 16, 1
	s_movk_i32 s10, 0x7fff
	v_add3_u32 v4, v2, v4, s10
	v_and_b32_e32 v4, 0xffff0000, v4
	v_mov_b32_e32 v5, 0x7fc00000
	v_cmp_o_f32_e32 vcc, v2, v2
	v_cndmask_b32_e32 v2, v5, v4, vcc
	v_trunc_f32_e32 v2, v2
	s_mov_b32 s10, 0x2f800000
	v_mul_f32_e64 v4, |v2|, s10
	v_floor_f32_e32 v4, v4
	s_mov_b32 s10, 0xcf800000
	v_fma_f32 v5, v4, s10, |v2|
	v_cvt_u32_f32_e32 v4, v4
	v_cvt_u32_f32_e32 v5, v5
	v_ashrrev_i32_e32 v2, 31, v2
	v_xor_b32_e32 v7, v4, v2
	v_xor_b32_e32 v4, v5, v2
	v_sub_co_u32_e32 v4, vcc, v4, v2
	v_subb_co_u32_e32 v5, vcc, v7, v2, vcc
	v_cmp_lt_i64_e32 vcc, -1, v[4:5]
	v_mov_b32_e32 v7, 0
	s_and_saveexec_b64 s[10:11], vcc
	s_cbranch_execz .LBB56_375
; %bb.364:
	v_cmp_lt_i64_e32 vcc, 0, v[4:5]
	v_mov_b32_e32 v7, 1.0
	s_and_saveexec_b64 s[14:15], vcc
	s_cbranch_execz .LBB56_374
; %bb.365:
	v_lshlrev_b32_e32 v2, 16, v43
	v_cmp_ne_u64_e32 vcc, 1, v[4:5]
                                        ; implicit-def: $vgpr7
	s_and_saveexec_b64 s[20:21], vcc
	s_xor_b64 s[20:21], exec, s[20:21]
	s_cbranch_execz .LBB56_371
; %bb.366:
	s_mov_b64 s[22:23], 0x81
	v_cmp_gt_u64_e32 vcc, s[22:23], v[4:5]
	v_mov_b32_e32 v7, 0x7fc00000
	s_and_saveexec_b64 s[22:23], vcc
	s_cbranch_execz .LBB56_370
; %bb.367:
	s_mov_b64 s[26:27], 1
	s_mov_b64 s[24:25], 0
	v_mov_b32_e32 v45, 1.0
	v_mov_b32_e32 v7, v2
.LBB56_368:                             ; =>This Inner Loop Header: Depth=1
	s_flbit_i32_b32 s28, s27
	s_min_u32 s30, s28, 32
	s_lshl_b64 s[28:29], s[26:27], s30
	s_min_u32 s28, s28, 1
	s_or_b32 s28, s29, s28
	v_cvt_f32_u32_e32 v46, s28
	s_sub_i32 s30, 32, s30
	s_add_u32 s26, s26, 1
	s_addc_u32 s27, s27, 0
	v_ldexp_f32 v46, v46, s30
	v_cmp_eq_u64_e32 vcc, s[26:27], v[4:5]
	v_mul_f32_e32 v46, v45, v46
	s_or_b64 s[24:25], vcc, s[24:25]
	v_mov_b32_e32 v45, v7
	v_fma_f32 v7, v7, v2, -v46
	s_andn2_b64 exec, exec, s[24:25]
	s_cbranch_execnz .LBB56_368
; %bb.369:
	s_or_b64 exec, exec, s[24:25]
.LBB56_370:
	s_or_b64 exec, exec, s[22:23]
                                        ; implicit-def: $vgpr2
.LBB56_371:
	s_andn2_saveexec_b64 s[20:21], s[20:21]
; %bb.372:
	v_mov_b32_e32 v7, v2
; %bb.373:
	s_or_b64 exec, exec, s[20:21]
.LBB56_374:
	s_or_b64 exec, exec, s[14:15]
.LBB56_375:
	s_or_b64 exec, exec, s[10:11]
	v_bfe_u32 v2, v3, 16, 1
	s_movk_i32 s10, 0x7fff
	v_add3_u32 v2, v3, v2, s10
	v_and_b32_e32 v2, 0xffff0000, v2
	v_mov_b32_e32 v4, 0x7fc00000
	v_cmp_o_f32_e32 vcc, v3, v3
	v_cndmask_b32_e32 v2, v4, v2, vcc
	v_trunc_f32_e32 v2, v2
	s_mov_b32 s10, 0x2f800000
	v_mul_f32_e64 v3, |v2|, s10
	v_floor_f32_e32 v3, v3
	s_mov_b32 s10, 0xcf800000
	v_fma_f32 v4, v3, s10, |v2|
	v_cvt_u32_f32_e32 v4, v4
	v_cvt_u32_f32_e32 v3, v3
	v_ashrrev_i32_e32 v5, 31, v2
	v_xor_b32_e32 v2, v4, v5
	v_xor_b32_e32 v3, v3, v5
	v_sub_co_u32_e32 v2, vcc, v2, v5
	v_subb_co_u32_e32 v3, vcc, v3, v5, vcc
	v_cmp_lt_i64_e32 vcc, -1, v[2:3]
	v_mov_b32_e32 v4, 0
	s_and_saveexec_b64 s[10:11], vcc
	s_cbranch_execz .LBB56_387
; %bb.376:
	v_cmp_lt_i64_e32 vcc, 0, v[2:3]
	v_mov_b32_e32 v4, 1.0
	s_and_saveexec_b64 s[14:15], vcc
	s_cbranch_execz .LBB56_386
; %bb.377:
	v_and_b32_e32 v5, 0xffff0000, v43
	v_cmp_ne_u64_e32 vcc, 1, v[2:3]
                                        ; implicit-def: $vgpr4
	s_and_saveexec_b64 s[20:21], vcc
	s_xor_b64 s[20:21], exec, s[20:21]
	s_cbranch_execz .LBB56_383
; %bb.378:
	s_mov_b64 s[22:23], 0x81
	v_cmp_gt_u64_e32 vcc, s[22:23], v[2:3]
	v_mov_b32_e32 v4, 0x7fc00000
	s_and_saveexec_b64 s[22:23], vcc
	s_cbranch_execz .LBB56_382
; %bb.379:
	s_mov_b64 s[26:27], 1
	s_mov_b64 s[24:25], 0
	v_mov_b32_e32 v43, 1.0
	v_mov_b32_e32 v4, v5
.LBB56_380:                             ; =>This Inner Loop Header: Depth=1
	s_flbit_i32_b32 s28, s27
	s_min_u32 s30, s28, 32
	s_lshl_b64 s[28:29], s[26:27], s30
	s_min_u32 s28, s28, 1
	s_or_b32 s28, s29, s28
	v_cvt_f32_u32_e32 v45, s28
	s_sub_i32 s30, 32, s30
	s_add_u32 s26, s26, 1
	s_addc_u32 s27, s27, 0
	v_ldexp_f32 v45, v45, s30
	v_cmp_eq_u64_e32 vcc, s[26:27], v[2:3]
	v_mul_f32_e32 v45, v43, v45
	s_or_b64 s[24:25], vcc, s[24:25]
	v_mov_b32_e32 v43, v4
	v_fma_f32 v4, v4, v5, -v45
	s_andn2_b64 exec, exec, s[24:25]
	s_cbranch_execnz .LBB56_380
; %bb.381:
	s_or_b64 exec, exec, s[24:25]
.LBB56_382:
	s_or_b64 exec, exec, s[22:23]
                                        ; implicit-def: $vgpr5
.LBB56_383:
	s_andn2_saveexec_b64 s[20:21], s[20:21]
; %bb.384:
	v_mov_b32_e32 v4, v5
; %bb.385:
	s_or_b64 exec, exec, s[20:21]
.LBB56_386:
	s_or_b64 exec, exec, s[14:15]
.LBB56_387:
	s_or_b64 exec, exec, s[10:11]
	s_add_u32 s8, s16, s8
	s_addc_u32 s9, s17, s9
	s_movk_i32 s10, 0x7fff
	v_bfe_u32 v3, v34, 16, 1
	v_mov_b32_e32 v5, s9
	v_add_co_u32_e32 v43, vcc, s8, v39
	v_bfe_u32 v2, v44, 16, 1
	v_add3_u32 v3, v34, v3, s10
	v_addc_co_u32_e32 v5, vcc, 0, v5, vcc
	v_add3_u32 v2, v44, v2, s10
	v_and_b32_e32 v3, 0xffff0000, v3
	v_mov_b32_e32 v45, 0x7fc00000
	v_cmp_o_f32_e32 vcc, v34, v34
	v_lshrrev_b32_e32 v2, 16, v2
	v_cndmask_b32_e32 v3, v45, v3, vcc
	v_mov_b32_e32 v34, 0x7fc0
	v_cmp_o_f32_e32 vcc, v44, v44
	v_cndmask_b32_e32 v2, v34, v2, vcc
	v_or_b32_e32 v2, v3, v2
	v_bfe_u32 v3, v32, 16, 1
	global_store_dword v39, v2, s[8:9]
	v_bfe_u32 v2, v35, 16, 1
	v_add3_u32 v3, v32, v3, s10
	v_add3_u32 v2, v35, v2, s10
	v_and_b32_e32 v3, 0xffff0000, v3
	v_cmp_o_f32_e32 vcc, v32, v32
	v_lshrrev_b32_e32 v2, 16, v2
	v_cndmask_b32_e32 v3, v45, v3, vcc
	v_cmp_o_f32_e32 vcc, v35, v35
	v_cndmask_b32_e32 v2, v34, v2, vcc
	v_or_b32_e32 v2, v3, v2
	v_bfe_u32 v3, v30, 16, 1
	global_store_dword v39, v2, s[8:9] offset:2048
	v_bfe_u32 v2, v33, 16, 1
	v_add3_u32 v3, v30, v3, s10
	v_add3_u32 v2, v33, v2, s10
	v_and_b32_e32 v3, 0xffff0000, v3
	v_cmp_o_f32_e32 vcc, v30, v30
	v_lshrrev_b32_e32 v2, 16, v2
	v_cndmask_b32_e32 v3, v45, v3, vcc
	v_cmp_o_f32_e32 vcc, v33, v33
	v_cndmask_b32_e32 v2, v34, v2, vcc
	v_or_b32_e32 v2, v3, v2
	v_bfe_u32 v3, v28, 16, 1
	global_store_dword v38, v2, s[8:9]
	v_bfe_u32 v2, v31, 16, 1
	v_add3_u32 v3, v28, v3, s10
	v_add3_u32 v2, v31, v2, s10
	v_and_b32_e32 v3, 0xffff0000, v3
	v_cmp_o_f32_e32 vcc, v28, v28
	v_lshrrev_b32_e32 v2, 16, v2
	v_cndmask_b32_e32 v3, v45, v3, vcc
	v_cmp_o_f32_e32 vcc, v31, v31
	v_cndmask_b32_e32 v2, v34, v2, vcc
	s_movk_i32 s11, 0x1000
	v_or_b32_e32 v28, v3, v2
	v_add_co_u32_e32 v2, vcc, s11, v43
	v_addc_co_u32_e32 v3, vcc, 0, v5, vcc
	global_store_dword v[2:3], v28, off offset:2048
	v_bfe_u32 v3, v26, 16, 1
	v_bfe_u32 v2, v29, 16, 1
	v_add3_u32 v3, v26, v3, s10
	v_add3_u32 v2, v29, v2, s10
	v_and_b32_e32 v3, 0xffff0000, v3
	v_cmp_o_f32_e32 vcc, v26, v26
	v_lshrrev_b32_e32 v2, 16, v2
	v_cndmask_b32_e32 v3, v45, v3, vcc
	v_cmp_o_f32_e32 vcc, v29, v29
	v_cndmask_b32_e32 v2, v34, v2, vcc
	v_or_b32_e32 v2, v3, v2
	v_bfe_u32 v3, v24, 16, 1
	global_store_dword v42, v2, s[8:9]
	v_bfe_u32 v2, v27, 16, 1
	v_add3_u32 v3, v24, v3, s10
	v_add3_u32 v2, v27, v2, s10
	v_and_b32_e32 v3, 0xffff0000, v3
	v_cmp_o_f32_e32 vcc, v24, v24
	v_lshrrev_b32_e32 v2, 16, v2
	v_cndmask_b32_e32 v3, v45, v3, vcc
	v_cmp_o_f32_e32 vcc, v27, v27
	v_cndmask_b32_e32 v2, v34, v2, vcc
	s_movk_i32 s11, 0x2000
	v_or_b32_e32 v24, v3, v2
	v_add_co_u32_e32 v2, vcc, s11, v43
	v_addc_co_u32_e32 v3, vcc, 0, v5, vcc
	global_store_dword v[2:3], v24, off offset:2048
	v_bfe_u32 v3, v22, 16, 1
	v_bfe_u32 v2, v25, 16, 1
	v_add3_u32 v3, v22, v3, s10
	v_add3_u32 v2, v25, v2, s10
	v_and_b32_e32 v3, 0xffff0000, v3
	v_cmp_o_f32_e32 vcc, v22, v22
	v_lshrrev_b32_e32 v2, 16, v2
	v_cndmask_b32_e32 v3, v45, v3, vcc
	v_cmp_o_f32_e32 vcc, v25, v25
	v_cndmask_b32_e32 v2, v34, v2, vcc
	v_or_b32_e32 v2, v3, v2
	v_bfe_u32 v3, v20, 16, 1
	global_store_dword v41, v2, s[8:9]
	v_bfe_u32 v2, v23, 16, 1
	v_add3_u32 v3, v20, v3, s10
	v_add3_u32 v2, v23, v2, s10
	v_and_b32_e32 v3, 0xffff0000, v3
	v_cmp_o_f32_e32 vcc, v20, v20
	v_lshrrev_b32_e32 v2, 16, v2
	v_cndmask_b32_e32 v3, v45, v3, vcc
	v_cmp_o_f32_e32 vcc, v23, v23
	v_cndmask_b32_e32 v2, v34, v2, vcc
	s_movk_i32 s11, 0x3000
	v_or_b32_e32 v20, v3, v2
	v_add_co_u32_e32 v2, vcc, s11, v43
	v_addc_co_u32_e32 v3, vcc, 0, v5, vcc
	global_store_dword v[2:3], v20, off offset:2048
	v_bfe_u32 v3, v18, 16, 1
	v_bfe_u32 v2, v21, 16, 1
	v_add3_u32 v3, v18, v3, s10
	v_add3_u32 v2, v21, v2, s10
	v_and_b32_e32 v3, 0xffff0000, v3
	v_cmp_o_f32_e32 vcc, v18, v18
	v_lshrrev_b32_e32 v2, 16, v2
	v_cndmask_b32_e32 v3, v45, v3, vcc
	v_cmp_o_f32_e32 vcc, v21, v21
	v_cndmask_b32_e32 v2, v34, v2, vcc
	v_or_b32_e32 v2, v3, v2
	v_bfe_u32 v3, v16, 16, 1
	global_store_dword v40, v2, s[8:9]
	v_bfe_u32 v2, v19, 16, 1
	v_add3_u32 v3, v16, v3, s10
	v_add3_u32 v2, v19, v2, s10
	v_and_b32_e32 v3, 0xffff0000, v3
	v_cmp_o_f32_e32 vcc, v16, v16
	v_lshrrev_b32_e32 v2, 16, v2
	v_cndmask_b32_e32 v3, v45, v3, vcc
	v_cmp_o_f32_e32 vcc, v19, v19
	v_cndmask_b32_e32 v2, v34, v2, vcc
	s_movk_i32 s11, 0x4000
	v_or_b32_e32 v16, v3, v2
	v_add_co_u32_e32 v2, vcc, s11, v43
	v_addc_co_u32_e32 v3, vcc, 0, v5, vcc
	global_store_dword v[2:3], v16, off offset:2048
	v_bfe_u32 v3, v14, 16, 1
	v_bfe_u32 v2, v17, 16, 1
	v_add3_u32 v3, v14, v3, s10
	v_add3_u32 v2, v17, v2, s10
	v_and_b32_e32 v3, 0xffff0000, v3
	v_cmp_o_f32_e32 vcc, v14, v14
	v_lshrrev_b32_e32 v2, 16, v2
	v_cndmask_b32_e32 v3, v45, v3, vcc
	v_cmp_o_f32_e32 vcc, v17, v17
	v_cndmask_b32_e32 v2, v34, v2, vcc
	v_or_b32_e32 v2, v3, v2
	v_bfe_u32 v3, v12, 16, 1
	global_store_dword v37, v2, s[8:9]
	v_bfe_u32 v2, v15, 16, 1
	v_add3_u32 v3, v12, v3, s10
	v_add3_u32 v2, v15, v2, s10
	v_and_b32_e32 v3, 0xffff0000, v3
	v_cmp_o_f32_e32 vcc, v12, v12
	v_lshrrev_b32_e32 v2, 16, v2
	v_cndmask_b32_e32 v3, v45, v3, vcc
	v_cmp_o_f32_e32 vcc, v15, v15
	v_cndmask_b32_e32 v2, v34, v2, vcc
	s_movk_i32 s11, 0x5000
	v_or_b32_e32 v12, v3, v2
	v_add_co_u32_e32 v2, vcc, s11, v43
	v_addc_co_u32_e32 v3, vcc, 0, v5, vcc
	global_store_dword v[2:3], v12, off offset:2048
	v_bfe_u32 v3, v10, 16, 1
	v_bfe_u32 v2, v13, 16, 1
	v_add3_u32 v3, v10, v3, s10
	v_add3_u32 v2, v13, v2, s10
	v_and_b32_e32 v3, 0xffff0000, v3
	v_cmp_o_f32_e32 vcc, v10, v10
	v_lshrrev_b32_e32 v2, 16, v2
	v_cndmask_b32_e32 v3, v45, v3, vcc
	v_cmp_o_f32_e32 vcc, v13, v13
	v_cndmask_b32_e32 v2, v34, v2, vcc
	v_or_b32_e32 v2, v3, v2
	v_bfe_u32 v3, v8, 16, 1
	global_store_dword v36, v2, s[8:9]
	v_bfe_u32 v2, v11, 16, 1
	v_add3_u32 v3, v8, v3, s10
	v_add3_u32 v2, v11, v2, s10
	v_and_b32_e32 v3, 0xffff0000, v3
	v_cmp_o_f32_e32 vcc, v8, v8
	v_lshrrev_b32_e32 v2, 16, v2
	v_cndmask_b32_e32 v3, v45, v3, vcc
	v_cmp_o_f32_e32 vcc, v11, v11
	v_cndmask_b32_e32 v2, v34, v2, vcc
	s_movk_i32 s11, 0x6000
	v_or_b32_e32 v8, v3, v2
	v_add_co_u32_e32 v2, vcc, s11, v43
	v_addc_co_u32_e32 v3, vcc, 0, v5, vcc
	global_store_dword v[2:3], v8, off offset:2048
	v_bfe_u32 v3, v6, 16, 1
	v_bfe_u32 v2, v9, 16, 1
	v_add3_u32 v3, v6, v3, s10
	v_add3_u32 v2, v9, v2, s10
	v_and_b32_e32 v3, 0xffff0000, v3
	v_cmp_o_f32_e32 vcc, v6, v6
	v_lshrrev_b32_e32 v2, 16, v2
	v_cndmask_b32_e32 v3, v45, v3, vcc
	v_cmp_o_f32_e32 vcc, v9, v9
	v_cndmask_b32_e32 v2, v34, v2, vcc
	v_or_b32_e32 v2, v3, v2
	global_store_dword v1, v2, s[8:9]
	v_bfe_u32 v2, v4, 16, 1
	v_bfe_u32 v1, v7, 16, 1
	v_add3_u32 v2, v4, v2, s10
	v_add3_u32 v1, v7, v1, s10
	v_and_b32_e32 v2, 0xffff0000, v2
	v_cmp_o_f32_e32 vcc, v4, v4
	v_lshrrev_b32_e32 v1, 16, v1
	v_cndmask_b32_e32 v2, v45, v2, vcc
	v_cmp_o_f32_e32 vcc, v7, v7
	v_cndmask_b32_e32 v1, v34, v1, vcc
	v_or_b32_e32 v1, v2, v1
	v_add_co_u32_e32 v2, vcc, 0x7000, v43
	v_addc_co_u32_e32 v3, vcc, 0, v5, vcc
	global_store_dword v[2:3], v1, off offset:2048
	s_branch .LBB56_2
.LBB56_388:
	s_load_dword s10, s[4:5], 0x24
	s_load_dwordx4 s[20:23], s[4:5], 0x28
	s_add_u32 s8, s4, 56
	s_addc_u32 s9, s5, 0
	v_mov_b32_e32 v31, v0
	s_waitcnt lgkmcnt(0)
	v_lshrrev_b16_e64 v8, 8, s10
	v_mov_b32_e32 v0, s16
	v_mov_b32_e32 v1, s17
	;; [unrolled: 1-line block ×12, first 2 shown]
	s_getpc_b64 s[4:5]
	s_add_u32 s4, s4, _ZN2at6native25elementwise_kernel_helperILb1ENS0_13BinaryFunctorIfffZZZNS0_12_GLOBAL__N_133hermite_polynomial_he_kernel_cudaERNS_18TensorIteratorBaseEENKUlvE_clEvENKUlvE0_clEvEUlffE_EENS0_6memory8policies11unroll_baseILi512ESt5arrayIPcLm3EE23TrivialOffsetCalculatorILi2EjESG_ILi1EjENSA_12LoadWithCastILi2EEENSA_13StoreWithCastILi1EEELi32ELi1EEEEEvT0_T1_@rel32@lo+4
	s_addc_u32 s5, s5, _ZN2at6native25elementwise_kernel_helperILb1ENS0_13BinaryFunctorIfffZZZNS0_12_GLOBAL__N_133hermite_polynomial_he_kernel_cudaERNS_18TensorIteratorBaseEENKUlvE_clEvENKUlvE0_clEvEUlffE_EENS0_6memory8policies11unroll_baseILi512ESt5arrayIPcLm3EE23TrivialOffsetCalculatorILi2EjESG_ILi1EjENSA_12LoadWithCastILi2EEENSA_13StoreWithCastILi1EEELi32ELi1EEEEEvT0_T1_@rel32@hi+12
	s_swappc_b64 s[30:31], s[4:5]
	s_endpgm
	.section	.rodata,"a",@progbits
	.p2align	6, 0x0
	.amdhsa_kernel _ZN2at6native39vectorized_templated_elementwise_kernelILi2ENS0_13BinaryFunctorIfffZZZNS0_12_GLOBAL__N_133hermite_polynomial_he_kernel_cudaERNS_18TensorIteratorBaseEENKUlvE_clEvENKUlvE0_clEvEUlffE_EESt5arrayIPcLm3EE23TrivialOffsetCalculatorILi2EjESD_ILi1EjENS0_6memory12LoadWithCastILi2EEENSG_13StoreWithCastILi1EEEN3c108BFloat16EJSM_fEEEviT0_T1_T2_T3_T4_T5_
		.amdhsa_group_segment_fixed_size 0
		.amdhsa_private_segment_fixed_size 288
		.amdhsa_kernarg_size 312
		.amdhsa_user_sgpr_count 8
		.amdhsa_user_sgpr_private_segment_buffer 1
		.amdhsa_user_sgpr_dispatch_ptr 0
		.amdhsa_user_sgpr_queue_ptr 0
		.amdhsa_user_sgpr_kernarg_segment_ptr 1
		.amdhsa_user_sgpr_dispatch_id 0
		.amdhsa_user_sgpr_flat_scratch_init 1
		.amdhsa_user_sgpr_kernarg_preload_length 0
		.amdhsa_user_sgpr_kernarg_preload_offset 0
		.amdhsa_user_sgpr_private_segment_size 0
		.amdhsa_uses_dynamic_stack 0
		.amdhsa_system_sgpr_private_segment_wavefront_offset 1
		.amdhsa_system_sgpr_workgroup_id_x 1
		.amdhsa_system_sgpr_workgroup_id_y 0
		.amdhsa_system_sgpr_workgroup_id_z 0
		.amdhsa_system_sgpr_workgroup_info 0
		.amdhsa_system_vgpr_workitem_id 0
		.amdhsa_next_free_vgpr 120
		.amdhsa_next_free_sgpr 98
		.amdhsa_accum_offset 120
		.amdhsa_reserve_vcc 1
		.amdhsa_reserve_flat_scratch 1
		.amdhsa_float_round_mode_32 0
		.amdhsa_float_round_mode_16_64 0
		.amdhsa_float_denorm_mode_32 3
		.amdhsa_float_denorm_mode_16_64 3
		.amdhsa_dx10_clamp 1
		.amdhsa_ieee_mode 1
		.amdhsa_fp16_overflow 0
		.amdhsa_tg_split 0
		.amdhsa_exception_fp_ieee_invalid_op 0
		.amdhsa_exception_fp_denorm_src 0
		.amdhsa_exception_fp_ieee_div_zero 0
		.amdhsa_exception_fp_ieee_overflow 0
		.amdhsa_exception_fp_ieee_underflow 0
		.amdhsa_exception_fp_ieee_inexact 0
		.amdhsa_exception_int_div_zero 0
	.end_amdhsa_kernel
	.section	.text._ZN2at6native39vectorized_templated_elementwise_kernelILi2ENS0_13BinaryFunctorIfffZZZNS0_12_GLOBAL__N_133hermite_polynomial_he_kernel_cudaERNS_18TensorIteratorBaseEENKUlvE_clEvENKUlvE0_clEvEUlffE_EESt5arrayIPcLm3EE23TrivialOffsetCalculatorILi2EjESD_ILi1EjENS0_6memory12LoadWithCastILi2EEENSG_13StoreWithCastILi1EEEN3c108BFloat16EJSM_fEEEviT0_T1_T2_T3_T4_T5_,"axG",@progbits,_ZN2at6native39vectorized_templated_elementwise_kernelILi2ENS0_13BinaryFunctorIfffZZZNS0_12_GLOBAL__N_133hermite_polynomial_he_kernel_cudaERNS_18TensorIteratorBaseEENKUlvE_clEvENKUlvE0_clEvEUlffE_EESt5arrayIPcLm3EE23TrivialOffsetCalculatorILi2EjESD_ILi1EjENS0_6memory12LoadWithCastILi2EEENSG_13StoreWithCastILi1EEEN3c108BFloat16EJSM_fEEEviT0_T1_T2_T3_T4_T5_,comdat
.Lfunc_end56:
	.size	_ZN2at6native39vectorized_templated_elementwise_kernelILi2ENS0_13BinaryFunctorIfffZZZNS0_12_GLOBAL__N_133hermite_polynomial_he_kernel_cudaERNS_18TensorIteratorBaseEENKUlvE_clEvENKUlvE0_clEvEUlffE_EESt5arrayIPcLm3EE23TrivialOffsetCalculatorILi2EjESD_ILi1EjENS0_6memory12LoadWithCastILi2EEENSG_13StoreWithCastILi1EEEN3c108BFloat16EJSM_fEEEviT0_T1_T2_T3_T4_T5_, .Lfunc_end56-_ZN2at6native39vectorized_templated_elementwise_kernelILi2ENS0_13BinaryFunctorIfffZZZNS0_12_GLOBAL__N_133hermite_polynomial_he_kernel_cudaERNS_18TensorIteratorBaseEENKUlvE_clEvENKUlvE0_clEvEUlffE_EESt5arrayIPcLm3EE23TrivialOffsetCalculatorILi2EjESD_ILi1EjENS0_6memory12LoadWithCastILi2EEENSG_13StoreWithCastILi1EEEN3c108BFloat16EJSM_fEEEviT0_T1_T2_T3_T4_T5_
                                        ; -- End function
	.section	.AMDGPU.csdata,"",@progbits
; Kernel info:
; codeLenInByte = 12224
; NumSgprs: 104
; NumVgprs: 120
; NumAgprs: 0
; TotalNumVgprs: 120
; ScratchSize: 288
; MemoryBound: 0
; FloatMode: 240
; IeeeMode: 1
; LDSByteSize: 0 bytes/workgroup (compile time only)
; SGPRBlocks: 12
; VGPRBlocks: 14
; NumSGPRsForWavesPerEU: 104
; NumVGPRsForWavesPerEU: 120
; AccumOffset: 120
; Occupancy: 4
; WaveLimiterHint : 0
; COMPUTE_PGM_RSRC2:SCRATCH_EN: 1
; COMPUTE_PGM_RSRC2:USER_SGPR: 8
; COMPUTE_PGM_RSRC2:TRAP_HANDLER: 0
; COMPUTE_PGM_RSRC2:TGID_X_EN: 1
; COMPUTE_PGM_RSRC2:TGID_Y_EN: 0
; COMPUTE_PGM_RSRC2:TGID_Z_EN: 0
; COMPUTE_PGM_RSRC2:TIDIG_COMP_CNT: 0
; COMPUTE_PGM_RSRC3_GFX90A:ACCUM_OFFSET: 29
; COMPUTE_PGM_RSRC3_GFX90A:TG_SPLIT: 0
	.section	.text._ZN2at6native39vectorized_templated_elementwise_kernelILi8ENS0_13BinaryFunctorIfffZZZNS0_12_GLOBAL__N_133hermite_polynomial_he_kernel_cudaERNS_18TensorIteratorBaseEENKUlvE_clEvENKUlvE0_clEvEUlffE_EESt5arrayIPcLm3EE23TrivialOffsetCalculatorILi2EjESD_ILi1EjENS0_6memory12LoadWithCastILi2EEENSG_13StoreWithCastILi1EEEfJfN3c104HalfEEEEviT0_T1_T2_T3_T4_T5_,"axG",@progbits,_ZN2at6native39vectorized_templated_elementwise_kernelILi8ENS0_13BinaryFunctorIfffZZZNS0_12_GLOBAL__N_133hermite_polynomial_he_kernel_cudaERNS_18TensorIteratorBaseEENKUlvE_clEvENKUlvE0_clEvEUlffE_EESt5arrayIPcLm3EE23TrivialOffsetCalculatorILi2EjESD_ILi1EjENS0_6memory12LoadWithCastILi2EEENSG_13StoreWithCastILi1EEEfJfN3c104HalfEEEEviT0_T1_T2_T3_T4_T5_,comdat
	.globl	_ZN2at6native39vectorized_templated_elementwise_kernelILi8ENS0_13BinaryFunctorIfffZZZNS0_12_GLOBAL__N_133hermite_polynomial_he_kernel_cudaERNS_18TensorIteratorBaseEENKUlvE_clEvENKUlvE0_clEvEUlffE_EESt5arrayIPcLm3EE23TrivialOffsetCalculatorILi2EjESD_ILi1EjENS0_6memory12LoadWithCastILi2EEENSG_13StoreWithCastILi1EEEfJfN3c104HalfEEEEviT0_T1_T2_T3_T4_T5_ ; -- Begin function _ZN2at6native39vectorized_templated_elementwise_kernelILi8ENS0_13BinaryFunctorIfffZZZNS0_12_GLOBAL__N_133hermite_polynomial_he_kernel_cudaERNS_18TensorIteratorBaseEENKUlvE_clEvENKUlvE0_clEvEUlffE_EESt5arrayIPcLm3EE23TrivialOffsetCalculatorILi2EjESD_ILi1EjENS0_6memory12LoadWithCastILi2EEENSG_13StoreWithCastILi1EEEfJfN3c104HalfEEEEviT0_T1_T2_T3_T4_T5_
	.p2align	8
	.type	_ZN2at6native39vectorized_templated_elementwise_kernelILi8ENS0_13BinaryFunctorIfffZZZNS0_12_GLOBAL__N_133hermite_polynomial_he_kernel_cudaERNS_18TensorIteratorBaseEENKUlvE_clEvENKUlvE0_clEvEUlffE_EESt5arrayIPcLm3EE23TrivialOffsetCalculatorILi2EjESD_ILi1EjENS0_6memory12LoadWithCastILi2EEENSG_13StoreWithCastILi1EEEfJfN3c104HalfEEEEviT0_T1_T2_T3_T4_T5_,@function
_ZN2at6native39vectorized_templated_elementwise_kernelILi8ENS0_13BinaryFunctorIfffZZZNS0_12_GLOBAL__N_133hermite_polynomial_he_kernel_cudaERNS_18TensorIteratorBaseEENKUlvE_clEvENKUlvE0_clEvEUlffE_EESt5arrayIPcLm3EE23TrivialOffsetCalculatorILi2EjESD_ILi1EjENS0_6memory12LoadWithCastILi2EEENSG_13StoreWithCastILi1EEEfJfN3c104HalfEEEEviT0_T1_T2_T3_T4_T5_: ; @_ZN2at6native39vectorized_templated_elementwise_kernelILi8ENS0_13BinaryFunctorIfffZZZNS0_12_GLOBAL__N_133hermite_polynomial_he_kernel_cudaERNS_18TensorIteratorBaseEENKUlvE_clEvENKUlvE0_clEvEUlffE_EESt5arrayIPcLm3EE23TrivialOffsetCalculatorILi2EjESD_ILi1EjENS0_6memory12LoadWithCastILi2EEENSG_13StoreWithCastILi1EEEfJfN3c104HalfEEEEviT0_T1_T2_T3_T4_T5_
; %bb.0:
	s_add_u32 flat_scratch_lo, s6, s9
	s_addc_u32 flat_scratch_hi, s7, 0
	s_add_u32 s0, s0, s9
	s_load_dword s6, s[4:5], 0x38
	s_load_dwordx2 s[10:11], s[4:5], 0x18
	s_load_dword s7, s[4:5], 0x0
	s_load_dwordx4 s[16:19], s[4:5], 0x8
	s_addc_u32 s1, s1, 0
	s_mov_b32 s12, s8
	s_not_b32 s8, s8
	s_waitcnt lgkmcnt(0)
	s_add_i32 s6, s6, s8
	s_lshl_b32 s14, s6, 14
	s_sub_i32 s13, s7, s14
	s_cmpk_gt_i32 s13, 0x3fff
	s_mov_b64 s[6:7], -1
	s_mov_b32 s32, 0
	s_cbranch_scc1 .LBB57_3
; %bb.1:
	s_and_b64 vcc, exec, s[6:7]
	s_cbranch_vccnz .LBB57_388
.LBB57_2:
	s_endpgm
.LBB57_3:
	s_ashr_i32 s15, s14, 31
	s_lshl_b64 s[8:9], s[14:15], 2
	s_add_u32 s20, s18, s8
	s_addc_u32 s21, s19, s9
	v_lshlrev_b32_e32 v56, 5, v0
	v_mov_b32_e32 v1, s21
	v_add_co_u32_e32 v6, vcc, s20, v56
	v_addc_co_u32_e32 v8, vcc, 0, v1, vcc
	v_add_co_u32_e32 v2, vcc, 0x4000, v6
	v_addc_co_u32_e64 v3, s[6:7], 0, v8, vcc
	v_addc_co_u32_e32 v5, vcc, 0, v8, vcc
	v_add_co_u32_e32 v6, vcc, 0xc000, v6
	v_addc_co_u32_e64 v7, s[6:7], 0, v8, vcc
	v_or_b32_e32 v10, 0x400, v0
	s_lshl_b64 s[6:7], s[14:15], 1
	v_mov_b32_e32 v4, v2
	v_lshlrev_b32_e32 v1, 5, v10
	v_addc_co_u32_e32 v9, vcc, 0, v8, vcc
	v_mov_b32_e32 v8, v6
	s_add_u32 s6, s10, s6
	global_load_dwordx4 v[26:29], v56, s[20:21] offset:16
	global_load_dwordx4 v[52:55], v56, s[20:21]
	global_load_dwordx4 v[48:51], v[4:5], off
	global_load_dwordx4 v[40:43], v[2:3], off offset:16
	global_load_dwordx4 v[22:25], v1, s[20:21] offset:16
	global_load_dwordx4 v[34:37], v1, s[20:21]
	global_load_dwordx4 v[14:17], v[8:9], off
	s_nop 0
	global_load_dwordx4 v[2:5], v[6:7], off offset:16
	s_addc_u32 s7, s11, s7
	v_lshlrev_b32_e32 v6, 4, v0
	global_load_dwordx4 v[18:21], v6, s[6:7]
	v_mov_b32_e32 v7, s7
	v_add_co_u32_e32 v8, vcc, s6, v6
	v_addc_co_u32_e32 v9, vcc, 0, v7, vcc
	v_add_co_u32_e32 v6, vcc, 0x2000, v8
	v_addc_co_u32_e32 v7, vcc, 0, v9, vcc
	global_load_dwordx4 v[44:47], v[6:7], off
	v_lshlrev_b32_e32 v38, 4, v10
	v_add_co_u32_e32 v6, vcc, 0x6000, v8
	v_addc_co_u32_e32 v7, vcc, 0, v9, vcc
	global_load_dwordx4 v[30:33], v38, s[6:7]
	global_load_dwordx4 v[10:13], v[6:7], off
	s_waitcnt vmcnt(3)
	v_cvt_f32_f16_e32 v6, v18
	v_cvt_i32_f32_e32 v8, v6
	v_mov_b32_e32 v6, 0
	v_ashrrev_i32_e32 v9, 31, v8
	v_cmp_lt_i64_e32 vcc, -1, v[8:9]
	s_and_saveexec_b64 s[6:7], vcc
	s_cbranch_execz .LBB57_15
; %bb.4:
	v_cmp_lt_i64_e32 vcc, 0, v[8:9]
	v_mov_b32_e32 v6, 1.0
	s_and_saveexec_b64 s[14:15], vcc
	s_cbranch_execz .LBB57_14
; %bb.5:
	v_cmp_ne_u64_e32 vcc, 1, v[8:9]
                                        ; implicit-def: $vgpr6
	s_and_saveexec_b64 s[20:21], vcc
	s_xor_b64 s[20:21], exec, s[20:21]
	s_cbranch_execz .LBB57_11
; %bb.6:
	s_mov_b64 s[22:23], 0x81
	v_cmp_gt_u64_e32 vcc, s[22:23], v[8:9]
	v_mov_b32_e32 v6, 0x7fc00000
	s_and_saveexec_b64 s[22:23], vcc
	s_cbranch_execz .LBB57_10
; %bb.7:
	s_mov_b64 s[26:27], 1
	s_mov_b64 s[24:25], 0
	v_mov_b32_e32 v7, 1.0
	v_mov_b32_e32 v6, v52
.LBB57_8:                               ; =>This Inner Loop Header: Depth=1
	s_flbit_i32_b32 s28, s27
	s_min_u32 s30, s28, 32
	s_lshl_b64 s[28:29], s[26:27], s30
	s_min_u32 s28, s28, 1
	s_or_b32 s28, s29, s28
	v_cvt_f32_u32_e32 v38, s28
	s_sub_i32 s30, 32, s30
	s_add_u32 s26, s26, 1
	s_addc_u32 s27, s27, 0
	v_ldexp_f32 v38, v38, s30
	v_cmp_eq_u64_e32 vcc, s[26:27], v[8:9]
	v_mul_f32_e32 v38, v7, v38
	s_or_b64 s[24:25], vcc, s[24:25]
	v_mov_b32_e32 v7, v6
	v_fma_f32 v6, v52, v6, -v38
	s_andn2_b64 exec, exec, s[24:25]
	s_cbranch_execnz .LBB57_8
; %bb.9:
	s_or_b64 exec, exec, s[24:25]
.LBB57_10:
	s_or_b64 exec, exec, s[22:23]
.LBB57_11:
	s_andn2_saveexec_b64 s[20:21], s[20:21]
; %bb.12:
	v_mov_b32_e32 v6, v52
; %bb.13:
	s_or_b64 exec, exec, s[20:21]
.LBB57_14:
	s_or_b64 exec, exec, s[14:15]
.LBB57_15:
	s_or_b64 exec, exec, s[6:7]
	v_cvt_f32_f16_sdwa v7, v18 dst_sel:DWORD dst_unused:UNUSED_PAD src0_sel:WORD_1
	v_cvt_i32_f32_e32 v8, v7
	v_mov_b32_e32 v7, 0
	v_ashrrev_i32_e32 v9, 31, v8
	v_cmp_lt_i64_e32 vcc, -1, v[8:9]
	s_and_saveexec_b64 s[6:7], vcc
	s_cbranch_execz .LBB57_27
; %bb.16:
	v_cmp_lt_i64_e32 vcc, 0, v[8:9]
	v_mov_b32_e32 v7, 1.0
	s_and_saveexec_b64 s[14:15], vcc
	s_cbranch_execz .LBB57_26
; %bb.17:
	v_cmp_ne_u64_e32 vcc, 1, v[8:9]
	s_and_saveexec_b64 s[20:21], vcc
	s_xor_b64 s[20:21], exec, s[20:21]
	s_cbranch_execz .LBB57_23
; %bb.18:
	s_mov_b64 s[22:23], 0x81
	v_cmp_gt_u64_e32 vcc, s[22:23], v[8:9]
	v_mov_b32_e32 v7, 0x7fc00000
	s_and_saveexec_b64 s[22:23], vcc
	s_cbranch_execz .LBB57_22
; %bb.19:
	s_mov_b64 s[26:27], 1
	s_mov_b64 s[24:25], 0
	v_mov_b32_e32 v18, 1.0
	v_mov_b32_e32 v7, v53
.LBB57_20:                              ; =>This Inner Loop Header: Depth=1
	s_flbit_i32_b32 s28, s27
	s_min_u32 s30, s28, 32
	s_lshl_b64 s[28:29], s[26:27], s30
	s_min_u32 s28, s28, 1
	s_or_b32 s28, s29, s28
	v_cvt_f32_u32_e32 v38, s28
	s_sub_i32 s30, 32, s30
	s_add_u32 s26, s26, 1
	s_addc_u32 s27, s27, 0
	v_ldexp_f32 v38, v38, s30
	v_cmp_eq_u64_e32 vcc, s[26:27], v[8:9]
	v_mul_f32_e32 v38, v18, v38
	s_or_b64 s[24:25], vcc, s[24:25]
	v_mov_b32_e32 v18, v7
	v_fma_f32 v7, v53, v7, -v38
	s_andn2_b64 exec, exec, s[24:25]
	s_cbranch_execnz .LBB57_20
; %bb.21:
	s_or_b64 exec, exec, s[24:25]
.LBB57_22:
	s_or_b64 exec, exec, s[22:23]
.LBB57_23:
	s_andn2_saveexec_b64 s[20:21], s[20:21]
; %bb.24:
	v_mov_b32_e32 v7, v53
; %bb.25:
	s_or_b64 exec, exec, s[20:21]
.LBB57_26:
	s_or_b64 exec, exec, s[14:15]
.LBB57_27:
	s_or_b64 exec, exec, s[6:7]
	v_cvt_f32_f16_e32 v8, v19
	v_cvt_i32_f32_e32 v38, v8
	v_mov_b32_e32 v8, 0
	v_ashrrev_i32_e32 v39, 31, v38
	v_cmp_lt_i64_e32 vcc, -1, v[38:39]
	s_and_saveexec_b64 s[6:7], vcc
	s_cbranch_execz .LBB57_39
; %bb.28:
	v_cmp_lt_i64_e32 vcc, 0, v[38:39]
	v_mov_b32_e32 v8, 1.0
	s_and_saveexec_b64 s[14:15], vcc
	s_cbranch_execz .LBB57_38
; %bb.29:
	v_cmp_ne_u64_e32 vcc, 1, v[38:39]
	s_and_saveexec_b64 s[20:21], vcc
	s_xor_b64 s[20:21], exec, s[20:21]
	s_cbranch_execz .LBB57_35
; %bb.30:
	s_mov_b64 s[22:23], 0x81
	v_cmp_gt_u64_e32 vcc, s[22:23], v[38:39]
	v_mov_b32_e32 v8, 0x7fc00000
	s_and_saveexec_b64 s[22:23], vcc
	s_cbranch_execz .LBB57_34
; %bb.31:
	s_mov_b64 s[26:27], 1
	s_mov_b64 s[24:25], 0
	v_mov_b32_e32 v9, 1.0
	v_mov_b32_e32 v8, v54
.LBB57_32:                              ; =>This Inner Loop Header: Depth=1
	s_flbit_i32_b32 s28, s27
	s_min_u32 s30, s28, 32
	s_lshl_b64 s[28:29], s[26:27], s30
	s_min_u32 s28, s28, 1
	s_or_b32 s28, s29, s28
	v_cvt_f32_u32_e32 v18, s28
	s_sub_i32 s30, 32, s30
	s_add_u32 s26, s26, 1
	s_addc_u32 s27, s27, 0
	v_ldexp_f32 v18, v18, s30
	v_cmp_eq_u64_e32 vcc, s[26:27], v[38:39]
	v_mul_f32_e32 v18, v9, v18
	s_or_b64 s[24:25], vcc, s[24:25]
	v_mov_b32_e32 v9, v8
	v_fma_f32 v8, v54, v8, -v18
	s_andn2_b64 exec, exec, s[24:25]
	s_cbranch_execnz .LBB57_32
; %bb.33:
	s_or_b64 exec, exec, s[24:25]
.LBB57_34:
	s_or_b64 exec, exec, s[22:23]
.LBB57_35:
	s_andn2_saveexec_b64 s[20:21], s[20:21]
; %bb.36:
	v_mov_b32_e32 v8, v54
; %bb.37:
	s_or_b64 exec, exec, s[20:21]
.LBB57_38:
	s_or_b64 exec, exec, s[14:15]
.LBB57_39:
	s_or_b64 exec, exec, s[6:7]
	v_cvt_f32_f16_sdwa v9, v19 dst_sel:DWORD dst_unused:UNUSED_PAD src0_sel:WORD_1
	v_cvt_i32_f32_e32 v18, v9
	v_mov_b32_e32 v9, 0
	v_ashrrev_i32_e32 v19, 31, v18
	v_cmp_lt_i64_e32 vcc, -1, v[18:19]
	s_and_saveexec_b64 s[6:7], vcc
	s_cbranch_execz .LBB57_51
; %bb.40:
	v_cmp_lt_i64_e32 vcc, 0, v[18:19]
	v_mov_b32_e32 v9, 1.0
	s_and_saveexec_b64 s[14:15], vcc
	s_cbranch_execz .LBB57_50
; %bb.41:
	v_cmp_ne_u64_e32 vcc, 1, v[18:19]
	s_and_saveexec_b64 s[20:21], vcc
	s_xor_b64 s[20:21], exec, s[20:21]
	s_cbranch_execz .LBB57_47
; %bb.42:
	s_mov_b64 s[22:23], 0x81
	v_cmp_gt_u64_e32 vcc, s[22:23], v[18:19]
	v_mov_b32_e32 v9, 0x7fc00000
	s_and_saveexec_b64 s[22:23], vcc
	s_cbranch_execz .LBB57_46
; %bb.43:
	s_mov_b64 s[26:27], 1
	s_mov_b64 s[24:25], 0
	v_mov_b32_e32 v38, 1.0
	v_mov_b32_e32 v9, v55
.LBB57_44:                              ; =>This Inner Loop Header: Depth=1
	s_flbit_i32_b32 s28, s27
	s_min_u32 s30, s28, 32
	s_lshl_b64 s[28:29], s[26:27], s30
	s_min_u32 s28, s28, 1
	s_or_b32 s28, s29, s28
	v_cvt_f32_u32_e32 v39, s28
	s_sub_i32 s30, 32, s30
	s_add_u32 s26, s26, 1
	s_addc_u32 s27, s27, 0
	v_ldexp_f32 v39, v39, s30
	v_cmp_eq_u64_e32 vcc, s[26:27], v[18:19]
	v_mul_f32_e32 v39, v38, v39
	s_or_b64 s[24:25], vcc, s[24:25]
	v_mov_b32_e32 v38, v9
	v_fma_f32 v9, v55, v9, -v39
	s_andn2_b64 exec, exec, s[24:25]
	s_cbranch_execnz .LBB57_44
; %bb.45:
	s_or_b64 exec, exec, s[24:25]
.LBB57_46:
	s_or_b64 exec, exec, s[22:23]
                                        ; implicit-def: $vgpr55
.LBB57_47:
	s_andn2_saveexec_b64 s[20:21], s[20:21]
; %bb.48:
	v_mov_b32_e32 v9, v55
; %bb.49:
	s_or_b64 exec, exec, s[20:21]
.LBB57_50:
	s_or_b64 exec, exec, s[14:15]
.LBB57_51:
	s_or_b64 exec, exec, s[6:7]
	v_cvt_f32_f16_e32 v18, v20
	v_cvt_i32_f32_e32 v38, v18
	v_mov_b32_e32 v18, 0
	v_ashrrev_i32_e32 v39, 31, v38
	v_cmp_lt_i64_e32 vcc, -1, v[38:39]
	s_and_saveexec_b64 s[6:7], vcc
	s_cbranch_execz .LBB57_63
; %bb.52:
	v_cmp_lt_i64_e32 vcc, 0, v[38:39]
	v_mov_b32_e32 v18, 1.0
	s_and_saveexec_b64 s[14:15], vcc
	s_cbranch_execz .LBB57_62
; %bb.53:
	v_cmp_ne_u64_e32 vcc, 1, v[38:39]
                                        ; implicit-def: $vgpr18
	s_and_saveexec_b64 s[20:21], vcc
	s_xor_b64 s[20:21], exec, s[20:21]
	s_cbranch_execz .LBB57_59
; %bb.54:
	s_mov_b64 s[22:23], 0x81
	v_cmp_gt_u64_e32 vcc, s[22:23], v[38:39]
	v_mov_b32_e32 v18, 0x7fc00000
	s_and_saveexec_b64 s[22:23], vcc
	s_cbranch_execz .LBB57_58
; %bb.55:
	s_mov_b64 s[26:27], 1
	s_mov_b64 s[24:25], 0
	v_mov_b32_e32 v19, 1.0
	v_mov_b32_e32 v18, v26
.LBB57_56:                              ; =>This Inner Loop Header: Depth=1
	s_flbit_i32_b32 s28, s27
	s_min_u32 s30, s28, 32
	s_lshl_b64 s[28:29], s[26:27], s30
	s_min_u32 s28, s28, 1
	s_or_b32 s28, s29, s28
	v_cvt_f32_u32_e32 v52, s28
	s_sub_i32 s30, 32, s30
	s_add_u32 s26, s26, 1
	s_addc_u32 s27, s27, 0
	v_ldexp_f32 v52, v52, s30
	v_cmp_eq_u64_e32 vcc, s[26:27], v[38:39]
	v_mul_f32_e32 v52, v19, v52
	s_or_b64 s[24:25], vcc, s[24:25]
	v_mov_b32_e32 v19, v18
	v_fma_f32 v18, v26, v18, -v52
	s_andn2_b64 exec, exec, s[24:25]
	s_cbranch_execnz .LBB57_56
; %bb.57:
	s_or_b64 exec, exec, s[24:25]
.LBB57_58:
	s_or_b64 exec, exec, s[22:23]
.LBB57_59:
	s_andn2_saveexec_b64 s[20:21], s[20:21]
; %bb.60:
	v_mov_b32_e32 v18, v26
; %bb.61:
	s_or_b64 exec, exec, s[20:21]
.LBB57_62:
	s_or_b64 exec, exec, s[14:15]
.LBB57_63:
	s_or_b64 exec, exec, s[6:7]
	v_cvt_f32_f16_sdwa v19, v20 dst_sel:DWORD dst_unused:UNUSED_PAD src0_sel:WORD_1
	v_cvt_i32_f32_e32 v38, v19
	v_mov_b32_e32 v19, 0
	v_ashrrev_i32_e32 v39, 31, v38
	v_cmp_lt_i64_e32 vcc, -1, v[38:39]
	s_and_saveexec_b64 s[6:7], vcc
	s_cbranch_execz .LBB57_75
; %bb.64:
	v_cmp_lt_i64_e32 vcc, 0, v[38:39]
	v_mov_b32_e32 v19, 1.0
	s_and_saveexec_b64 s[14:15], vcc
	s_cbranch_execz .LBB57_74
; %bb.65:
	v_cmp_ne_u64_e32 vcc, 1, v[38:39]
	s_and_saveexec_b64 s[20:21], vcc
	s_xor_b64 s[20:21], exec, s[20:21]
	s_cbranch_execz .LBB57_71
; %bb.66:
	s_mov_b64 s[22:23], 0x81
	v_cmp_gt_u64_e32 vcc, s[22:23], v[38:39]
	v_mov_b32_e32 v19, 0x7fc00000
	s_and_saveexec_b64 s[22:23], vcc
	s_cbranch_execz .LBB57_70
; %bb.67:
	s_mov_b64 s[26:27], 1
	s_mov_b64 s[24:25], 0
	v_mov_b32_e32 v20, 1.0
	v_mov_b32_e32 v19, v27
.LBB57_68:                              ; =>This Inner Loop Header: Depth=1
	s_flbit_i32_b32 s28, s27
	s_min_u32 s30, s28, 32
	s_lshl_b64 s[28:29], s[26:27], s30
	s_min_u32 s28, s28, 1
	s_or_b32 s28, s29, s28
	v_cvt_f32_u32_e32 v26, s28
	s_sub_i32 s30, 32, s30
	s_add_u32 s26, s26, 1
	s_addc_u32 s27, s27, 0
	v_ldexp_f32 v26, v26, s30
	v_cmp_eq_u64_e32 vcc, s[26:27], v[38:39]
	v_mul_f32_e32 v26, v20, v26
	s_or_b64 s[24:25], vcc, s[24:25]
	v_mov_b32_e32 v20, v19
	v_fma_f32 v19, v27, v19, -v26
	s_andn2_b64 exec, exec, s[24:25]
	s_cbranch_execnz .LBB57_68
; %bb.69:
	s_or_b64 exec, exec, s[24:25]
.LBB57_70:
	s_or_b64 exec, exec, s[22:23]
.LBB57_71:
	s_andn2_saveexec_b64 s[20:21], s[20:21]
; %bb.72:
	v_mov_b32_e32 v19, v27
; %bb.73:
	s_or_b64 exec, exec, s[20:21]
.LBB57_74:
	s_or_b64 exec, exec, s[14:15]
.LBB57_75:
	s_or_b64 exec, exec, s[6:7]
	v_cvt_f32_f16_e32 v20, v21
	v_cvt_i32_f32_e32 v26, v20
	v_mov_b32_e32 v20, 0
	v_ashrrev_i32_e32 v27, 31, v26
	v_cmp_lt_i64_e32 vcc, -1, v[26:27]
	s_and_saveexec_b64 s[6:7], vcc
	s_cbranch_execz .LBB57_87
; %bb.76:
	v_cmp_lt_i64_e32 vcc, 0, v[26:27]
	v_mov_b32_e32 v20, 1.0
	s_and_saveexec_b64 s[14:15], vcc
	s_cbranch_execz .LBB57_86
; %bb.77:
	v_cmp_ne_u64_e32 vcc, 1, v[26:27]
	s_and_saveexec_b64 s[20:21], vcc
	s_xor_b64 s[20:21], exec, s[20:21]
	s_cbranch_execz .LBB57_83
; %bb.78:
	s_mov_b64 s[22:23], 0x81
	v_cmp_gt_u64_e32 vcc, s[22:23], v[26:27]
	v_mov_b32_e32 v20, 0x7fc00000
	s_and_saveexec_b64 s[22:23], vcc
	s_cbranch_execz .LBB57_82
; %bb.79:
	s_mov_b64 s[26:27], 1
	s_mov_b64 s[24:25], 0
	v_mov_b32_e32 v38, 1.0
	v_mov_b32_e32 v20, v28
.LBB57_80:                              ; =>This Inner Loop Header: Depth=1
	s_flbit_i32_b32 s28, s27
	s_min_u32 s30, s28, 32
	s_lshl_b64 s[28:29], s[26:27], s30
	s_min_u32 s28, s28, 1
	s_or_b32 s28, s29, s28
	v_cvt_f32_u32_e32 v39, s28
	s_sub_i32 s30, 32, s30
	s_add_u32 s26, s26, 1
	s_addc_u32 s27, s27, 0
	v_ldexp_f32 v39, v39, s30
	v_cmp_eq_u64_e32 vcc, s[26:27], v[26:27]
	v_mul_f32_e32 v39, v38, v39
	s_or_b64 s[24:25], vcc, s[24:25]
	v_mov_b32_e32 v38, v20
	v_fma_f32 v20, v28, v20, -v39
	s_andn2_b64 exec, exec, s[24:25]
	s_cbranch_execnz .LBB57_80
; %bb.81:
	s_or_b64 exec, exec, s[24:25]
.LBB57_82:
	s_or_b64 exec, exec, s[22:23]
.LBB57_83:
	s_andn2_saveexec_b64 s[20:21], s[20:21]
; %bb.84:
	v_mov_b32_e32 v20, v28
; %bb.85:
	s_or_b64 exec, exec, s[20:21]
.LBB57_86:
	s_or_b64 exec, exec, s[14:15]
.LBB57_87:
	s_or_b64 exec, exec, s[6:7]
	v_cvt_f32_f16_sdwa v21, v21 dst_sel:DWORD dst_unused:UNUSED_PAD src0_sel:WORD_1
	v_cvt_i32_f32_e32 v26, v21
	v_mov_b32_e32 v21, 0
	v_ashrrev_i32_e32 v27, 31, v26
	v_cmp_lt_i64_e32 vcc, -1, v[26:27]
	s_and_saveexec_b64 s[6:7], vcc
	s_cbranch_execz .LBB57_99
; %bb.88:
	v_cmp_lt_i64_e32 vcc, 0, v[26:27]
	v_mov_b32_e32 v21, 1.0
	s_and_saveexec_b64 s[14:15], vcc
	s_cbranch_execz .LBB57_98
; %bb.89:
	v_cmp_ne_u64_e32 vcc, 1, v[26:27]
	s_and_saveexec_b64 s[20:21], vcc
	s_xor_b64 s[20:21], exec, s[20:21]
	s_cbranch_execz .LBB57_95
; %bb.90:
	s_mov_b64 s[22:23], 0x81
	v_cmp_gt_u64_e32 vcc, s[22:23], v[26:27]
	v_mov_b32_e32 v21, 0x7fc00000
	s_and_saveexec_b64 s[22:23], vcc
	s_cbranch_execz .LBB57_94
; %bb.91:
	s_mov_b64 s[26:27], 1
	s_mov_b64 s[24:25], 0
	v_mov_b32_e32 v28, 1.0
	v_mov_b32_e32 v21, v29
.LBB57_92:                              ; =>This Inner Loop Header: Depth=1
	s_flbit_i32_b32 s28, s27
	s_min_u32 s30, s28, 32
	s_lshl_b64 s[28:29], s[26:27], s30
	s_min_u32 s28, s28, 1
	s_or_b32 s28, s29, s28
	v_cvt_f32_u32_e32 v38, s28
	s_sub_i32 s30, 32, s30
	s_add_u32 s26, s26, 1
	s_addc_u32 s27, s27, 0
	v_ldexp_f32 v38, v38, s30
	v_cmp_eq_u64_e32 vcc, s[26:27], v[26:27]
	v_mul_f32_e32 v38, v28, v38
	s_or_b64 s[24:25], vcc, s[24:25]
	v_mov_b32_e32 v28, v21
	v_fma_f32 v21, v29, v21, -v38
	s_andn2_b64 exec, exec, s[24:25]
	s_cbranch_execnz .LBB57_92
; %bb.93:
	s_or_b64 exec, exec, s[24:25]
.LBB57_94:
	s_or_b64 exec, exec, s[22:23]
                                        ; implicit-def: $vgpr29
.LBB57_95:
	s_andn2_saveexec_b64 s[20:21], s[20:21]
; %bb.96:
	v_mov_b32_e32 v21, v29
; %bb.97:
	s_or_b64 exec, exec, s[20:21]
.LBB57_98:
	s_or_b64 exec, exec, s[14:15]
.LBB57_99:
	s_or_b64 exec, exec, s[6:7]
	s_waitcnt vmcnt(2)
	v_cvt_f32_f16_e32 v26, v44
	v_cvt_i32_f32_e32 v28, v26
	v_mov_b32_e32 v26, 0
	v_ashrrev_i32_e32 v29, 31, v28
	v_cmp_lt_i64_e32 vcc, -1, v[28:29]
	s_and_saveexec_b64 s[6:7], vcc
	s_cbranch_execz .LBB57_111
; %bb.100:
	v_cmp_lt_i64_e32 vcc, 0, v[28:29]
	v_mov_b32_e32 v26, 1.0
	s_and_saveexec_b64 s[14:15], vcc
	s_cbranch_execz .LBB57_110
; %bb.101:
	v_cmp_ne_u64_e32 vcc, 1, v[28:29]
                                        ; implicit-def: $vgpr26
	s_and_saveexec_b64 s[20:21], vcc
	s_xor_b64 s[20:21], exec, s[20:21]
	s_cbranch_execz .LBB57_107
; %bb.102:
	s_mov_b64 s[22:23], 0x81
	v_cmp_gt_u64_e32 vcc, s[22:23], v[28:29]
	v_mov_b32_e32 v26, 0x7fc00000
	s_and_saveexec_b64 s[22:23], vcc
	s_cbranch_execz .LBB57_106
; %bb.103:
	s_mov_b64 s[26:27], 1
	s_mov_b64 s[24:25], 0
	v_mov_b32_e32 v27, 1.0
	v_mov_b32_e32 v26, v48
.LBB57_104:                             ; =>This Inner Loop Header: Depth=1
	s_flbit_i32_b32 s28, s27
	s_min_u32 s30, s28, 32
	s_lshl_b64 s[28:29], s[26:27], s30
	s_min_u32 s28, s28, 1
	s_or_b32 s28, s29, s28
	v_cvt_f32_u32_e32 v38, s28
	s_sub_i32 s30, 32, s30
	s_add_u32 s26, s26, 1
	s_addc_u32 s27, s27, 0
	v_ldexp_f32 v38, v38, s30
	v_cmp_eq_u64_e32 vcc, s[26:27], v[28:29]
	v_mul_f32_e32 v38, v27, v38
	s_or_b64 s[24:25], vcc, s[24:25]
	v_mov_b32_e32 v27, v26
	v_fma_f32 v26, v48, v26, -v38
	s_andn2_b64 exec, exec, s[24:25]
	s_cbranch_execnz .LBB57_104
; %bb.105:
	s_or_b64 exec, exec, s[24:25]
.LBB57_106:
	s_or_b64 exec, exec, s[22:23]
.LBB57_107:
	s_andn2_saveexec_b64 s[20:21], s[20:21]
; %bb.108:
	v_mov_b32_e32 v26, v48
; %bb.109:
	s_or_b64 exec, exec, s[20:21]
.LBB57_110:
	s_or_b64 exec, exec, s[14:15]
.LBB57_111:
	s_or_b64 exec, exec, s[6:7]
	v_cvt_f32_f16_sdwa v27, v44 dst_sel:DWORD dst_unused:UNUSED_PAD src0_sel:WORD_1
	v_cvt_i32_f32_e32 v28, v27
	v_mov_b32_e32 v27, 0
	v_ashrrev_i32_e32 v29, 31, v28
	v_cmp_lt_i64_e32 vcc, -1, v[28:29]
	s_and_saveexec_b64 s[6:7], vcc
	s_cbranch_execz .LBB57_123
; %bb.112:
	v_cmp_lt_i64_e32 vcc, 0, v[28:29]
	v_mov_b32_e32 v27, 1.0
	s_and_saveexec_b64 s[14:15], vcc
	s_cbranch_execz .LBB57_122
; %bb.113:
	v_cmp_ne_u64_e32 vcc, 1, v[28:29]
	s_and_saveexec_b64 s[20:21], vcc
	s_xor_b64 s[20:21], exec, s[20:21]
	s_cbranch_execz .LBB57_119
; %bb.114:
	s_mov_b64 s[22:23], 0x81
	v_cmp_gt_u64_e32 vcc, s[22:23], v[28:29]
	v_mov_b32_e32 v27, 0x7fc00000
	s_and_saveexec_b64 s[22:23], vcc
	s_cbranch_execz .LBB57_118
; %bb.115:
	s_mov_b64 s[26:27], 1
	s_mov_b64 s[24:25], 0
	v_mov_b32_e32 v38, 1.0
	v_mov_b32_e32 v27, v49
.LBB57_116:                             ; =>This Inner Loop Header: Depth=1
	s_flbit_i32_b32 s28, s27
	s_min_u32 s30, s28, 32
	s_lshl_b64 s[28:29], s[26:27], s30
	s_min_u32 s28, s28, 1
	s_or_b32 s28, s29, s28
	v_cvt_f32_u32_e32 v39, s28
	s_sub_i32 s30, 32, s30
	s_add_u32 s26, s26, 1
	s_addc_u32 s27, s27, 0
	v_ldexp_f32 v39, v39, s30
	v_cmp_eq_u64_e32 vcc, s[26:27], v[28:29]
	v_mul_f32_e32 v39, v38, v39
	s_or_b64 s[24:25], vcc, s[24:25]
	v_mov_b32_e32 v38, v27
	v_fma_f32 v27, v49, v27, -v39
	s_andn2_b64 exec, exec, s[24:25]
	s_cbranch_execnz .LBB57_116
; %bb.117:
	s_or_b64 exec, exec, s[24:25]
.LBB57_118:
	s_or_b64 exec, exec, s[22:23]
.LBB57_119:
	s_andn2_saveexec_b64 s[20:21], s[20:21]
; %bb.120:
	v_mov_b32_e32 v27, v49
; %bb.121:
	s_or_b64 exec, exec, s[20:21]
.LBB57_122:
	s_or_b64 exec, exec, s[14:15]
.LBB57_123:
	s_or_b64 exec, exec, s[6:7]
	v_cvt_f32_f16_e32 v28, v45
	v_cvt_i32_f32_e32 v38, v28
	v_mov_b32_e32 v28, 0
	v_ashrrev_i32_e32 v39, 31, v38
	v_cmp_lt_i64_e32 vcc, -1, v[38:39]
	s_and_saveexec_b64 s[6:7], vcc
	s_cbranch_execz .LBB57_135
; %bb.124:
	v_cmp_lt_i64_e32 vcc, 0, v[38:39]
	v_mov_b32_e32 v28, 1.0
	s_and_saveexec_b64 s[14:15], vcc
	s_cbranch_execz .LBB57_134
; %bb.125:
	v_cmp_ne_u64_e32 vcc, 1, v[38:39]
	s_and_saveexec_b64 s[20:21], vcc
	s_xor_b64 s[20:21], exec, s[20:21]
	s_cbranch_execz .LBB57_131
; %bb.126:
	s_mov_b64 s[22:23], 0x81
	v_cmp_gt_u64_e32 vcc, s[22:23], v[38:39]
	v_mov_b32_e32 v28, 0x7fc00000
	s_and_saveexec_b64 s[22:23], vcc
	s_cbranch_execz .LBB57_130
; %bb.127:
	s_mov_b64 s[26:27], 1
	s_mov_b64 s[24:25], 0
	v_mov_b32_e32 v29, 1.0
	v_mov_b32_e32 v28, v50
.LBB57_128:                             ; =>This Inner Loop Header: Depth=1
	s_flbit_i32_b32 s28, s27
	s_min_u32 s30, s28, 32
	s_lshl_b64 s[28:29], s[26:27], s30
	s_min_u32 s28, s28, 1
	s_or_b32 s28, s29, s28
	v_cvt_f32_u32_e32 v44, s28
	s_sub_i32 s30, 32, s30
	s_add_u32 s26, s26, 1
	s_addc_u32 s27, s27, 0
	v_ldexp_f32 v44, v44, s30
	v_cmp_eq_u64_e32 vcc, s[26:27], v[38:39]
	v_mul_f32_e32 v44, v29, v44
	s_or_b64 s[24:25], vcc, s[24:25]
	v_mov_b32_e32 v29, v28
	v_fma_f32 v28, v50, v28, -v44
	s_andn2_b64 exec, exec, s[24:25]
	s_cbranch_execnz .LBB57_128
; %bb.129:
	s_or_b64 exec, exec, s[24:25]
.LBB57_130:
	s_or_b64 exec, exec, s[22:23]
.LBB57_131:
	s_andn2_saveexec_b64 s[20:21], s[20:21]
; %bb.132:
	v_mov_b32_e32 v28, v50
; %bb.133:
	s_or_b64 exec, exec, s[20:21]
.LBB57_134:
	s_or_b64 exec, exec, s[14:15]
.LBB57_135:
	s_or_b64 exec, exec, s[6:7]
	v_cvt_f32_f16_sdwa v29, v45 dst_sel:DWORD dst_unused:UNUSED_PAD src0_sel:WORD_1
	v_cvt_i32_f32_e32 v38, v29
	v_mov_b32_e32 v29, 0
	v_ashrrev_i32_e32 v39, 31, v38
	v_cmp_lt_i64_e32 vcc, -1, v[38:39]
	s_and_saveexec_b64 s[6:7], vcc
	s_cbranch_execz .LBB57_147
; %bb.136:
	v_cmp_lt_i64_e32 vcc, 0, v[38:39]
	v_mov_b32_e32 v29, 1.0
	s_and_saveexec_b64 s[14:15], vcc
	s_cbranch_execz .LBB57_146
; %bb.137:
	v_cmp_ne_u64_e32 vcc, 1, v[38:39]
	s_and_saveexec_b64 s[20:21], vcc
	s_xor_b64 s[20:21], exec, s[20:21]
	s_cbranch_execz .LBB57_143
; %bb.138:
	s_mov_b64 s[22:23], 0x81
	v_cmp_gt_u64_e32 vcc, s[22:23], v[38:39]
	v_mov_b32_e32 v29, 0x7fc00000
	s_and_saveexec_b64 s[22:23], vcc
	s_cbranch_execz .LBB57_142
; %bb.139:
	s_mov_b64 s[26:27], 1
	s_mov_b64 s[24:25], 0
	v_mov_b32_e32 v44, 1.0
	v_mov_b32_e32 v29, v51
.LBB57_140:                             ; =>This Inner Loop Header: Depth=1
	s_flbit_i32_b32 s28, s27
	s_min_u32 s30, s28, 32
	s_lshl_b64 s[28:29], s[26:27], s30
	s_min_u32 s28, s28, 1
	s_or_b32 s28, s29, s28
	v_cvt_f32_u32_e32 v45, s28
	s_sub_i32 s30, 32, s30
	s_add_u32 s26, s26, 1
	s_addc_u32 s27, s27, 0
	v_ldexp_f32 v45, v45, s30
	v_cmp_eq_u64_e32 vcc, s[26:27], v[38:39]
	v_mul_f32_e32 v45, v44, v45
	s_or_b64 s[24:25], vcc, s[24:25]
	v_mov_b32_e32 v44, v29
	v_fma_f32 v29, v51, v29, -v45
	s_andn2_b64 exec, exec, s[24:25]
	s_cbranch_execnz .LBB57_140
; %bb.141:
	s_or_b64 exec, exec, s[24:25]
.LBB57_142:
	s_or_b64 exec, exec, s[22:23]
                                        ; implicit-def: $vgpr51
.LBB57_143:
	s_andn2_saveexec_b64 s[20:21], s[20:21]
; %bb.144:
	v_mov_b32_e32 v29, v51
; %bb.145:
	s_or_b64 exec, exec, s[20:21]
.LBB57_146:
	s_or_b64 exec, exec, s[14:15]
.LBB57_147:
	s_or_b64 exec, exec, s[6:7]
	v_cvt_f32_f16_e32 v38, v46
	v_cvt_i32_f32_e32 v44, v38
	v_mov_b32_e32 v38, 0
	v_ashrrev_i32_e32 v45, 31, v44
	v_cmp_lt_i64_e32 vcc, -1, v[44:45]
	s_and_saveexec_b64 s[6:7], vcc
	s_cbranch_execz .LBB57_159
; %bb.148:
	v_cmp_lt_i64_e32 vcc, 0, v[44:45]
	v_mov_b32_e32 v38, 1.0
	s_and_saveexec_b64 s[14:15], vcc
	s_cbranch_execz .LBB57_158
; %bb.149:
	v_cmp_ne_u64_e32 vcc, 1, v[44:45]
                                        ; implicit-def: $vgpr38
	s_and_saveexec_b64 s[20:21], vcc
	s_xor_b64 s[20:21], exec, s[20:21]
	s_cbranch_execz .LBB57_155
; %bb.150:
	s_mov_b64 s[22:23], 0x81
	v_cmp_gt_u64_e32 vcc, s[22:23], v[44:45]
	v_mov_b32_e32 v38, 0x7fc00000
	s_and_saveexec_b64 s[22:23], vcc
	s_cbranch_execz .LBB57_154
; %bb.151:
	s_mov_b64 s[26:27], 1
	s_mov_b64 s[24:25], 0
	v_mov_b32_e32 v39, 1.0
	v_mov_b32_e32 v38, v40
.LBB57_152:                             ; =>This Inner Loop Header: Depth=1
	s_flbit_i32_b32 s28, s27
	s_min_u32 s30, s28, 32
	s_lshl_b64 s[28:29], s[26:27], s30
	s_min_u32 s28, s28, 1
	s_or_b32 s28, s29, s28
	v_cvt_f32_u32_e32 v48, s28
	s_sub_i32 s30, 32, s30
	s_add_u32 s26, s26, 1
	s_addc_u32 s27, s27, 0
	v_ldexp_f32 v48, v48, s30
	v_cmp_eq_u64_e32 vcc, s[26:27], v[44:45]
	v_mul_f32_e32 v48, v39, v48
	s_or_b64 s[24:25], vcc, s[24:25]
	v_mov_b32_e32 v39, v38
	v_fma_f32 v38, v40, v38, -v48
	s_andn2_b64 exec, exec, s[24:25]
	s_cbranch_execnz .LBB57_152
; %bb.153:
	s_or_b64 exec, exec, s[24:25]
.LBB57_154:
	s_or_b64 exec, exec, s[22:23]
.LBB57_155:
	s_andn2_saveexec_b64 s[20:21], s[20:21]
; %bb.156:
	v_mov_b32_e32 v38, v40
; %bb.157:
	s_or_b64 exec, exec, s[20:21]
.LBB57_158:
	s_or_b64 exec, exec, s[14:15]
.LBB57_159:
	s_or_b64 exec, exec, s[6:7]
	v_cvt_f32_f16_sdwa v39, v46 dst_sel:DWORD dst_unused:UNUSED_PAD src0_sel:WORD_1
	v_cvt_i32_f32_e32 v44, v39
	v_mov_b32_e32 v39, 0
	v_ashrrev_i32_e32 v45, 31, v44
	v_cmp_lt_i64_e32 vcc, -1, v[44:45]
	s_and_saveexec_b64 s[6:7], vcc
	s_cbranch_execz .LBB57_171
; %bb.160:
	v_cmp_lt_i64_e32 vcc, 0, v[44:45]
	v_mov_b32_e32 v39, 1.0
	s_and_saveexec_b64 s[14:15], vcc
	s_cbranch_execz .LBB57_170
; %bb.161:
	v_cmp_ne_u64_e32 vcc, 1, v[44:45]
	s_and_saveexec_b64 s[20:21], vcc
	s_xor_b64 s[20:21], exec, s[20:21]
	s_cbranch_execz .LBB57_167
; %bb.162:
	s_mov_b64 s[22:23], 0x81
	v_cmp_gt_u64_e32 vcc, s[22:23], v[44:45]
	v_mov_b32_e32 v39, 0x7fc00000
	s_and_saveexec_b64 s[22:23], vcc
	s_cbranch_execz .LBB57_166
; %bb.163:
	s_mov_b64 s[26:27], 1
	s_mov_b64 s[24:25], 0
	v_mov_b32_e32 v40, 1.0
	v_mov_b32_e32 v39, v41
.LBB57_164:                             ; =>This Inner Loop Header: Depth=1
	s_flbit_i32_b32 s28, s27
	s_min_u32 s30, s28, 32
	s_lshl_b64 s[28:29], s[26:27], s30
	s_min_u32 s28, s28, 1
	s_or_b32 s28, s29, s28
	v_cvt_f32_u32_e32 v46, s28
	s_sub_i32 s30, 32, s30
	s_add_u32 s26, s26, 1
	s_addc_u32 s27, s27, 0
	v_ldexp_f32 v46, v46, s30
	v_cmp_eq_u64_e32 vcc, s[26:27], v[44:45]
	v_mul_f32_e32 v46, v40, v46
	s_or_b64 s[24:25], vcc, s[24:25]
	v_mov_b32_e32 v40, v39
	v_fma_f32 v39, v41, v39, -v46
	s_andn2_b64 exec, exec, s[24:25]
	s_cbranch_execnz .LBB57_164
; %bb.165:
	s_or_b64 exec, exec, s[24:25]
.LBB57_166:
	s_or_b64 exec, exec, s[22:23]
.LBB57_167:
	s_andn2_saveexec_b64 s[20:21], s[20:21]
; %bb.168:
	v_mov_b32_e32 v39, v41
; %bb.169:
	s_or_b64 exec, exec, s[20:21]
.LBB57_170:
	s_or_b64 exec, exec, s[14:15]
.LBB57_171:
	s_or_b64 exec, exec, s[6:7]
	v_cvt_f32_f16_e32 v40, v47
	v_cvt_i32_f32_e32 v44, v40
	v_mov_b32_e32 v40, 0
	v_ashrrev_i32_e32 v45, 31, v44
	v_cmp_lt_i64_e32 vcc, -1, v[44:45]
	s_and_saveexec_b64 s[6:7], vcc
	s_cbranch_execz .LBB57_183
; %bb.172:
	v_cmp_lt_i64_e32 vcc, 0, v[44:45]
	v_mov_b32_e32 v40, 1.0
	s_and_saveexec_b64 s[14:15], vcc
	s_cbranch_execz .LBB57_182
; %bb.173:
	v_cmp_ne_u64_e32 vcc, 1, v[44:45]
	s_and_saveexec_b64 s[20:21], vcc
	s_xor_b64 s[20:21], exec, s[20:21]
	s_cbranch_execz .LBB57_179
; %bb.174:
	s_mov_b64 s[22:23], 0x81
	v_cmp_gt_u64_e32 vcc, s[22:23], v[44:45]
	v_mov_b32_e32 v40, 0x7fc00000
	s_and_saveexec_b64 s[22:23], vcc
	s_cbranch_execz .LBB57_178
; %bb.175:
	s_mov_b64 s[26:27], 1
	s_mov_b64 s[24:25], 0
	v_mov_b32_e32 v41, 1.0
	v_mov_b32_e32 v40, v42
.LBB57_176:                             ; =>This Inner Loop Header: Depth=1
	s_flbit_i32_b32 s28, s27
	s_min_u32 s30, s28, 32
	s_lshl_b64 s[28:29], s[26:27], s30
	s_min_u32 s28, s28, 1
	s_or_b32 s28, s29, s28
	v_cvt_f32_u32_e32 v46, s28
	s_sub_i32 s30, 32, s30
	s_add_u32 s26, s26, 1
	s_addc_u32 s27, s27, 0
	v_ldexp_f32 v46, v46, s30
	v_cmp_eq_u64_e32 vcc, s[26:27], v[44:45]
	v_mul_f32_e32 v46, v41, v46
	s_or_b64 s[24:25], vcc, s[24:25]
	v_mov_b32_e32 v41, v40
	v_fma_f32 v40, v42, v40, -v46
	s_andn2_b64 exec, exec, s[24:25]
	s_cbranch_execnz .LBB57_176
; %bb.177:
	s_or_b64 exec, exec, s[24:25]
.LBB57_178:
	s_or_b64 exec, exec, s[22:23]
.LBB57_179:
	s_andn2_saveexec_b64 s[20:21], s[20:21]
; %bb.180:
	v_mov_b32_e32 v40, v42
; %bb.181:
	s_or_b64 exec, exec, s[20:21]
.LBB57_182:
	s_or_b64 exec, exec, s[14:15]
.LBB57_183:
	s_or_b64 exec, exec, s[6:7]
	v_cvt_f32_f16_sdwa v41, v47 dst_sel:DWORD dst_unused:UNUSED_PAD src0_sel:WORD_1
	v_cvt_i32_f32_e32 v44, v41
	v_mov_b32_e32 v41, 0
	v_ashrrev_i32_e32 v45, 31, v44
	v_cmp_lt_i64_e32 vcc, -1, v[44:45]
	s_and_saveexec_b64 s[6:7], vcc
	s_cbranch_execz .LBB57_195
; %bb.184:
	v_cmp_lt_i64_e32 vcc, 0, v[44:45]
	v_mov_b32_e32 v41, 1.0
	s_and_saveexec_b64 s[14:15], vcc
	s_cbranch_execz .LBB57_194
; %bb.185:
	v_cmp_ne_u64_e32 vcc, 1, v[44:45]
	s_and_saveexec_b64 s[20:21], vcc
	s_xor_b64 s[20:21], exec, s[20:21]
	s_cbranch_execz .LBB57_191
; %bb.186:
	s_mov_b64 s[22:23], 0x81
	v_cmp_gt_u64_e32 vcc, s[22:23], v[44:45]
	v_mov_b32_e32 v41, 0x7fc00000
	s_and_saveexec_b64 s[22:23], vcc
	s_cbranch_execz .LBB57_190
; %bb.187:
	s_mov_b64 s[26:27], 1
	s_mov_b64 s[24:25], 0
	v_mov_b32_e32 v42, 1.0
	v_mov_b32_e32 v41, v43
.LBB57_188:                             ; =>This Inner Loop Header: Depth=1
	s_flbit_i32_b32 s28, s27
	s_min_u32 s30, s28, 32
	s_lshl_b64 s[28:29], s[26:27], s30
	s_min_u32 s28, s28, 1
	s_or_b32 s28, s29, s28
	v_cvt_f32_u32_e32 v46, s28
	s_sub_i32 s30, 32, s30
	s_add_u32 s26, s26, 1
	s_addc_u32 s27, s27, 0
	v_ldexp_f32 v46, v46, s30
	v_cmp_eq_u64_e32 vcc, s[26:27], v[44:45]
	v_mul_f32_e32 v46, v42, v46
	s_or_b64 s[24:25], vcc, s[24:25]
	v_mov_b32_e32 v42, v41
	v_fma_f32 v41, v43, v41, -v46
	s_andn2_b64 exec, exec, s[24:25]
	s_cbranch_execnz .LBB57_188
; %bb.189:
	s_or_b64 exec, exec, s[24:25]
.LBB57_190:
	s_or_b64 exec, exec, s[22:23]
                                        ; implicit-def: $vgpr43
.LBB57_191:
	s_andn2_saveexec_b64 s[20:21], s[20:21]
; %bb.192:
	v_mov_b32_e32 v41, v43
; %bb.193:
	s_or_b64 exec, exec, s[20:21]
.LBB57_194:
	s_or_b64 exec, exec, s[14:15]
.LBB57_195:
	s_or_b64 exec, exec, s[6:7]
	s_waitcnt vmcnt(1)
	v_cvt_f32_f16_e32 v42, v30
	v_cvt_i32_f32_e32 v44, v42
	v_mov_b32_e32 v42, 0
	v_ashrrev_i32_e32 v45, 31, v44
	v_cmp_lt_i64_e32 vcc, -1, v[44:45]
	s_and_saveexec_b64 s[6:7], vcc
	s_cbranch_execz .LBB57_207
; %bb.196:
	v_cmp_lt_i64_e32 vcc, 0, v[44:45]
	v_mov_b32_e32 v42, 1.0
	s_and_saveexec_b64 s[14:15], vcc
	s_cbranch_execz .LBB57_206
; %bb.197:
	v_cmp_ne_u64_e32 vcc, 1, v[44:45]
                                        ; implicit-def: $vgpr42
	s_and_saveexec_b64 s[20:21], vcc
	s_xor_b64 s[20:21], exec, s[20:21]
	s_cbranch_execz .LBB57_203
; %bb.198:
	s_mov_b64 s[22:23], 0x81
	v_cmp_gt_u64_e32 vcc, s[22:23], v[44:45]
	v_mov_b32_e32 v42, 0x7fc00000
	s_and_saveexec_b64 s[22:23], vcc
	s_cbranch_execz .LBB57_202
; %bb.199:
	s_mov_b64 s[26:27], 1
	s_mov_b64 s[24:25], 0
	v_mov_b32_e32 v43, 1.0
	v_mov_b32_e32 v42, v34
.LBB57_200:                             ; =>This Inner Loop Header: Depth=1
	s_flbit_i32_b32 s28, s27
	s_min_u32 s30, s28, 32
	s_lshl_b64 s[28:29], s[26:27], s30
	s_min_u32 s28, s28, 1
	s_or_b32 s28, s29, s28
	v_cvt_f32_u32_e32 v46, s28
	s_sub_i32 s30, 32, s30
	s_add_u32 s26, s26, 1
	s_addc_u32 s27, s27, 0
	v_ldexp_f32 v46, v46, s30
	v_cmp_eq_u64_e32 vcc, s[26:27], v[44:45]
	v_mul_f32_e32 v46, v43, v46
	s_or_b64 s[24:25], vcc, s[24:25]
	v_mov_b32_e32 v43, v42
	v_fma_f32 v42, v34, v42, -v46
	s_andn2_b64 exec, exec, s[24:25]
	s_cbranch_execnz .LBB57_200
; %bb.201:
	s_or_b64 exec, exec, s[24:25]
.LBB57_202:
	s_or_b64 exec, exec, s[22:23]
.LBB57_203:
	s_andn2_saveexec_b64 s[20:21], s[20:21]
; %bb.204:
	v_mov_b32_e32 v42, v34
; %bb.205:
	s_or_b64 exec, exec, s[20:21]
.LBB57_206:
	s_or_b64 exec, exec, s[14:15]
.LBB57_207:
	s_or_b64 exec, exec, s[6:7]
	v_cvt_f32_f16_sdwa v30, v30 dst_sel:DWORD dst_unused:UNUSED_PAD src0_sel:WORD_1
	v_mov_b32_e32 v43, 0
	v_cvt_i32_f32_e32 v44, v30
	v_ashrrev_i32_e32 v45, 31, v44
	v_cmp_lt_i64_e32 vcc, -1, v[44:45]
	s_and_saveexec_b64 s[6:7], vcc
	s_cbranch_execz .LBB57_219
; %bb.208:
	v_cmp_lt_i64_e32 vcc, 0, v[44:45]
	v_mov_b32_e32 v43, 1.0
	s_and_saveexec_b64 s[14:15], vcc
	s_cbranch_execz .LBB57_218
; %bb.209:
	v_cmp_ne_u64_e32 vcc, 1, v[44:45]
	s_and_saveexec_b64 s[20:21], vcc
	s_xor_b64 s[20:21], exec, s[20:21]
	s_cbranch_execz .LBB57_215
; %bb.210:
	s_mov_b64 s[22:23], 0x81
	v_cmp_gt_u64_e32 vcc, s[22:23], v[44:45]
	v_mov_b32_e32 v43, 0x7fc00000
	s_and_saveexec_b64 s[22:23], vcc
	s_cbranch_execz .LBB57_214
; %bb.211:
	s_mov_b64 s[26:27], 1
	s_mov_b64 s[24:25], 0
	v_mov_b32_e32 v30, 1.0
	v_mov_b32_e32 v43, v35
.LBB57_212:                             ; =>This Inner Loop Header: Depth=1
	s_flbit_i32_b32 s28, s27
	s_min_u32 s30, s28, 32
	s_lshl_b64 s[28:29], s[26:27], s30
	s_min_u32 s28, s28, 1
	s_or_b32 s28, s29, s28
	v_mov_b32_e32 v34, v43
	v_cvt_f32_u32_e32 v43, s28
	s_sub_i32 s30, 32, s30
	s_add_u32 s26, s26, 1
	s_addc_u32 s27, s27, 0
	v_ldexp_f32 v43, v43, s30
	v_cmp_eq_u64_e32 vcc, s[26:27], v[44:45]
	v_mul_f32_e32 v43, v30, v43
	s_or_b64 s[24:25], vcc, s[24:25]
	v_mov_b32_e32 v30, v34
	v_fma_f32 v43, v35, v34, -v43
	s_andn2_b64 exec, exec, s[24:25]
	s_cbranch_execnz .LBB57_212
; %bb.213:
	s_or_b64 exec, exec, s[24:25]
.LBB57_214:
	s_or_b64 exec, exec, s[22:23]
.LBB57_215:
	s_andn2_saveexec_b64 s[20:21], s[20:21]
; %bb.216:
	v_mov_b32_e32 v43, v35
; %bb.217:
	s_or_b64 exec, exec, s[20:21]
.LBB57_218:
	s_or_b64 exec, exec, s[14:15]
.LBB57_219:
	s_or_b64 exec, exec, s[6:7]
	v_cvt_f32_f16_e32 v30, v31
	v_mov_b32_e32 v44, 0
	v_cvt_i32_f32_e32 v34, v30
	v_ashrrev_i32_e32 v35, 31, v34
	v_cmp_lt_i64_e32 vcc, -1, v[34:35]
	s_and_saveexec_b64 s[6:7], vcc
	s_cbranch_execz .LBB57_231
; %bb.220:
	v_cmp_lt_i64_e32 vcc, 0, v[34:35]
	v_mov_b32_e32 v44, 1.0
	s_and_saveexec_b64 s[14:15], vcc
	s_cbranch_execz .LBB57_230
; %bb.221:
	v_cmp_ne_u64_e32 vcc, 1, v[34:35]
	s_and_saveexec_b64 s[20:21], vcc
	s_xor_b64 s[20:21], exec, s[20:21]
	s_cbranch_execz .LBB57_227
; %bb.222:
	s_mov_b64 s[22:23], 0x81
	v_cmp_gt_u64_e32 vcc, s[22:23], v[34:35]
	v_mov_b32_e32 v44, 0x7fc00000
	s_and_saveexec_b64 s[22:23], vcc
	s_cbranch_execz .LBB57_226
; %bb.223:
	s_mov_b64 s[26:27], 1
	s_mov_b64 s[24:25], 0
	v_mov_b32_e32 v30, 1.0
	v_mov_b32_e32 v44, v36
.LBB57_224:                             ; =>This Inner Loop Header: Depth=1
	s_flbit_i32_b32 s28, s27
	s_min_u32 s30, s28, 32
	s_lshl_b64 s[28:29], s[26:27], s30
	s_min_u32 s28, s28, 1
	s_or_b32 s28, s29, s28
	v_cvt_f32_u32_e32 v45, s28
	s_sub_i32 s30, 32, s30
	s_add_u32 s26, s26, 1
	s_addc_u32 s27, s27, 0
	v_ldexp_f32 v45, v45, s30
	v_cmp_eq_u64_e32 vcc, s[26:27], v[34:35]
	v_mul_f32_e32 v45, v30, v45
	s_or_b64 s[24:25], vcc, s[24:25]
	v_mov_b32_e32 v30, v44
	v_fma_f32 v44, v36, v44, -v45
	s_andn2_b64 exec, exec, s[24:25]
	s_cbranch_execnz .LBB57_224
; %bb.225:
	s_or_b64 exec, exec, s[24:25]
.LBB57_226:
	s_or_b64 exec, exec, s[22:23]
.LBB57_227:
	s_andn2_saveexec_b64 s[20:21], s[20:21]
; %bb.228:
	v_mov_b32_e32 v44, v36
; %bb.229:
	s_or_b64 exec, exec, s[20:21]
.LBB57_230:
	s_or_b64 exec, exec, s[14:15]
.LBB57_231:
	s_or_b64 exec, exec, s[6:7]
	v_cvt_f32_f16_sdwa v30, v31 dst_sel:DWORD dst_unused:UNUSED_PAD src0_sel:WORD_1
	v_mov_b32_e32 v45, 0
	v_cvt_i32_f32_e32 v30, v30
	v_ashrrev_i32_e32 v31, 31, v30
	v_cmp_lt_i64_e32 vcc, -1, v[30:31]
	s_and_saveexec_b64 s[6:7], vcc
	s_cbranch_execz .LBB57_243
; %bb.232:
	v_cmp_lt_i64_e32 vcc, 0, v[30:31]
	v_mov_b32_e32 v45, 1.0
	s_and_saveexec_b64 s[14:15], vcc
	s_cbranch_execz .LBB57_242
; %bb.233:
	v_cmp_ne_u64_e32 vcc, 1, v[30:31]
	s_and_saveexec_b64 s[20:21], vcc
	s_xor_b64 s[20:21], exec, s[20:21]
	s_cbranch_execz .LBB57_239
; %bb.234:
	s_mov_b64 s[22:23], 0x81
	v_cmp_gt_u64_e32 vcc, s[22:23], v[30:31]
	v_mov_b32_e32 v45, 0x7fc00000
	s_and_saveexec_b64 s[22:23], vcc
	s_cbranch_execz .LBB57_238
; %bb.235:
	s_mov_b64 s[26:27], 1
	s_mov_b64 s[24:25], 0
	v_mov_b32_e32 v34, 1.0
	v_mov_b32_e32 v45, v37
.LBB57_236:                             ; =>This Inner Loop Header: Depth=1
	s_flbit_i32_b32 s28, s27
	s_min_u32 s30, s28, 32
	s_lshl_b64 s[28:29], s[26:27], s30
	s_min_u32 s28, s28, 1
	s_or_b32 s28, s29, s28
	v_cvt_f32_u32_e32 v36, s28
	s_sub_i32 s30, 32, s30
	s_add_u32 s26, s26, 1
	s_addc_u32 s27, s27, 0
	v_ldexp_f32 v36, v36, s30
	v_mov_b32_e32 v35, v45
	v_cmp_eq_u64_e32 vcc, s[26:27], v[30:31]
	v_mul_f32_e32 v36, v34, v36
	s_or_b64 s[24:25], vcc, s[24:25]
	v_mov_b32_e32 v34, v45
	v_fma_f32 v45, v37, v35, -v36
	s_andn2_b64 exec, exec, s[24:25]
	s_cbranch_execnz .LBB57_236
; %bb.237:
	s_or_b64 exec, exec, s[24:25]
.LBB57_238:
	s_or_b64 exec, exec, s[22:23]
                                        ; implicit-def: $vgpr37
.LBB57_239:
	s_andn2_saveexec_b64 s[20:21], s[20:21]
; %bb.240:
	v_mov_b32_e32 v45, v37
; %bb.241:
	s_or_b64 exec, exec, s[20:21]
.LBB57_242:
	s_or_b64 exec, exec, s[14:15]
.LBB57_243:
	s_or_b64 exec, exec, s[6:7]
	v_cvt_f32_f16_e32 v30, v32
	v_cvt_i32_f32_e32 v34, v30
	v_mov_b32_e32 v30, 0
	v_ashrrev_i32_e32 v35, 31, v34
	v_cmp_lt_i64_e32 vcc, -1, v[34:35]
	s_and_saveexec_b64 s[6:7], vcc
	s_cbranch_execz .LBB57_255
; %bb.244:
	v_cmp_lt_i64_e32 vcc, 0, v[34:35]
	v_mov_b32_e32 v30, 1.0
	s_and_saveexec_b64 s[14:15], vcc
	s_cbranch_execz .LBB57_254
; %bb.245:
	v_cmp_ne_u64_e32 vcc, 1, v[34:35]
                                        ; implicit-def: $vgpr30
	s_and_saveexec_b64 s[20:21], vcc
	s_xor_b64 s[20:21], exec, s[20:21]
	s_cbranch_execz .LBB57_251
; %bb.246:
	s_mov_b64 s[22:23], 0x81
	v_cmp_gt_u64_e32 vcc, s[22:23], v[34:35]
	v_mov_b32_e32 v30, 0x7fc00000
	s_and_saveexec_b64 s[22:23], vcc
	s_cbranch_execz .LBB57_250
; %bb.247:
	s_mov_b64 s[26:27], 1
	s_mov_b64 s[24:25], 0
	v_mov_b32_e32 v31, 1.0
	v_mov_b32_e32 v30, v22
.LBB57_248:                             ; =>This Inner Loop Header: Depth=1
	s_flbit_i32_b32 s28, s27
	s_min_u32 s30, s28, 32
	s_lshl_b64 s[28:29], s[26:27], s30
	s_min_u32 s28, s28, 1
	s_or_b32 s28, s29, s28
	v_cvt_f32_u32_e32 v36, s28
	s_sub_i32 s30, 32, s30
	s_add_u32 s26, s26, 1
	s_addc_u32 s27, s27, 0
	v_ldexp_f32 v36, v36, s30
	v_cmp_eq_u64_e32 vcc, s[26:27], v[34:35]
	v_mul_f32_e32 v36, v31, v36
	s_or_b64 s[24:25], vcc, s[24:25]
	v_mov_b32_e32 v31, v30
	v_fma_f32 v30, v22, v30, -v36
	s_andn2_b64 exec, exec, s[24:25]
	s_cbranch_execnz .LBB57_248
; %bb.249:
	s_or_b64 exec, exec, s[24:25]
.LBB57_250:
	s_or_b64 exec, exec, s[22:23]
.LBB57_251:
	s_andn2_saveexec_b64 s[20:21], s[20:21]
; %bb.252:
	v_mov_b32_e32 v30, v22
; %bb.253:
	s_or_b64 exec, exec, s[20:21]
.LBB57_254:
	s_or_b64 exec, exec, s[14:15]
.LBB57_255:
	s_or_b64 exec, exec, s[6:7]
	v_cvt_f32_f16_sdwa v22, v32 dst_sel:DWORD dst_unused:UNUSED_PAD src0_sel:WORD_1
	v_mov_b32_e32 v31, 0
	v_cvt_i32_f32_e32 v34, v22
	v_ashrrev_i32_e32 v35, 31, v34
	v_cmp_lt_i64_e32 vcc, -1, v[34:35]
	s_and_saveexec_b64 s[6:7], vcc
	s_cbranch_execz .LBB57_267
; %bb.256:
	v_cmp_lt_i64_e32 vcc, 0, v[34:35]
	v_mov_b32_e32 v31, 1.0
	s_and_saveexec_b64 s[14:15], vcc
	s_cbranch_execz .LBB57_266
; %bb.257:
	v_cmp_ne_u64_e32 vcc, 1, v[34:35]
	s_and_saveexec_b64 s[20:21], vcc
	s_xor_b64 s[20:21], exec, s[20:21]
	s_cbranch_execz .LBB57_263
; %bb.258:
	s_mov_b64 s[22:23], 0x81
	v_cmp_gt_u64_e32 vcc, s[22:23], v[34:35]
	v_mov_b32_e32 v31, 0x7fc00000
	s_and_saveexec_b64 s[22:23], vcc
	s_cbranch_execz .LBB57_262
; %bb.259:
	s_mov_b64 s[26:27], 1
	s_mov_b64 s[24:25], 0
	v_mov_b32_e32 v22, 1.0
	v_mov_b32_e32 v31, v23
.LBB57_260:                             ; =>This Inner Loop Header: Depth=1
	s_flbit_i32_b32 s28, s27
	s_min_u32 s30, s28, 32
	s_lshl_b64 s[28:29], s[26:27], s30
	s_min_u32 s28, s28, 1
	s_or_b32 s28, s29, s28
	v_cvt_f32_u32_e32 v32, s28
	s_sub_i32 s30, 32, s30
	s_add_u32 s26, s26, 1
	s_addc_u32 s27, s27, 0
	v_ldexp_f32 v32, v32, s30
	v_cmp_eq_u64_e32 vcc, s[26:27], v[34:35]
	v_mul_f32_e32 v32, v22, v32
	s_or_b64 s[24:25], vcc, s[24:25]
	v_mov_b32_e32 v22, v31
	v_fma_f32 v31, v23, v31, -v32
	s_andn2_b64 exec, exec, s[24:25]
	s_cbranch_execnz .LBB57_260
; %bb.261:
	s_or_b64 exec, exec, s[24:25]
.LBB57_262:
	s_or_b64 exec, exec, s[22:23]
.LBB57_263:
	s_andn2_saveexec_b64 s[20:21], s[20:21]
; %bb.264:
	v_mov_b32_e32 v31, v23
; %bb.265:
	s_or_b64 exec, exec, s[20:21]
.LBB57_266:
	s_or_b64 exec, exec, s[14:15]
.LBB57_267:
	s_or_b64 exec, exec, s[6:7]
	v_cvt_f32_f16_e32 v22, v33
	v_mov_b32_e32 v32, 0
	v_cvt_i32_f32_e32 v22, v22
	v_ashrrev_i32_e32 v23, 31, v22
	v_cmp_lt_i64_e32 vcc, -1, v[22:23]
	s_and_saveexec_b64 s[6:7], vcc
	s_cbranch_execz .LBB57_279
; %bb.268:
	v_cmp_lt_i64_e32 vcc, 0, v[22:23]
	v_mov_b32_e32 v32, 1.0
	s_and_saveexec_b64 s[14:15], vcc
	s_cbranch_execz .LBB57_278
; %bb.269:
	v_cmp_ne_u64_e32 vcc, 1, v[22:23]
	s_and_saveexec_b64 s[20:21], vcc
	s_xor_b64 s[20:21], exec, s[20:21]
	s_cbranch_execz .LBB57_275
; %bb.270:
	s_mov_b64 s[22:23], 0x81
	v_cmp_gt_u64_e32 vcc, s[22:23], v[22:23]
	v_mov_b32_e32 v32, 0x7fc00000
	s_and_saveexec_b64 s[22:23], vcc
	s_cbranch_execz .LBB57_274
; %bb.271:
	s_mov_b64 s[26:27], 1
	s_mov_b64 s[24:25], 0
	v_mov_b32_e32 v34, 1.0
	v_mov_b32_e32 v32, v24
.LBB57_272:                             ; =>This Inner Loop Header: Depth=1
	s_flbit_i32_b32 s28, s27
	s_min_u32 s30, s28, 32
	s_lshl_b64 s[28:29], s[26:27], s30
	s_min_u32 s28, s28, 1
	s_or_b32 s28, s29, s28
	v_cvt_f32_u32_e32 v35, s28
	s_sub_i32 s30, 32, s30
	s_add_u32 s26, s26, 1
	s_addc_u32 s27, s27, 0
	v_ldexp_f32 v35, v35, s30
	v_cmp_eq_u64_e32 vcc, s[26:27], v[22:23]
	v_mul_f32_e32 v35, v34, v35
	s_or_b64 s[24:25], vcc, s[24:25]
	v_mov_b32_e32 v34, v32
	v_fma_f32 v32, v24, v32, -v35
	s_andn2_b64 exec, exec, s[24:25]
	s_cbranch_execnz .LBB57_272
; %bb.273:
	s_or_b64 exec, exec, s[24:25]
.LBB57_274:
	s_or_b64 exec, exec, s[22:23]
.LBB57_275:
	s_andn2_saveexec_b64 s[20:21], s[20:21]
; %bb.276:
	v_mov_b32_e32 v32, v24
; %bb.277:
	s_or_b64 exec, exec, s[20:21]
.LBB57_278:
	s_or_b64 exec, exec, s[14:15]
.LBB57_279:
	s_or_b64 exec, exec, s[6:7]
	v_cvt_f32_f16_sdwa v22, v33 dst_sel:DWORD dst_unused:UNUSED_PAD src0_sel:WORD_1
	v_mov_b32_e32 v33, 0
	v_cvt_i32_f32_e32 v22, v22
	v_ashrrev_i32_e32 v23, 31, v22
	v_cmp_lt_i64_e32 vcc, -1, v[22:23]
	s_and_saveexec_b64 s[6:7], vcc
	s_cbranch_execz .LBB57_291
; %bb.280:
	v_cmp_lt_i64_e32 vcc, 0, v[22:23]
	v_mov_b32_e32 v33, 1.0
	s_and_saveexec_b64 s[14:15], vcc
	s_cbranch_execz .LBB57_290
; %bb.281:
	v_cmp_ne_u64_e32 vcc, 1, v[22:23]
	s_and_saveexec_b64 s[20:21], vcc
	s_xor_b64 s[20:21], exec, s[20:21]
	s_cbranch_execz .LBB57_287
; %bb.282:
	s_mov_b64 s[22:23], 0x81
	v_cmp_gt_u64_e32 vcc, s[22:23], v[22:23]
	v_mov_b32_e32 v33, 0x7fc00000
	s_and_saveexec_b64 s[22:23], vcc
	s_cbranch_execz .LBB57_286
; %bb.283:
	s_mov_b64 s[26:27], 1
	s_mov_b64 s[24:25], 0
	v_mov_b32_e32 v24, 1.0
	v_mov_b32_e32 v33, v25
.LBB57_284:                             ; =>This Inner Loop Header: Depth=1
	s_flbit_i32_b32 s28, s27
	s_min_u32 s30, s28, 32
	s_lshl_b64 s[28:29], s[26:27], s30
	s_min_u32 s28, s28, 1
	s_or_b32 s28, s29, s28
	v_cvt_f32_u32_e32 v34, s28
	s_sub_i32 s30, 32, s30
	s_add_u32 s26, s26, 1
	s_addc_u32 s27, s27, 0
	v_ldexp_f32 v34, v34, s30
	v_cmp_eq_u64_e32 vcc, s[26:27], v[22:23]
	v_mul_f32_e32 v34, v24, v34
	s_or_b64 s[24:25], vcc, s[24:25]
	v_mov_b32_e32 v24, v33
	v_fma_f32 v33, v25, v33, -v34
	s_andn2_b64 exec, exec, s[24:25]
	s_cbranch_execnz .LBB57_284
; %bb.285:
	s_or_b64 exec, exec, s[24:25]
.LBB57_286:
	s_or_b64 exec, exec, s[22:23]
                                        ; implicit-def: $vgpr25
.LBB57_287:
	s_andn2_saveexec_b64 s[20:21], s[20:21]
; %bb.288:
	v_mov_b32_e32 v33, v25
; %bb.289:
	s_or_b64 exec, exec, s[20:21]
.LBB57_290:
	s_or_b64 exec, exec, s[14:15]
.LBB57_291:
	s_or_b64 exec, exec, s[6:7]
	s_waitcnt vmcnt(0)
	v_cvt_f32_f16_e32 v22, v10
	v_cvt_i32_f32_e32 v24, v22
	v_mov_b32_e32 v22, 0
	v_ashrrev_i32_e32 v25, 31, v24
	v_cmp_lt_i64_e32 vcc, -1, v[24:25]
	s_and_saveexec_b64 s[6:7], vcc
	s_cbranch_execz .LBB57_303
; %bb.292:
	v_cmp_lt_i64_e32 vcc, 0, v[24:25]
	v_mov_b32_e32 v22, 1.0
	s_and_saveexec_b64 s[14:15], vcc
	s_cbranch_execz .LBB57_302
; %bb.293:
	v_cmp_ne_u64_e32 vcc, 1, v[24:25]
                                        ; implicit-def: $vgpr22
	s_and_saveexec_b64 s[20:21], vcc
	s_xor_b64 s[20:21], exec, s[20:21]
	s_cbranch_execz .LBB57_299
; %bb.294:
	s_mov_b64 s[22:23], 0x81
	v_cmp_gt_u64_e32 vcc, s[22:23], v[24:25]
	v_mov_b32_e32 v22, 0x7fc00000
	s_and_saveexec_b64 s[22:23], vcc
	s_cbranch_execz .LBB57_298
; %bb.295:
	s_mov_b64 s[26:27], 1
	s_mov_b64 s[24:25], 0
	v_mov_b32_e32 v23, 1.0
	v_mov_b32_e32 v22, v14
.LBB57_296:                             ; =>This Inner Loop Header: Depth=1
	s_flbit_i32_b32 s28, s27
	s_min_u32 s30, s28, 32
	s_lshl_b64 s[28:29], s[26:27], s30
	s_min_u32 s28, s28, 1
	s_or_b32 s28, s29, s28
	v_cvt_f32_u32_e32 v34, s28
	s_sub_i32 s30, 32, s30
	s_add_u32 s26, s26, 1
	s_addc_u32 s27, s27, 0
	v_ldexp_f32 v34, v34, s30
	v_cmp_eq_u64_e32 vcc, s[26:27], v[24:25]
	v_mul_f32_e32 v34, v23, v34
	s_or_b64 s[24:25], vcc, s[24:25]
	v_mov_b32_e32 v23, v22
	v_fma_f32 v22, v14, v22, -v34
	s_andn2_b64 exec, exec, s[24:25]
	s_cbranch_execnz .LBB57_296
; %bb.297:
	s_or_b64 exec, exec, s[24:25]
.LBB57_298:
	s_or_b64 exec, exec, s[22:23]
.LBB57_299:
	s_andn2_saveexec_b64 s[20:21], s[20:21]
; %bb.300:
	v_mov_b32_e32 v22, v14
; %bb.301:
	s_or_b64 exec, exec, s[20:21]
.LBB57_302:
	s_or_b64 exec, exec, s[14:15]
.LBB57_303:
	s_or_b64 exec, exec, s[6:7]
	v_cvt_f32_f16_sdwa v10, v10 dst_sel:DWORD dst_unused:UNUSED_PAD src0_sel:WORD_1
	v_mov_b32_e32 v23, 0
	v_cvt_i32_f32_e32 v24, v10
	v_ashrrev_i32_e32 v25, 31, v24
	v_cmp_lt_i64_e32 vcc, -1, v[24:25]
	s_and_saveexec_b64 s[6:7], vcc
	s_cbranch_execz .LBB57_315
; %bb.304:
	v_cmp_lt_i64_e32 vcc, 0, v[24:25]
	v_mov_b32_e32 v23, 1.0
	s_and_saveexec_b64 s[14:15], vcc
	s_cbranch_execz .LBB57_314
; %bb.305:
	v_cmp_ne_u64_e32 vcc, 1, v[24:25]
	s_and_saveexec_b64 s[20:21], vcc
	s_xor_b64 s[20:21], exec, s[20:21]
	s_cbranch_execz .LBB57_311
; %bb.306:
	s_mov_b64 s[22:23], 0x81
	v_cmp_gt_u64_e32 vcc, s[22:23], v[24:25]
	v_mov_b32_e32 v23, 0x7fc00000
	s_and_saveexec_b64 s[22:23], vcc
	s_cbranch_execz .LBB57_310
; %bb.307:
	s_mov_b64 s[26:27], 1
	s_mov_b64 s[24:25], 0
	v_mov_b32_e32 v10, 1.0
	v_mov_b32_e32 v23, v15
.LBB57_308:                             ; =>This Inner Loop Header: Depth=1
	s_flbit_i32_b32 s28, s27
	s_min_u32 s30, s28, 32
	s_lshl_b64 s[28:29], s[26:27], s30
	s_min_u32 s28, s28, 1
	s_or_b32 s28, s29, s28
	v_mov_b32_e32 v14, v23
	v_cvt_f32_u32_e32 v23, s28
	s_sub_i32 s30, 32, s30
	s_add_u32 s26, s26, 1
	s_addc_u32 s27, s27, 0
	v_ldexp_f32 v23, v23, s30
	v_cmp_eq_u64_e32 vcc, s[26:27], v[24:25]
	v_mul_f32_e32 v23, v10, v23
	s_or_b64 s[24:25], vcc, s[24:25]
	v_mov_b32_e32 v10, v14
	v_fma_f32 v23, v15, v14, -v23
	s_andn2_b64 exec, exec, s[24:25]
	s_cbranch_execnz .LBB57_308
; %bb.309:
	s_or_b64 exec, exec, s[24:25]
.LBB57_310:
	s_or_b64 exec, exec, s[22:23]
.LBB57_311:
	s_andn2_saveexec_b64 s[20:21], s[20:21]
; %bb.312:
	v_mov_b32_e32 v23, v15
; %bb.313:
	s_or_b64 exec, exec, s[20:21]
.LBB57_314:
	s_or_b64 exec, exec, s[14:15]
.LBB57_315:
	s_or_b64 exec, exec, s[6:7]
	v_cvt_f32_f16_e32 v10, v11
	v_mov_b32_e32 v24, 0
	v_cvt_i32_f32_e32 v14, v10
	v_ashrrev_i32_e32 v15, 31, v14
	v_cmp_lt_i64_e32 vcc, -1, v[14:15]
	s_and_saveexec_b64 s[6:7], vcc
	s_cbranch_execz .LBB57_327
; %bb.316:
	v_cmp_lt_i64_e32 vcc, 0, v[14:15]
	v_mov_b32_e32 v24, 1.0
	s_and_saveexec_b64 s[14:15], vcc
	s_cbranch_execz .LBB57_326
; %bb.317:
	v_cmp_ne_u64_e32 vcc, 1, v[14:15]
	s_and_saveexec_b64 s[20:21], vcc
	s_xor_b64 s[20:21], exec, s[20:21]
	s_cbranch_execz .LBB57_323
; %bb.318:
	s_mov_b64 s[22:23], 0x81
	v_cmp_gt_u64_e32 vcc, s[22:23], v[14:15]
	v_mov_b32_e32 v24, 0x7fc00000
	s_and_saveexec_b64 s[22:23], vcc
	s_cbranch_execz .LBB57_322
; %bb.319:
	s_mov_b64 s[26:27], 1
	s_mov_b64 s[24:25], 0
	v_mov_b32_e32 v10, 1.0
	v_mov_b32_e32 v24, v16
.LBB57_320:                             ; =>This Inner Loop Header: Depth=1
	s_flbit_i32_b32 s28, s27
	s_min_u32 s30, s28, 32
	s_lshl_b64 s[28:29], s[26:27], s30
	s_min_u32 s28, s28, 1
	s_or_b32 s28, s29, s28
	v_cvt_f32_u32_e32 v25, s28
	s_sub_i32 s30, 32, s30
	s_add_u32 s26, s26, 1
	s_addc_u32 s27, s27, 0
	v_ldexp_f32 v25, v25, s30
	v_cmp_eq_u64_e32 vcc, s[26:27], v[14:15]
	v_mul_f32_e32 v25, v10, v25
	s_or_b64 s[24:25], vcc, s[24:25]
	v_mov_b32_e32 v10, v24
	v_fma_f32 v24, v16, v24, -v25
	s_andn2_b64 exec, exec, s[24:25]
	s_cbranch_execnz .LBB57_320
; %bb.321:
	s_or_b64 exec, exec, s[24:25]
.LBB57_322:
	s_or_b64 exec, exec, s[22:23]
.LBB57_323:
	s_andn2_saveexec_b64 s[20:21], s[20:21]
; %bb.324:
	v_mov_b32_e32 v24, v16
; %bb.325:
	s_or_b64 exec, exec, s[20:21]
.LBB57_326:
	s_or_b64 exec, exec, s[14:15]
.LBB57_327:
	s_or_b64 exec, exec, s[6:7]
	v_cvt_f32_f16_sdwa v10, v11 dst_sel:DWORD dst_unused:UNUSED_PAD src0_sel:WORD_1
	v_mov_b32_e32 v25, 0
	v_cvt_i32_f32_e32 v10, v10
	v_ashrrev_i32_e32 v11, 31, v10
	v_cmp_lt_i64_e32 vcc, -1, v[10:11]
	s_and_saveexec_b64 s[6:7], vcc
	s_cbranch_execz .LBB57_339
; %bb.328:
	v_cmp_lt_i64_e32 vcc, 0, v[10:11]
	v_mov_b32_e32 v25, 1.0
	s_and_saveexec_b64 s[14:15], vcc
	s_cbranch_execz .LBB57_338
; %bb.329:
	v_cmp_ne_u64_e32 vcc, 1, v[10:11]
	s_and_saveexec_b64 s[20:21], vcc
	s_xor_b64 s[20:21], exec, s[20:21]
	s_cbranch_execz .LBB57_335
; %bb.330:
	s_mov_b64 s[22:23], 0x81
	v_cmp_gt_u64_e32 vcc, s[22:23], v[10:11]
	v_mov_b32_e32 v25, 0x7fc00000
	s_and_saveexec_b64 s[22:23], vcc
	s_cbranch_execz .LBB57_334
; %bb.331:
	s_mov_b64 s[26:27], 1
	s_mov_b64 s[24:25], 0
	v_mov_b32_e32 v14, 1.0
	v_mov_b32_e32 v25, v17
.LBB57_332:                             ; =>This Inner Loop Header: Depth=1
	s_flbit_i32_b32 s28, s27
	s_min_u32 s30, s28, 32
	s_lshl_b64 s[28:29], s[26:27], s30
	s_min_u32 s28, s28, 1
	s_or_b32 s28, s29, s28
	v_cvt_f32_u32_e32 v16, s28
	s_sub_i32 s30, 32, s30
	s_add_u32 s26, s26, 1
	s_addc_u32 s27, s27, 0
	v_ldexp_f32 v16, v16, s30
	v_mov_b32_e32 v15, v25
	v_cmp_eq_u64_e32 vcc, s[26:27], v[10:11]
	v_mul_f32_e32 v16, v14, v16
	s_or_b64 s[24:25], vcc, s[24:25]
	v_mov_b32_e32 v14, v25
	v_fma_f32 v25, v17, v15, -v16
	s_andn2_b64 exec, exec, s[24:25]
	s_cbranch_execnz .LBB57_332
; %bb.333:
	s_or_b64 exec, exec, s[24:25]
.LBB57_334:
	s_or_b64 exec, exec, s[22:23]
                                        ; implicit-def: $vgpr17
.LBB57_335:
	s_andn2_saveexec_b64 s[20:21], s[20:21]
; %bb.336:
	v_mov_b32_e32 v25, v17
; %bb.337:
	s_or_b64 exec, exec, s[20:21]
.LBB57_338:
	s_or_b64 exec, exec, s[14:15]
.LBB57_339:
	s_or_b64 exec, exec, s[6:7]
	v_cvt_f32_f16_e32 v10, v12
	v_cvt_i32_f32_e32 v14, v10
	v_mov_b32_e32 v10, 0
	v_ashrrev_i32_e32 v15, 31, v14
	v_cmp_lt_i64_e32 vcc, -1, v[14:15]
	s_and_saveexec_b64 s[6:7], vcc
	s_cbranch_execz .LBB57_351
; %bb.340:
	v_cmp_lt_i64_e32 vcc, 0, v[14:15]
	v_mov_b32_e32 v10, 1.0
	s_and_saveexec_b64 s[14:15], vcc
	s_cbranch_execz .LBB57_350
; %bb.341:
	v_cmp_ne_u64_e32 vcc, 1, v[14:15]
                                        ; implicit-def: $vgpr10
	s_and_saveexec_b64 s[20:21], vcc
	s_xor_b64 s[20:21], exec, s[20:21]
	s_cbranch_execz .LBB57_347
; %bb.342:
	s_mov_b64 s[22:23], 0x81
	v_cmp_gt_u64_e32 vcc, s[22:23], v[14:15]
	v_mov_b32_e32 v10, 0x7fc00000
	s_and_saveexec_b64 s[22:23], vcc
	s_cbranch_execz .LBB57_346
; %bb.343:
	s_mov_b64 s[26:27], 1
	s_mov_b64 s[24:25], 0
	v_mov_b32_e32 v11, 1.0
	v_mov_b32_e32 v10, v2
.LBB57_344:                             ; =>This Inner Loop Header: Depth=1
	s_flbit_i32_b32 s28, s27
	s_min_u32 s30, s28, 32
	s_lshl_b64 s[28:29], s[26:27], s30
	s_min_u32 s28, s28, 1
	s_or_b32 s28, s29, s28
	v_cvt_f32_u32_e32 v16, s28
	s_sub_i32 s30, 32, s30
	s_add_u32 s26, s26, 1
	s_addc_u32 s27, s27, 0
	v_ldexp_f32 v16, v16, s30
	v_cmp_eq_u64_e32 vcc, s[26:27], v[14:15]
	v_mul_f32_e32 v16, v11, v16
	s_or_b64 s[24:25], vcc, s[24:25]
	v_mov_b32_e32 v11, v10
	v_fma_f32 v10, v2, v10, -v16
	s_andn2_b64 exec, exec, s[24:25]
	s_cbranch_execnz .LBB57_344
; %bb.345:
	s_or_b64 exec, exec, s[24:25]
.LBB57_346:
	s_or_b64 exec, exec, s[22:23]
.LBB57_347:
	s_andn2_saveexec_b64 s[20:21], s[20:21]
; %bb.348:
	v_mov_b32_e32 v10, v2
; %bb.349:
	s_or_b64 exec, exec, s[20:21]
.LBB57_350:
	s_or_b64 exec, exec, s[14:15]
.LBB57_351:
	s_or_b64 exec, exec, s[6:7]
	v_cvt_f32_f16_sdwa v2, v12 dst_sel:DWORD dst_unused:UNUSED_PAD src0_sel:WORD_1
	v_mov_b32_e32 v11, 0
	v_cvt_i32_f32_e32 v14, v2
	v_ashrrev_i32_e32 v15, 31, v14
	v_cmp_lt_i64_e32 vcc, -1, v[14:15]
	s_and_saveexec_b64 s[6:7], vcc
	s_cbranch_execz .LBB57_363
; %bb.352:
	v_cmp_lt_i64_e32 vcc, 0, v[14:15]
	v_mov_b32_e32 v11, 1.0
	s_and_saveexec_b64 s[14:15], vcc
	s_cbranch_execz .LBB57_362
; %bb.353:
	v_cmp_ne_u64_e32 vcc, 1, v[14:15]
	s_and_saveexec_b64 s[20:21], vcc
	s_xor_b64 s[20:21], exec, s[20:21]
	s_cbranch_execz .LBB57_359
; %bb.354:
	s_mov_b64 s[22:23], 0x81
	v_cmp_gt_u64_e32 vcc, s[22:23], v[14:15]
	v_mov_b32_e32 v11, 0x7fc00000
	s_and_saveexec_b64 s[22:23], vcc
	s_cbranch_execz .LBB57_358
; %bb.355:
	s_mov_b64 s[26:27], 1
	s_mov_b64 s[24:25], 0
	v_mov_b32_e32 v2, 1.0
	v_mov_b32_e32 v11, v3
.LBB57_356:                             ; =>This Inner Loop Header: Depth=1
	s_flbit_i32_b32 s28, s27
	s_min_u32 s30, s28, 32
	s_lshl_b64 s[28:29], s[26:27], s30
	s_min_u32 s28, s28, 1
	s_or_b32 s28, s29, s28
	v_cvt_f32_u32_e32 v12, s28
	s_sub_i32 s30, 32, s30
	s_add_u32 s26, s26, 1
	s_addc_u32 s27, s27, 0
	v_ldexp_f32 v12, v12, s30
	v_cmp_eq_u64_e32 vcc, s[26:27], v[14:15]
	v_mul_f32_e32 v12, v2, v12
	s_or_b64 s[24:25], vcc, s[24:25]
	v_mov_b32_e32 v2, v11
	v_fma_f32 v11, v3, v11, -v12
	s_andn2_b64 exec, exec, s[24:25]
	s_cbranch_execnz .LBB57_356
; %bb.357:
	s_or_b64 exec, exec, s[24:25]
.LBB57_358:
	s_or_b64 exec, exec, s[22:23]
.LBB57_359:
	s_andn2_saveexec_b64 s[20:21], s[20:21]
; %bb.360:
	v_mov_b32_e32 v11, v3
; %bb.361:
	s_or_b64 exec, exec, s[20:21]
.LBB57_362:
	s_or_b64 exec, exec, s[14:15]
.LBB57_363:
	s_or_b64 exec, exec, s[6:7]
	v_cvt_f32_f16_e32 v2, v13
	v_mov_b32_e32 v12, 0
	v_cvt_i32_f32_e32 v2, v2
	v_ashrrev_i32_e32 v3, 31, v2
	v_cmp_lt_i64_e32 vcc, -1, v[2:3]
	s_and_saveexec_b64 s[6:7], vcc
	s_cbranch_execz .LBB57_375
; %bb.364:
	v_cmp_lt_i64_e32 vcc, 0, v[2:3]
	v_mov_b32_e32 v12, 1.0
	s_and_saveexec_b64 s[14:15], vcc
	s_cbranch_execz .LBB57_374
; %bb.365:
	v_cmp_ne_u64_e32 vcc, 1, v[2:3]
	s_and_saveexec_b64 s[20:21], vcc
	s_xor_b64 s[20:21], exec, s[20:21]
	s_cbranch_execz .LBB57_371
; %bb.366:
	s_mov_b64 s[22:23], 0x81
	v_cmp_gt_u64_e32 vcc, s[22:23], v[2:3]
	v_mov_b32_e32 v12, 0x7fc00000
	s_and_saveexec_b64 s[22:23], vcc
	s_cbranch_execz .LBB57_370
; %bb.367:
	s_mov_b64 s[26:27], 1
	s_mov_b64 s[24:25], 0
	v_mov_b32_e32 v14, 1.0
	v_mov_b32_e32 v12, v4
.LBB57_368:                             ; =>This Inner Loop Header: Depth=1
	s_flbit_i32_b32 s28, s27
	s_min_u32 s30, s28, 32
	s_lshl_b64 s[28:29], s[26:27], s30
	s_min_u32 s28, s28, 1
	s_or_b32 s28, s29, s28
	v_cvt_f32_u32_e32 v15, s28
	s_sub_i32 s30, 32, s30
	s_add_u32 s26, s26, 1
	s_addc_u32 s27, s27, 0
	v_ldexp_f32 v15, v15, s30
	v_cmp_eq_u64_e32 vcc, s[26:27], v[2:3]
	v_mul_f32_e32 v15, v14, v15
	s_or_b64 s[24:25], vcc, s[24:25]
	v_mov_b32_e32 v14, v12
	v_fma_f32 v12, v4, v12, -v15
	s_andn2_b64 exec, exec, s[24:25]
	s_cbranch_execnz .LBB57_368
; %bb.369:
	s_or_b64 exec, exec, s[24:25]
.LBB57_370:
	s_or_b64 exec, exec, s[22:23]
.LBB57_371:
	s_andn2_saveexec_b64 s[20:21], s[20:21]
; %bb.372:
	v_mov_b32_e32 v12, v4
; %bb.373:
	s_or_b64 exec, exec, s[20:21]
.LBB57_374:
	s_or_b64 exec, exec, s[14:15]
.LBB57_375:
	s_or_b64 exec, exec, s[6:7]
	v_cvt_f32_f16_sdwa v2, v13 dst_sel:DWORD dst_unused:UNUSED_PAD src0_sel:WORD_1
	v_mov_b32_e32 v13, 0
	v_cvt_i32_f32_e32 v2, v2
	v_ashrrev_i32_e32 v3, 31, v2
	v_cmp_lt_i64_e32 vcc, -1, v[2:3]
	s_and_saveexec_b64 s[6:7], vcc
	s_cbranch_execz .LBB57_387
; %bb.376:
	v_cmp_lt_i64_e32 vcc, 0, v[2:3]
	v_mov_b32_e32 v13, 1.0
	s_and_saveexec_b64 s[14:15], vcc
	s_cbranch_execz .LBB57_386
; %bb.377:
	v_cmp_ne_u64_e32 vcc, 1, v[2:3]
	s_and_saveexec_b64 s[20:21], vcc
	s_xor_b64 s[20:21], exec, s[20:21]
	s_cbranch_execz .LBB57_383
; %bb.378:
	s_mov_b64 s[22:23], 0x81
	v_cmp_gt_u64_e32 vcc, s[22:23], v[2:3]
	v_mov_b32_e32 v13, 0x7fc00000
	s_and_saveexec_b64 s[22:23], vcc
	s_cbranch_execz .LBB57_382
; %bb.379:
	s_mov_b64 s[26:27], 1
	s_mov_b64 s[24:25], 0
	v_mov_b32_e32 v4, 1.0
	v_mov_b32_e32 v13, v5
.LBB57_380:                             ; =>This Inner Loop Header: Depth=1
	s_flbit_i32_b32 s28, s27
	s_min_u32 s30, s28, 32
	s_lshl_b64 s[28:29], s[26:27], s30
	s_min_u32 s28, s28, 1
	s_or_b32 s28, s29, s28
	v_cvt_f32_u32_e32 v14, s28
	s_sub_i32 s30, 32, s30
	s_add_u32 s26, s26, 1
	s_addc_u32 s27, s27, 0
	v_ldexp_f32 v14, v14, s30
	v_cmp_eq_u64_e32 vcc, s[26:27], v[2:3]
	v_mul_f32_e32 v14, v4, v14
	s_or_b64 s[24:25], vcc, s[24:25]
	v_mov_b32_e32 v4, v13
	v_fma_f32 v13, v5, v13, -v14
	s_andn2_b64 exec, exec, s[24:25]
	s_cbranch_execnz .LBB57_380
; %bb.381:
	s_or_b64 exec, exec, s[24:25]
.LBB57_382:
	s_or_b64 exec, exec, s[22:23]
                                        ; implicit-def: $vgpr5
.LBB57_383:
	s_andn2_saveexec_b64 s[20:21], s[20:21]
; %bb.384:
	v_mov_b32_e32 v13, v5
; %bb.385:
	s_or_b64 exec, exec, s[20:21]
.LBB57_386:
	s_or_b64 exec, exec, s[14:15]
.LBB57_387:
	s_or_b64 exec, exec, s[6:7]
	s_add_u32 s6, s16, s8
	s_addc_u32 s7, s17, s9
	v_mov_b32_e32 v2, s7
	v_add_co_u32_e32 v4, vcc, s6, v56
	v_addc_co_u32_e32 v5, vcc, 0, v2, vcc
	v_add_co_u32_e32 v2, vcc, 0x4000, v4
	v_addc_co_u32_e32 v3, vcc, 0, v5, vcc
	global_store_dwordx4 v56, v[6:9], s[6:7]
	global_store_dwordx4 v56, v[18:21], s[6:7] offset:16
	global_store_dwordx4 v[2:3], v[26:29], off
	global_store_dwordx4 v[2:3], v[38:41], off offset:16
	global_store_dwordx4 v1, v[42:45], s[6:7]
	global_store_dwordx4 v1, v[30:33], s[6:7] offset:16
	v_add_co_u32_e32 v2, vcc, 0xc000, v4
	v_addc_co_u32_e32 v3, vcc, 0, v5, vcc
	global_store_dwordx4 v[2:3], v[22:25], off
	global_store_dwordx4 v[2:3], v[10:13], off offset:16
	s_branch .LBB57_2
.LBB57_388:
	s_load_dword s6, s[4:5], 0x24
	s_load_dwordx4 s[20:23], s[4:5], 0x28
	s_add_u32 s8, s4, 56
	s_addc_u32 s9, s5, 0
	v_mov_b32_e32 v31, v0
	s_waitcnt lgkmcnt(0)
	v_lshrrev_b16_e64 v8, 8, s6
	v_mov_b32_e32 v0, s16
	v_mov_b32_e32 v1, s17
	v_mov_b32_e32 v2, s18
	v_mov_b32_e32 v3, s19
	v_mov_b32_e32 v4, s10
	v_mov_b32_e32 v5, s11
	v_mov_b32_e32 v6, s13
	v_mov_b32_e32 v7, s6
	v_mov_b32_e32 v9, s20
	v_mov_b32_e32 v10, s21
	v_mov_b32_e32 v11, s22
	v_mov_b32_e32 v12, s23
	s_getpc_b64 s[4:5]
	s_add_u32 s4, s4, _ZN2at6native25elementwise_kernel_helperILb1ENS0_13BinaryFunctorIfffZZZNS0_12_GLOBAL__N_133hermite_polynomial_he_kernel_cudaERNS_18TensorIteratorBaseEENKUlvE_clEvENKUlvE0_clEvEUlffE_EENS0_6memory8policies11unroll_baseILi512ESt5arrayIPcLm3EE23TrivialOffsetCalculatorILi2EjESG_ILi1EjENSA_12LoadWithCastILi2EEENSA_13StoreWithCastILi1EEELi32ELi1EEEEEvT0_T1_@rel32@lo+4
	s_addc_u32 s5, s5, _ZN2at6native25elementwise_kernel_helperILb1ENS0_13BinaryFunctorIfffZZZNS0_12_GLOBAL__N_133hermite_polynomial_he_kernel_cudaERNS_18TensorIteratorBaseEENKUlvE_clEvENKUlvE0_clEvEUlffE_EENS0_6memory8policies11unroll_baseILi512ESt5arrayIPcLm3EE23TrivialOffsetCalculatorILi2EjESG_ILi1EjENSA_12LoadWithCastILi2EEENSA_13StoreWithCastILi1EEELi32ELi1EEEEEvT0_T1_@rel32@hi+12
	s_swappc_b64 s[30:31], s[4:5]
	s_endpgm
	.section	.rodata,"a",@progbits
	.p2align	6, 0x0
	.amdhsa_kernel _ZN2at6native39vectorized_templated_elementwise_kernelILi8ENS0_13BinaryFunctorIfffZZZNS0_12_GLOBAL__N_133hermite_polynomial_he_kernel_cudaERNS_18TensorIteratorBaseEENKUlvE_clEvENKUlvE0_clEvEUlffE_EESt5arrayIPcLm3EE23TrivialOffsetCalculatorILi2EjESD_ILi1EjENS0_6memory12LoadWithCastILi2EEENSG_13StoreWithCastILi1EEEfJfN3c104HalfEEEEviT0_T1_T2_T3_T4_T5_
		.amdhsa_group_segment_fixed_size 0
		.amdhsa_private_segment_fixed_size 288
		.amdhsa_kernarg_size 312
		.amdhsa_user_sgpr_count 8
		.amdhsa_user_sgpr_private_segment_buffer 1
		.amdhsa_user_sgpr_dispatch_ptr 0
		.amdhsa_user_sgpr_queue_ptr 0
		.amdhsa_user_sgpr_kernarg_segment_ptr 1
		.amdhsa_user_sgpr_dispatch_id 0
		.amdhsa_user_sgpr_flat_scratch_init 1
		.amdhsa_user_sgpr_kernarg_preload_length 0
		.amdhsa_user_sgpr_kernarg_preload_offset 0
		.amdhsa_user_sgpr_private_segment_size 0
		.amdhsa_uses_dynamic_stack 0
		.amdhsa_system_sgpr_private_segment_wavefront_offset 1
		.amdhsa_system_sgpr_workgroup_id_x 1
		.amdhsa_system_sgpr_workgroup_id_y 0
		.amdhsa_system_sgpr_workgroup_id_z 0
		.amdhsa_system_sgpr_workgroup_info 0
		.amdhsa_system_vgpr_workitem_id 0
		.amdhsa_next_free_vgpr 120
		.amdhsa_next_free_sgpr 98
		.amdhsa_accum_offset 120
		.amdhsa_reserve_vcc 1
		.amdhsa_reserve_flat_scratch 1
		.amdhsa_float_round_mode_32 0
		.amdhsa_float_round_mode_16_64 0
		.amdhsa_float_denorm_mode_32 3
		.amdhsa_float_denorm_mode_16_64 3
		.amdhsa_dx10_clamp 1
		.amdhsa_ieee_mode 1
		.amdhsa_fp16_overflow 0
		.amdhsa_tg_split 0
		.amdhsa_exception_fp_ieee_invalid_op 0
		.amdhsa_exception_fp_denorm_src 0
		.amdhsa_exception_fp_ieee_div_zero 0
		.amdhsa_exception_fp_ieee_overflow 0
		.amdhsa_exception_fp_ieee_underflow 0
		.amdhsa_exception_fp_ieee_inexact 0
		.amdhsa_exception_int_div_zero 0
	.end_amdhsa_kernel
	.section	.text._ZN2at6native39vectorized_templated_elementwise_kernelILi8ENS0_13BinaryFunctorIfffZZZNS0_12_GLOBAL__N_133hermite_polynomial_he_kernel_cudaERNS_18TensorIteratorBaseEENKUlvE_clEvENKUlvE0_clEvEUlffE_EESt5arrayIPcLm3EE23TrivialOffsetCalculatorILi2EjESD_ILi1EjENS0_6memory12LoadWithCastILi2EEENSG_13StoreWithCastILi1EEEfJfN3c104HalfEEEEviT0_T1_T2_T3_T4_T5_,"axG",@progbits,_ZN2at6native39vectorized_templated_elementwise_kernelILi8ENS0_13BinaryFunctorIfffZZZNS0_12_GLOBAL__N_133hermite_polynomial_he_kernel_cudaERNS_18TensorIteratorBaseEENKUlvE_clEvENKUlvE0_clEvEUlffE_EESt5arrayIPcLm3EE23TrivialOffsetCalculatorILi2EjESD_ILi1EjENS0_6memory12LoadWithCastILi2EEENSG_13StoreWithCastILi1EEEfJfN3c104HalfEEEEviT0_T1_T2_T3_T4_T5_,comdat
.Lfunc_end57:
	.size	_ZN2at6native39vectorized_templated_elementwise_kernelILi8ENS0_13BinaryFunctorIfffZZZNS0_12_GLOBAL__N_133hermite_polynomial_he_kernel_cudaERNS_18TensorIteratorBaseEENKUlvE_clEvENKUlvE0_clEvEUlffE_EESt5arrayIPcLm3EE23TrivialOffsetCalculatorILi2EjESD_ILi1EjENS0_6memory12LoadWithCastILi2EEENSG_13StoreWithCastILi1EEEfJfN3c104HalfEEEEviT0_T1_T2_T3_T4_T5_, .Lfunc_end57-_ZN2at6native39vectorized_templated_elementwise_kernelILi8ENS0_13BinaryFunctorIfffZZZNS0_12_GLOBAL__N_133hermite_polynomial_he_kernel_cudaERNS_18TensorIteratorBaseEENKUlvE_clEvENKUlvE0_clEvEUlffE_EESt5arrayIPcLm3EE23TrivialOffsetCalculatorILi2EjESD_ILi1EjENS0_6memory12LoadWithCastILi2EEENSG_13StoreWithCastILi1EEEfJfN3c104HalfEEEEviT0_T1_T2_T3_T4_T5_
                                        ; -- End function
	.section	.AMDGPU.csdata,"",@progbits
; Kernel info:
; codeLenInByte = 7328
; NumSgprs: 104
; NumVgprs: 120
; NumAgprs: 0
; TotalNumVgprs: 120
; ScratchSize: 288
; MemoryBound: 0
; FloatMode: 240
; IeeeMode: 1
; LDSByteSize: 0 bytes/workgroup (compile time only)
; SGPRBlocks: 12
; VGPRBlocks: 14
; NumSGPRsForWavesPerEU: 104
; NumVGPRsForWavesPerEU: 120
; AccumOffset: 120
; Occupancy: 4
; WaveLimiterHint : 0
; COMPUTE_PGM_RSRC2:SCRATCH_EN: 1
; COMPUTE_PGM_RSRC2:USER_SGPR: 8
; COMPUTE_PGM_RSRC2:TRAP_HANDLER: 0
; COMPUTE_PGM_RSRC2:TGID_X_EN: 1
; COMPUTE_PGM_RSRC2:TGID_Y_EN: 0
; COMPUTE_PGM_RSRC2:TGID_Z_EN: 0
; COMPUTE_PGM_RSRC2:TIDIG_COMP_CNT: 0
; COMPUTE_PGM_RSRC3_GFX90A:ACCUM_OFFSET: 29
; COMPUTE_PGM_RSRC3_GFX90A:TG_SPLIT: 0
	.section	.text._ZN2at6native39vectorized_templated_elementwise_kernelILi4ENS0_13BinaryFunctorIfffZZZNS0_12_GLOBAL__N_133hermite_polynomial_he_kernel_cudaERNS_18TensorIteratorBaseEENKUlvE_clEvENKUlvE0_clEvEUlffE_EESt5arrayIPcLm3EE23TrivialOffsetCalculatorILi2EjESD_ILi1EjENS0_6memory12LoadWithCastILi2EEENSG_13StoreWithCastILi1EEEfJfN3c104HalfEEEEviT0_T1_T2_T3_T4_T5_,"axG",@progbits,_ZN2at6native39vectorized_templated_elementwise_kernelILi4ENS0_13BinaryFunctorIfffZZZNS0_12_GLOBAL__N_133hermite_polynomial_he_kernel_cudaERNS_18TensorIteratorBaseEENKUlvE_clEvENKUlvE0_clEvEUlffE_EESt5arrayIPcLm3EE23TrivialOffsetCalculatorILi2EjESD_ILi1EjENS0_6memory12LoadWithCastILi2EEENSG_13StoreWithCastILi1EEEfJfN3c104HalfEEEEviT0_T1_T2_T3_T4_T5_,comdat
	.globl	_ZN2at6native39vectorized_templated_elementwise_kernelILi4ENS0_13BinaryFunctorIfffZZZNS0_12_GLOBAL__N_133hermite_polynomial_he_kernel_cudaERNS_18TensorIteratorBaseEENKUlvE_clEvENKUlvE0_clEvEUlffE_EESt5arrayIPcLm3EE23TrivialOffsetCalculatorILi2EjESD_ILi1EjENS0_6memory12LoadWithCastILi2EEENSG_13StoreWithCastILi1EEEfJfN3c104HalfEEEEviT0_T1_T2_T3_T4_T5_ ; -- Begin function _ZN2at6native39vectorized_templated_elementwise_kernelILi4ENS0_13BinaryFunctorIfffZZZNS0_12_GLOBAL__N_133hermite_polynomial_he_kernel_cudaERNS_18TensorIteratorBaseEENKUlvE_clEvENKUlvE0_clEvEUlffE_EESt5arrayIPcLm3EE23TrivialOffsetCalculatorILi2EjESD_ILi1EjENS0_6memory12LoadWithCastILi2EEENSG_13StoreWithCastILi1EEEfJfN3c104HalfEEEEviT0_T1_T2_T3_T4_T5_
	.p2align	8
	.type	_ZN2at6native39vectorized_templated_elementwise_kernelILi4ENS0_13BinaryFunctorIfffZZZNS0_12_GLOBAL__N_133hermite_polynomial_he_kernel_cudaERNS_18TensorIteratorBaseEENKUlvE_clEvENKUlvE0_clEvEUlffE_EESt5arrayIPcLm3EE23TrivialOffsetCalculatorILi2EjESD_ILi1EjENS0_6memory12LoadWithCastILi2EEENSG_13StoreWithCastILi1EEEfJfN3c104HalfEEEEviT0_T1_T2_T3_T4_T5_,@function
_ZN2at6native39vectorized_templated_elementwise_kernelILi4ENS0_13BinaryFunctorIfffZZZNS0_12_GLOBAL__N_133hermite_polynomial_he_kernel_cudaERNS_18TensorIteratorBaseEENKUlvE_clEvENKUlvE0_clEvEUlffE_EESt5arrayIPcLm3EE23TrivialOffsetCalculatorILi2EjESD_ILi1EjENS0_6memory12LoadWithCastILi2EEENSG_13StoreWithCastILi1EEEfJfN3c104HalfEEEEviT0_T1_T2_T3_T4_T5_: ; @_ZN2at6native39vectorized_templated_elementwise_kernelILi4ENS0_13BinaryFunctorIfffZZZNS0_12_GLOBAL__N_133hermite_polynomial_he_kernel_cudaERNS_18TensorIteratorBaseEENKUlvE_clEvENKUlvE0_clEvEUlffE_EESt5arrayIPcLm3EE23TrivialOffsetCalculatorILi2EjESD_ILi1EjENS0_6memory12LoadWithCastILi2EEENSG_13StoreWithCastILi1EEEfJfN3c104HalfEEEEviT0_T1_T2_T3_T4_T5_
; %bb.0:
	s_add_u32 flat_scratch_lo, s6, s9
	s_addc_u32 flat_scratch_hi, s7, 0
	s_add_u32 s0, s0, s9
	s_mov_b32 s12, s8
	s_load_dword s8, s[4:5], 0x38
	s_load_dwordx2 s[6:7], s[4:5], 0x18
	s_load_dword s9, s[4:5], 0x0
	s_load_dwordx4 s[16:19], s[4:5], 0x8
	s_addc_u32 s1, s1, 0
	s_not_b32 s10, s12
	s_waitcnt lgkmcnt(0)
	s_add_i32 s8, s8, s10
	s_lshl_b32 s10, s8, 14
	s_sub_i32 s13, s9, s10
	s_cmpk_gt_i32 s13, 0x3fff
	s_mov_b64 s[8:9], -1
	s_mov_b32 s32, 0
	s_cbranch_scc1 .LBB58_3
; %bb.1:
	s_and_b64 vcc, exec, s[8:9]
	s_cbranch_vccnz .LBB58_388
.LBB58_2:
	s_endpgm
.LBB58_3:
	s_ashr_i32 s11, s10, 31
	s_lshl_b64 s[8:9], s[10:11], 2
	s_add_u32 s14, s18, s8
	s_addc_u32 s15, s19, s9
	v_lshlrev_b32_e32 v55, 4, v0
	v_mov_b32_e32 v1, s15
	v_add_co_u32_e32 v4, vcc, s14, v55
	v_addc_co_u32_e32 v5, vcc, 0, v1, vcc
	v_add_co_u32_e32 v2, vcc, 0x2000, v4
	v_addc_co_u32_e32 v3, vcc, 0, v5, vcc
	global_load_dwordx4 v[14:17], v55, s[14:15]
	global_load_dwordx4 v[22:25], v[2:3], off
	v_or_b32_e32 v8, 0x400, v0
	v_add_co_u32_e32 v2, vcc, 0x6000, v4
	v_lshlrev_b32_e32 v56, 4, v8
	v_addc_co_u32_e32 v3, vcc, 0, v5, vcc
	global_load_dwordx4 v[36:39], v56, s[14:15]
	global_load_dwordx4 v[32:35], v[2:3], off
	v_add_co_u32_e32 v2, vcc, 0xa000, v4
	v_addc_co_u32_e32 v3, vcc, 0, v5, vcc
	s_lshl_b64 s[10:11], s[10:11], 1
	v_or_b32_e32 v42, 0x800, v0
	v_or_b32_e32 v43, 0xc00, v0
	v_add_co_u32_e32 v6, vcc, 0xe000, v4
	s_add_u32 s10, s6, s10
	v_lshlrev_b32_e32 v54, 4, v42
	v_lshlrev_b32_e32 v1, 4, v43
	v_addc_co_u32_e32 v7, vcc, 0, v5, vcc
	s_addc_u32 s11, s7, s11
	v_lshlrev_b32_e32 v44, 3, v0
	global_load_dwordx4 v[26:29], v54, s[14:15]
	global_load_dwordx4 v[18:21], v[2:3], off
	global_load_dwordx4 v[10:13], v1, s[14:15]
	s_nop 0
	global_load_dwordx4 v[2:5], v[6:7], off
	v_mov_b32_e32 v6, s11
	v_add_co_u32_e32 v45, vcc, s10, v44
	v_addc_co_u32_e32 v46, vcc, 0, v6, vcc
	v_add_co_u32_e32 v6, vcc, 0x1000, v45
	v_addc_co_u32_e32 v7, vcc, 0, v46, vcc
	v_add_co_u32_e32 v40, vcc, 0x3000, v45
	v_lshlrev_b32_e32 v47, 3, v8
	v_addc_co_u32_e32 v41, vcc, 0, v46, vcc
	global_load_dwordx2 v[8:9], v44, s[10:11]
	global_load_dwordx2 v[50:51], v[6:7], off
	global_load_dwordx2 v[30:31], v47, s[10:11]
	global_load_dwordx2 v[48:49], v[40:41], off
	v_add_co_u32_e32 v6, vcc, 0x5000, v45
	v_addc_co_u32_e32 v7, vcc, 0, v46, vcc
	v_lshlrev_b32_e32 v57, 3, v42
	v_add_co_u32_e32 v52, vcc, 0x7000, v45
	v_lshlrev_b32_e32 v58, 3, v43
	v_addc_co_u32_e32 v53, vcc, 0, v46, vcc
	global_load_dwordx2 v[46:47], v57, s[10:11]
	global_load_dwordx2 v[44:45], v[6:7], off
	global_load_dwordx2 v[42:43], v58, s[10:11]
	global_load_dwordx2 v[40:41], v[52:53], off
	s_waitcnt vmcnt(7)
	v_cvt_f32_f16_e32 v6, v8
	v_cvt_i32_f32_e32 v52, v6
	v_mov_b32_e32 v6, 0
	v_ashrrev_i32_e32 v53, 31, v52
	v_cmp_lt_i64_e32 vcc, -1, v[52:53]
	s_and_saveexec_b64 s[10:11], vcc
	s_cbranch_execz .LBB58_15
; %bb.4:
	v_cmp_lt_i64_e32 vcc, 0, v[52:53]
	v_mov_b32_e32 v6, 1.0
	s_and_saveexec_b64 s[14:15], vcc
	s_cbranch_execz .LBB58_14
; %bb.5:
	v_cmp_ne_u64_e32 vcc, 1, v[52:53]
                                        ; implicit-def: $vgpr6
	s_and_saveexec_b64 s[20:21], vcc
	s_xor_b64 s[20:21], exec, s[20:21]
	s_cbranch_execz .LBB58_11
; %bb.6:
	s_mov_b64 s[22:23], 0x81
	v_cmp_gt_u64_e32 vcc, s[22:23], v[52:53]
	v_mov_b32_e32 v6, 0x7fc00000
	s_and_saveexec_b64 s[22:23], vcc
	s_cbranch_execz .LBB58_10
; %bb.7:
	s_mov_b64 s[26:27], 1
	s_mov_b64 s[24:25], 0
	v_mov_b32_e32 v7, 1.0
	v_mov_b32_e32 v6, v14
.LBB58_8:                               ; =>This Inner Loop Header: Depth=1
	s_flbit_i32_b32 s28, s27
	s_min_u32 s30, s28, 32
	s_lshl_b64 s[28:29], s[26:27], s30
	s_min_u32 s28, s28, 1
	s_or_b32 s28, s29, s28
	v_cvt_f32_u32_e32 v57, s28
	s_sub_i32 s30, 32, s30
	s_add_u32 s26, s26, 1
	s_addc_u32 s27, s27, 0
	v_ldexp_f32 v57, v57, s30
	v_cmp_eq_u64_e32 vcc, s[26:27], v[52:53]
	v_mul_f32_e32 v57, v7, v57
	s_or_b64 s[24:25], vcc, s[24:25]
	v_mov_b32_e32 v7, v6
	v_fma_f32 v6, v14, v6, -v57
	s_andn2_b64 exec, exec, s[24:25]
	s_cbranch_execnz .LBB58_8
; %bb.9:
	s_or_b64 exec, exec, s[24:25]
.LBB58_10:
	s_or_b64 exec, exec, s[22:23]
.LBB58_11:
	s_andn2_saveexec_b64 s[20:21], s[20:21]
; %bb.12:
	v_mov_b32_e32 v6, v14
; %bb.13:
	s_or_b64 exec, exec, s[20:21]
.LBB58_14:
	s_or_b64 exec, exec, s[14:15]
.LBB58_15:
	s_or_b64 exec, exec, s[10:11]
	v_cvt_f32_f16_sdwa v7, v8 dst_sel:DWORD dst_unused:UNUSED_PAD src0_sel:WORD_1
	v_cvt_i32_f32_e32 v52, v7
	v_mov_b32_e32 v7, 0
	v_ashrrev_i32_e32 v53, 31, v52
	v_cmp_lt_i64_e32 vcc, -1, v[52:53]
	s_and_saveexec_b64 s[10:11], vcc
	s_cbranch_execz .LBB58_27
; %bb.16:
	v_cmp_lt_i64_e32 vcc, 0, v[52:53]
	v_mov_b32_e32 v7, 1.0
	s_and_saveexec_b64 s[14:15], vcc
	s_cbranch_execz .LBB58_26
; %bb.17:
	v_cmp_ne_u64_e32 vcc, 1, v[52:53]
	s_and_saveexec_b64 s[20:21], vcc
	s_xor_b64 s[20:21], exec, s[20:21]
	s_cbranch_execz .LBB58_23
; %bb.18:
	s_mov_b64 s[22:23], 0x81
	v_cmp_gt_u64_e32 vcc, s[22:23], v[52:53]
	v_mov_b32_e32 v7, 0x7fc00000
	s_and_saveexec_b64 s[22:23], vcc
	s_cbranch_execz .LBB58_22
; %bb.19:
	s_mov_b64 s[26:27], 1
	s_mov_b64 s[24:25], 0
	v_mov_b32_e32 v8, 1.0
	v_mov_b32_e32 v7, v15
.LBB58_20:                              ; =>This Inner Loop Header: Depth=1
	s_flbit_i32_b32 s28, s27
	s_min_u32 s30, s28, 32
	s_lshl_b64 s[28:29], s[26:27], s30
	s_min_u32 s28, s28, 1
	s_or_b32 s28, s29, s28
	v_cvt_f32_u32_e32 v14, s28
	s_sub_i32 s30, 32, s30
	s_add_u32 s26, s26, 1
	s_addc_u32 s27, s27, 0
	v_ldexp_f32 v14, v14, s30
	v_cmp_eq_u64_e32 vcc, s[26:27], v[52:53]
	v_mul_f32_e32 v14, v8, v14
	s_or_b64 s[24:25], vcc, s[24:25]
	v_mov_b32_e32 v8, v7
	v_fma_f32 v7, v15, v7, -v14
	s_andn2_b64 exec, exec, s[24:25]
	s_cbranch_execnz .LBB58_20
; %bb.21:
	s_or_b64 exec, exec, s[24:25]
.LBB58_22:
	s_or_b64 exec, exec, s[22:23]
.LBB58_23:
	s_andn2_saveexec_b64 s[20:21], s[20:21]
; %bb.24:
	v_mov_b32_e32 v7, v15
; %bb.25:
	s_or_b64 exec, exec, s[20:21]
.LBB58_26:
	s_or_b64 exec, exec, s[14:15]
.LBB58_27:
	s_or_b64 exec, exec, s[10:11]
	v_cvt_f32_f16_e32 v8, v9
	v_cvt_i32_f32_e32 v14, v8
	v_mov_b32_e32 v8, 0
	v_ashrrev_i32_e32 v15, 31, v14
	v_cmp_lt_i64_e32 vcc, -1, v[14:15]
	s_and_saveexec_b64 s[10:11], vcc
	s_cbranch_execz .LBB58_39
; %bb.28:
	v_cmp_lt_i64_e32 vcc, 0, v[14:15]
	v_mov_b32_e32 v8, 1.0
	s_and_saveexec_b64 s[14:15], vcc
	s_cbranch_execz .LBB58_38
; %bb.29:
	v_cmp_ne_u64_e32 vcc, 1, v[14:15]
	s_and_saveexec_b64 s[20:21], vcc
	s_xor_b64 s[20:21], exec, s[20:21]
	s_cbranch_execz .LBB58_35
; %bb.30:
	s_mov_b64 s[22:23], 0x81
	v_cmp_gt_u64_e32 vcc, s[22:23], v[14:15]
	v_mov_b32_e32 v8, 0x7fc00000
	s_and_saveexec_b64 s[22:23], vcc
	s_cbranch_execz .LBB58_34
; %bb.31:
	s_mov_b64 s[26:27], 1
	s_mov_b64 s[24:25], 0
	v_mov_b32_e32 v52, 1.0
	v_mov_b32_e32 v8, v16
.LBB58_32:                              ; =>This Inner Loop Header: Depth=1
	s_flbit_i32_b32 s28, s27
	s_min_u32 s30, s28, 32
	s_lshl_b64 s[28:29], s[26:27], s30
	s_min_u32 s28, s28, 1
	s_or_b32 s28, s29, s28
	v_cvt_f32_u32_e32 v53, s28
	s_sub_i32 s30, 32, s30
	s_add_u32 s26, s26, 1
	s_addc_u32 s27, s27, 0
	v_ldexp_f32 v53, v53, s30
	v_cmp_eq_u64_e32 vcc, s[26:27], v[14:15]
	v_mul_f32_e32 v53, v52, v53
	s_or_b64 s[24:25], vcc, s[24:25]
	v_mov_b32_e32 v52, v8
	v_fma_f32 v8, v16, v8, -v53
	s_andn2_b64 exec, exec, s[24:25]
	s_cbranch_execnz .LBB58_32
; %bb.33:
	s_or_b64 exec, exec, s[24:25]
.LBB58_34:
	s_or_b64 exec, exec, s[22:23]
.LBB58_35:
	s_andn2_saveexec_b64 s[20:21], s[20:21]
; %bb.36:
	v_mov_b32_e32 v8, v16
; %bb.37:
	s_or_b64 exec, exec, s[20:21]
.LBB58_38:
	s_or_b64 exec, exec, s[14:15]
.LBB58_39:
	s_or_b64 exec, exec, s[10:11]
	v_cvt_f32_f16_sdwa v9, v9 dst_sel:DWORD dst_unused:UNUSED_PAD src0_sel:WORD_1
	v_cvt_i32_f32_e32 v14, v9
	v_mov_b32_e32 v9, 0
	v_ashrrev_i32_e32 v15, 31, v14
	v_cmp_lt_i64_e32 vcc, -1, v[14:15]
	s_and_saveexec_b64 s[10:11], vcc
	s_cbranch_execz .LBB58_51
; %bb.40:
	v_cmp_lt_i64_e32 vcc, 0, v[14:15]
	v_mov_b32_e32 v9, 1.0
	s_and_saveexec_b64 s[14:15], vcc
	s_cbranch_execz .LBB58_50
; %bb.41:
	v_cmp_ne_u64_e32 vcc, 1, v[14:15]
	s_and_saveexec_b64 s[20:21], vcc
	s_xor_b64 s[20:21], exec, s[20:21]
	s_cbranch_execz .LBB58_47
; %bb.42:
	s_mov_b64 s[22:23], 0x81
	v_cmp_gt_u64_e32 vcc, s[22:23], v[14:15]
	v_mov_b32_e32 v9, 0x7fc00000
	s_and_saveexec_b64 s[22:23], vcc
	s_cbranch_execz .LBB58_46
; %bb.43:
	s_mov_b64 s[26:27], 1
	s_mov_b64 s[24:25], 0
	v_mov_b32_e32 v16, 1.0
	v_mov_b32_e32 v9, v17
.LBB58_44:                              ; =>This Inner Loop Header: Depth=1
	s_flbit_i32_b32 s28, s27
	s_min_u32 s30, s28, 32
	s_lshl_b64 s[28:29], s[26:27], s30
	s_min_u32 s28, s28, 1
	s_or_b32 s28, s29, s28
	v_cvt_f32_u32_e32 v52, s28
	s_sub_i32 s30, 32, s30
	s_add_u32 s26, s26, 1
	s_addc_u32 s27, s27, 0
	v_ldexp_f32 v52, v52, s30
	v_cmp_eq_u64_e32 vcc, s[26:27], v[14:15]
	v_mul_f32_e32 v52, v16, v52
	s_or_b64 s[24:25], vcc, s[24:25]
	v_mov_b32_e32 v16, v9
	v_fma_f32 v9, v17, v9, -v52
	s_andn2_b64 exec, exec, s[24:25]
	s_cbranch_execnz .LBB58_44
; %bb.45:
	s_or_b64 exec, exec, s[24:25]
.LBB58_46:
	s_or_b64 exec, exec, s[22:23]
                                        ; implicit-def: $vgpr17
.LBB58_47:
	s_andn2_saveexec_b64 s[20:21], s[20:21]
; %bb.48:
	v_mov_b32_e32 v9, v17
; %bb.49:
	s_or_b64 exec, exec, s[20:21]
.LBB58_50:
	s_or_b64 exec, exec, s[14:15]
.LBB58_51:
	s_or_b64 exec, exec, s[10:11]
	s_waitcnt vmcnt(6)
	v_cvt_f32_f16_e32 v14, v50
	v_cvt_i32_f32_e32 v16, v14
	v_mov_b32_e32 v14, 0
	v_ashrrev_i32_e32 v17, 31, v16
	v_cmp_lt_i64_e32 vcc, -1, v[16:17]
	s_and_saveexec_b64 s[10:11], vcc
	s_cbranch_execz .LBB58_63
; %bb.52:
	v_cmp_lt_i64_e32 vcc, 0, v[16:17]
	v_mov_b32_e32 v14, 1.0
	s_and_saveexec_b64 s[14:15], vcc
	s_cbranch_execz .LBB58_62
; %bb.53:
	v_cmp_ne_u64_e32 vcc, 1, v[16:17]
                                        ; implicit-def: $vgpr14
	s_and_saveexec_b64 s[20:21], vcc
	s_xor_b64 s[20:21], exec, s[20:21]
	s_cbranch_execz .LBB58_59
; %bb.54:
	s_mov_b64 s[22:23], 0x81
	v_cmp_gt_u64_e32 vcc, s[22:23], v[16:17]
	v_mov_b32_e32 v14, 0x7fc00000
	s_and_saveexec_b64 s[22:23], vcc
	s_cbranch_execz .LBB58_58
; %bb.55:
	s_mov_b64 s[26:27], 1
	s_mov_b64 s[24:25], 0
	v_mov_b32_e32 v15, 1.0
	v_mov_b32_e32 v14, v22
.LBB58_56:                              ; =>This Inner Loop Header: Depth=1
	s_flbit_i32_b32 s28, s27
	s_min_u32 s30, s28, 32
	s_lshl_b64 s[28:29], s[26:27], s30
	s_min_u32 s28, s28, 1
	s_or_b32 s28, s29, s28
	v_cvt_f32_u32_e32 v52, s28
	s_sub_i32 s30, 32, s30
	s_add_u32 s26, s26, 1
	s_addc_u32 s27, s27, 0
	v_ldexp_f32 v52, v52, s30
	v_cmp_eq_u64_e32 vcc, s[26:27], v[16:17]
	v_mul_f32_e32 v52, v15, v52
	s_or_b64 s[24:25], vcc, s[24:25]
	v_mov_b32_e32 v15, v14
	v_fma_f32 v14, v22, v14, -v52
	s_andn2_b64 exec, exec, s[24:25]
	s_cbranch_execnz .LBB58_56
; %bb.57:
	s_or_b64 exec, exec, s[24:25]
.LBB58_58:
	s_or_b64 exec, exec, s[22:23]
.LBB58_59:
	s_andn2_saveexec_b64 s[20:21], s[20:21]
; %bb.60:
	v_mov_b32_e32 v14, v22
; %bb.61:
	s_or_b64 exec, exec, s[20:21]
.LBB58_62:
	s_or_b64 exec, exec, s[14:15]
.LBB58_63:
	s_or_b64 exec, exec, s[10:11]
	v_cvt_f32_f16_sdwa v15, v50 dst_sel:DWORD dst_unused:UNUSED_PAD src0_sel:WORD_1
	v_cvt_i32_f32_e32 v16, v15
	v_mov_b32_e32 v15, 0
	v_ashrrev_i32_e32 v17, 31, v16
	v_cmp_lt_i64_e32 vcc, -1, v[16:17]
	s_and_saveexec_b64 s[10:11], vcc
	s_cbranch_execz .LBB58_75
; %bb.64:
	v_cmp_lt_i64_e32 vcc, 0, v[16:17]
	v_mov_b32_e32 v15, 1.0
	s_and_saveexec_b64 s[14:15], vcc
	s_cbranch_execz .LBB58_74
; %bb.65:
	v_cmp_ne_u64_e32 vcc, 1, v[16:17]
	s_and_saveexec_b64 s[20:21], vcc
	s_xor_b64 s[20:21], exec, s[20:21]
	s_cbranch_execz .LBB58_71
; %bb.66:
	s_mov_b64 s[22:23], 0x81
	v_cmp_gt_u64_e32 vcc, s[22:23], v[16:17]
	v_mov_b32_e32 v15, 0x7fc00000
	s_and_saveexec_b64 s[22:23], vcc
	s_cbranch_execz .LBB58_70
; %bb.67:
	s_mov_b64 s[26:27], 1
	s_mov_b64 s[24:25], 0
	v_mov_b32_e32 v22, 1.0
	v_mov_b32_e32 v15, v23
.LBB58_68:                              ; =>This Inner Loop Header: Depth=1
	s_flbit_i32_b32 s28, s27
	s_min_u32 s30, s28, 32
	s_lshl_b64 s[28:29], s[26:27], s30
	s_min_u32 s28, s28, 1
	s_or_b32 s28, s29, s28
	v_cvt_f32_u32_e32 v50, s28
	s_sub_i32 s30, 32, s30
	s_add_u32 s26, s26, 1
	s_addc_u32 s27, s27, 0
	v_ldexp_f32 v50, v50, s30
	v_cmp_eq_u64_e32 vcc, s[26:27], v[16:17]
	v_mul_f32_e32 v50, v22, v50
	s_or_b64 s[24:25], vcc, s[24:25]
	v_mov_b32_e32 v22, v15
	v_fma_f32 v15, v23, v15, -v50
	s_andn2_b64 exec, exec, s[24:25]
	s_cbranch_execnz .LBB58_68
; %bb.69:
	s_or_b64 exec, exec, s[24:25]
.LBB58_70:
	s_or_b64 exec, exec, s[22:23]
.LBB58_71:
	s_andn2_saveexec_b64 s[20:21], s[20:21]
; %bb.72:
	v_mov_b32_e32 v15, v23
; %bb.73:
	s_or_b64 exec, exec, s[20:21]
.LBB58_74:
	s_or_b64 exec, exec, s[14:15]
.LBB58_75:
	s_or_b64 exec, exec, s[10:11]
	v_cvt_f32_f16_e32 v16, v51
	v_cvt_i32_f32_e32 v22, v16
	v_mov_b32_e32 v16, 0
	v_ashrrev_i32_e32 v23, 31, v22
	v_cmp_lt_i64_e32 vcc, -1, v[22:23]
	s_and_saveexec_b64 s[10:11], vcc
	s_cbranch_execz .LBB58_87
; %bb.76:
	v_cmp_lt_i64_e32 vcc, 0, v[22:23]
	v_mov_b32_e32 v16, 1.0
	s_and_saveexec_b64 s[14:15], vcc
	s_cbranch_execz .LBB58_86
; %bb.77:
	v_cmp_ne_u64_e32 vcc, 1, v[22:23]
	s_and_saveexec_b64 s[20:21], vcc
	s_xor_b64 s[20:21], exec, s[20:21]
	s_cbranch_execz .LBB58_83
; %bb.78:
	s_mov_b64 s[22:23], 0x81
	v_cmp_gt_u64_e32 vcc, s[22:23], v[22:23]
	v_mov_b32_e32 v16, 0x7fc00000
	s_and_saveexec_b64 s[22:23], vcc
	s_cbranch_execz .LBB58_82
; %bb.79:
	s_mov_b64 s[26:27], 1
	s_mov_b64 s[24:25], 0
	v_mov_b32_e32 v17, 1.0
	v_mov_b32_e32 v16, v24
.LBB58_80:                              ; =>This Inner Loop Header: Depth=1
	s_flbit_i32_b32 s28, s27
	s_min_u32 s30, s28, 32
	s_lshl_b64 s[28:29], s[26:27], s30
	s_min_u32 s28, s28, 1
	s_or_b32 s28, s29, s28
	v_cvt_f32_u32_e32 v50, s28
	s_sub_i32 s30, 32, s30
	s_add_u32 s26, s26, 1
	s_addc_u32 s27, s27, 0
	v_ldexp_f32 v50, v50, s30
	v_cmp_eq_u64_e32 vcc, s[26:27], v[22:23]
	v_mul_f32_e32 v50, v17, v50
	s_or_b64 s[24:25], vcc, s[24:25]
	v_mov_b32_e32 v17, v16
	v_fma_f32 v16, v24, v16, -v50
	s_andn2_b64 exec, exec, s[24:25]
	s_cbranch_execnz .LBB58_80
; %bb.81:
	s_or_b64 exec, exec, s[24:25]
.LBB58_82:
	s_or_b64 exec, exec, s[22:23]
.LBB58_83:
	s_andn2_saveexec_b64 s[20:21], s[20:21]
; %bb.84:
	v_mov_b32_e32 v16, v24
; %bb.85:
	s_or_b64 exec, exec, s[20:21]
.LBB58_86:
	s_or_b64 exec, exec, s[14:15]
.LBB58_87:
	s_or_b64 exec, exec, s[10:11]
	v_cvt_f32_f16_sdwa v17, v51 dst_sel:DWORD dst_unused:UNUSED_PAD src0_sel:WORD_1
	v_cvt_i32_f32_e32 v22, v17
	v_mov_b32_e32 v17, 0
	v_ashrrev_i32_e32 v23, 31, v22
	v_cmp_lt_i64_e32 vcc, -1, v[22:23]
	s_and_saveexec_b64 s[10:11], vcc
	s_cbranch_execz .LBB58_99
; %bb.88:
	v_cmp_lt_i64_e32 vcc, 0, v[22:23]
	v_mov_b32_e32 v17, 1.0
	s_and_saveexec_b64 s[14:15], vcc
	s_cbranch_execz .LBB58_98
; %bb.89:
	v_cmp_ne_u64_e32 vcc, 1, v[22:23]
	s_and_saveexec_b64 s[20:21], vcc
	s_xor_b64 s[20:21], exec, s[20:21]
	s_cbranch_execz .LBB58_95
; %bb.90:
	s_mov_b64 s[22:23], 0x81
	v_cmp_gt_u64_e32 vcc, s[22:23], v[22:23]
	v_mov_b32_e32 v17, 0x7fc00000
	s_and_saveexec_b64 s[22:23], vcc
	s_cbranch_execz .LBB58_94
; %bb.91:
	s_mov_b64 s[26:27], 1
	s_mov_b64 s[24:25], 0
	v_mov_b32_e32 v24, 1.0
	v_mov_b32_e32 v17, v25
.LBB58_92:                              ; =>This Inner Loop Header: Depth=1
	s_flbit_i32_b32 s28, s27
	s_min_u32 s30, s28, 32
	s_lshl_b64 s[28:29], s[26:27], s30
	s_min_u32 s28, s28, 1
	s_or_b32 s28, s29, s28
	v_cvt_f32_u32_e32 v50, s28
	s_sub_i32 s30, 32, s30
	s_add_u32 s26, s26, 1
	s_addc_u32 s27, s27, 0
	v_ldexp_f32 v50, v50, s30
	v_cmp_eq_u64_e32 vcc, s[26:27], v[22:23]
	v_mul_f32_e32 v50, v24, v50
	s_or_b64 s[24:25], vcc, s[24:25]
	v_mov_b32_e32 v24, v17
	v_fma_f32 v17, v25, v17, -v50
	s_andn2_b64 exec, exec, s[24:25]
	s_cbranch_execnz .LBB58_92
; %bb.93:
	s_or_b64 exec, exec, s[24:25]
.LBB58_94:
	s_or_b64 exec, exec, s[22:23]
                                        ; implicit-def: $vgpr25
.LBB58_95:
	s_andn2_saveexec_b64 s[20:21], s[20:21]
; %bb.96:
	v_mov_b32_e32 v17, v25
; %bb.97:
	s_or_b64 exec, exec, s[20:21]
.LBB58_98:
	s_or_b64 exec, exec, s[14:15]
.LBB58_99:
	s_or_b64 exec, exec, s[10:11]
	s_waitcnt vmcnt(5)
	v_cvt_f32_f16_e32 v22, v30
	v_cvt_i32_f32_e32 v24, v22
	v_mov_b32_e32 v22, 0
	v_ashrrev_i32_e32 v25, 31, v24
	v_cmp_lt_i64_e32 vcc, -1, v[24:25]
	s_and_saveexec_b64 s[10:11], vcc
	s_cbranch_execz .LBB58_111
; %bb.100:
	v_cmp_lt_i64_e32 vcc, 0, v[24:25]
	v_mov_b32_e32 v22, 1.0
	s_and_saveexec_b64 s[14:15], vcc
	s_cbranch_execz .LBB58_110
; %bb.101:
	v_cmp_ne_u64_e32 vcc, 1, v[24:25]
                                        ; implicit-def: $vgpr22
	s_and_saveexec_b64 s[20:21], vcc
	s_xor_b64 s[20:21], exec, s[20:21]
	s_cbranch_execz .LBB58_107
; %bb.102:
	s_mov_b64 s[22:23], 0x81
	v_cmp_gt_u64_e32 vcc, s[22:23], v[24:25]
	v_mov_b32_e32 v22, 0x7fc00000
	s_and_saveexec_b64 s[22:23], vcc
	s_cbranch_execz .LBB58_106
; %bb.103:
	s_mov_b64 s[26:27], 1
	s_mov_b64 s[24:25], 0
	v_mov_b32_e32 v23, 1.0
	v_mov_b32_e32 v22, v36
.LBB58_104:                             ; =>This Inner Loop Header: Depth=1
	s_flbit_i32_b32 s28, s27
	s_min_u32 s30, s28, 32
	s_lshl_b64 s[28:29], s[26:27], s30
	s_min_u32 s28, s28, 1
	s_or_b32 s28, s29, s28
	v_cvt_f32_u32_e32 v50, s28
	s_sub_i32 s30, 32, s30
	s_add_u32 s26, s26, 1
	s_addc_u32 s27, s27, 0
	v_ldexp_f32 v50, v50, s30
	v_cmp_eq_u64_e32 vcc, s[26:27], v[24:25]
	v_mul_f32_e32 v50, v23, v50
	s_or_b64 s[24:25], vcc, s[24:25]
	v_mov_b32_e32 v23, v22
	v_fma_f32 v22, v36, v22, -v50
	s_andn2_b64 exec, exec, s[24:25]
	s_cbranch_execnz .LBB58_104
; %bb.105:
	s_or_b64 exec, exec, s[24:25]
.LBB58_106:
	s_or_b64 exec, exec, s[22:23]
.LBB58_107:
	s_andn2_saveexec_b64 s[20:21], s[20:21]
; %bb.108:
	v_mov_b32_e32 v22, v36
; %bb.109:
	s_or_b64 exec, exec, s[20:21]
.LBB58_110:
	s_or_b64 exec, exec, s[14:15]
.LBB58_111:
	s_or_b64 exec, exec, s[10:11]
	v_cvt_f32_f16_sdwa v23, v30 dst_sel:DWORD dst_unused:UNUSED_PAD src0_sel:WORD_1
	v_cvt_i32_f32_e32 v24, v23
	v_mov_b32_e32 v23, 0
	v_ashrrev_i32_e32 v25, 31, v24
	v_cmp_lt_i64_e32 vcc, -1, v[24:25]
	s_and_saveexec_b64 s[10:11], vcc
	s_cbranch_execz .LBB58_123
; %bb.112:
	v_cmp_lt_i64_e32 vcc, 0, v[24:25]
	v_mov_b32_e32 v23, 1.0
	s_and_saveexec_b64 s[14:15], vcc
	s_cbranch_execz .LBB58_122
; %bb.113:
	v_cmp_ne_u64_e32 vcc, 1, v[24:25]
	s_and_saveexec_b64 s[20:21], vcc
	s_xor_b64 s[20:21], exec, s[20:21]
	s_cbranch_execz .LBB58_119
; %bb.114:
	s_mov_b64 s[22:23], 0x81
	v_cmp_gt_u64_e32 vcc, s[22:23], v[24:25]
	v_mov_b32_e32 v23, 0x7fc00000
	s_and_saveexec_b64 s[22:23], vcc
	s_cbranch_execz .LBB58_118
; %bb.115:
	s_mov_b64 s[26:27], 1
	s_mov_b64 s[24:25], 0
	v_mov_b32_e32 v30, 1.0
	v_mov_b32_e32 v23, v37
.LBB58_116:                             ; =>This Inner Loop Header: Depth=1
	s_flbit_i32_b32 s28, s27
	s_min_u32 s30, s28, 32
	s_lshl_b64 s[28:29], s[26:27], s30
	s_min_u32 s28, s28, 1
	s_or_b32 s28, s29, s28
	v_cvt_f32_u32_e32 v36, s28
	s_sub_i32 s30, 32, s30
	s_add_u32 s26, s26, 1
	s_addc_u32 s27, s27, 0
	v_ldexp_f32 v36, v36, s30
	v_cmp_eq_u64_e32 vcc, s[26:27], v[24:25]
	v_mul_f32_e32 v36, v30, v36
	s_or_b64 s[24:25], vcc, s[24:25]
	v_mov_b32_e32 v30, v23
	v_fma_f32 v23, v37, v23, -v36
	s_andn2_b64 exec, exec, s[24:25]
	s_cbranch_execnz .LBB58_116
; %bb.117:
	s_or_b64 exec, exec, s[24:25]
.LBB58_118:
	s_or_b64 exec, exec, s[22:23]
.LBB58_119:
	s_andn2_saveexec_b64 s[20:21], s[20:21]
; %bb.120:
	v_mov_b32_e32 v23, v37
; %bb.121:
	s_or_b64 exec, exec, s[20:21]
.LBB58_122:
	s_or_b64 exec, exec, s[14:15]
.LBB58_123:
	s_or_b64 exec, exec, s[10:11]
	v_cvt_f32_f16_e32 v24, v31
	v_cvt_i32_f32_e32 v36, v24
	v_mov_b32_e32 v24, 0
	v_ashrrev_i32_e32 v37, 31, v36
	v_cmp_lt_i64_e32 vcc, -1, v[36:37]
	s_and_saveexec_b64 s[10:11], vcc
	s_cbranch_execz .LBB58_135
; %bb.124:
	v_cmp_lt_i64_e32 vcc, 0, v[36:37]
	v_mov_b32_e32 v24, 1.0
	s_and_saveexec_b64 s[14:15], vcc
	s_cbranch_execz .LBB58_134
; %bb.125:
	v_cmp_ne_u64_e32 vcc, 1, v[36:37]
	s_and_saveexec_b64 s[20:21], vcc
	s_xor_b64 s[20:21], exec, s[20:21]
	s_cbranch_execz .LBB58_131
; %bb.126:
	s_mov_b64 s[22:23], 0x81
	v_cmp_gt_u64_e32 vcc, s[22:23], v[36:37]
	v_mov_b32_e32 v24, 0x7fc00000
	s_and_saveexec_b64 s[22:23], vcc
	s_cbranch_execz .LBB58_130
; %bb.127:
	s_mov_b64 s[26:27], 1
	s_mov_b64 s[24:25], 0
	v_mov_b32_e32 v25, 1.0
	v_mov_b32_e32 v24, v38
.LBB58_128:                             ; =>This Inner Loop Header: Depth=1
	s_flbit_i32_b32 s28, s27
	s_min_u32 s30, s28, 32
	s_lshl_b64 s[28:29], s[26:27], s30
	s_min_u32 s28, s28, 1
	s_or_b32 s28, s29, s28
	v_cvt_f32_u32_e32 v30, s28
	s_sub_i32 s30, 32, s30
	s_add_u32 s26, s26, 1
	s_addc_u32 s27, s27, 0
	v_ldexp_f32 v30, v30, s30
	v_cmp_eq_u64_e32 vcc, s[26:27], v[36:37]
	v_mul_f32_e32 v30, v25, v30
	s_or_b64 s[24:25], vcc, s[24:25]
	v_mov_b32_e32 v25, v24
	v_fma_f32 v24, v38, v24, -v30
	s_andn2_b64 exec, exec, s[24:25]
	s_cbranch_execnz .LBB58_128
; %bb.129:
	s_or_b64 exec, exec, s[24:25]
.LBB58_130:
	s_or_b64 exec, exec, s[22:23]
.LBB58_131:
	s_andn2_saveexec_b64 s[20:21], s[20:21]
; %bb.132:
	v_mov_b32_e32 v24, v38
; %bb.133:
	s_or_b64 exec, exec, s[20:21]
.LBB58_134:
	s_or_b64 exec, exec, s[14:15]
.LBB58_135:
	s_or_b64 exec, exec, s[10:11]
	v_cvt_f32_f16_sdwa v25, v31 dst_sel:DWORD dst_unused:UNUSED_PAD src0_sel:WORD_1
	v_cvt_i32_f32_e32 v30, v25
	v_mov_b32_e32 v25, 0
	v_ashrrev_i32_e32 v31, 31, v30
	v_cmp_lt_i64_e32 vcc, -1, v[30:31]
	s_and_saveexec_b64 s[10:11], vcc
	s_cbranch_execz .LBB58_147
; %bb.136:
	v_cmp_lt_i64_e32 vcc, 0, v[30:31]
	v_mov_b32_e32 v25, 1.0
	s_and_saveexec_b64 s[14:15], vcc
	s_cbranch_execz .LBB58_146
; %bb.137:
	v_cmp_ne_u64_e32 vcc, 1, v[30:31]
	s_and_saveexec_b64 s[20:21], vcc
	s_xor_b64 s[20:21], exec, s[20:21]
	s_cbranch_execz .LBB58_143
; %bb.138:
	s_mov_b64 s[22:23], 0x81
	v_cmp_gt_u64_e32 vcc, s[22:23], v[30:31]
	v_mov_b32_e32 v25, 0x7fc00000
	s_and_saveexec_b64 s[22:23], vcc
	s_cbranch_execz .LBB58_142
; %bb.139:
	s_mov_b64 s[26:27], 1
	s_mov_b64 s[24:25], 0
	v_mov_b32_e32 v36, 1.0
	v_mov_b32_e32 v25, v39
.LBB58_140:                             ; =>This Inner Loop Header: Depth=1
	s_flbit_i32_b32 s28, s27
	s_min_u32 s30, s28, 32
	s_lshl_b64 s[28:29], s[26:27], s30
	s_min_u32 s28, s28, 1
	s_or_b32 s28, s29, s28
	v_cvt_f32_u32_e32 v37, s28
	s_sub_i32 s30, 32, s30
	s_add_u32 s26, s26, 1
	s_addc_u32 s27, s27, 0
	v_ldexp_f32 v37, v37, s30
	v_cmp_eq_u64_e32 vcc, s[26:27], v[30:31]
	v_mul_f32_e32 v37, v36, v37
	s_or_b64 s[24:25], vcc, s[24:25]
	v_mov_b32_e32 v36, v25
	v_fma_f32 v25, v39, v25, -v37
	s_andn2_b64 exec, exec, s[24:25]
	s_cbranch_execnz .LBB58_140
; %bb.141:
	s_or_b64 exec, exec, s[24:25]
.LBB58_142:
	s_or_b64 exec, exec, s[22:23]
                                        ; implicit-def: $vgpr39
.LBB58_143:
	s_andn2_saveexec_b64 s[20:21], s[20:21]
; %bb.144:
	v_mov_b32_e32 v25, v39
; %bb.145:
	s_or_b64 exec, exec, s[20:21]
.LBB58_146:
	s_or_b64 exec, exec, s[14:15]
.LBB58_147:
	s_or_b64 exec, exec, s[10:11]
	s_waitcnt vmcnt(4)
	v_cvt_f32_f16_e32 v30, v48
	v_cvt_i32_f32_e32 v36, v30
	v_mov_b32_e32 v30, 0
	v_ashrrev_i32_e32 v37, 31, v36
	v_cmp_lt_i64_e32 vcc, -1, v[36:37]
	s_and_saveexec_b64 s[10:11], vcc
	s_cbranch_execz .LBB58_159
; %bb.148:
	v_cmp_lt_i64_e32 vcc, 0, v[36:37]
	v_mov_b32_e32 v30, 1.0
	s_and_saveexec_b64 s[14:15], vcc
	s_cbranch_execz .LBB58_158
; %bb.149:
	v_cmp_ne_u64_e32 vcc, 1, v[36:37]
                                        ; implicit-def: $vgpr30
	s_and_saveexec_b64 s[20:21], vcc
	s_xor_b64 s[20:21], exec, s[20:21]
	s_cbranch_execz .LBB58_155
; %bb.150:
	s_mov_b64 s[22:23], 0x81
	v_cmp_gt_u64_e32 vcc, s[22:23], v[36:37]
	v_mov_b32_e32 v30, 0x7fc00000
	s_and_saveexec_b64 s[22:23], vcc
	s_cbranch_execz .LBB58_154
; %bb.151:
	s_mov_b64 s[26:27], 1
	s_mov_b64 s[24:25], 0
	v_mov_b32_e32 v31, 1.0
	v_mov_b32_e32 v30, v32
.LBB58_152:                             ; =>This Inner Loop Header: Depth=1
	s_flbit_i32_b32 s28, s27
	s_min_u32 s30, s28, 32
	s_lshl_b64 s[28:29], s[26:27], s30
	s_min_u32 s28, s28, 1
	s_or_b32 s28, s29, s28
	v_cvt_f32_u32_e32 v38, s28
	s_sub_i32 s30, 32, s30
	s_add_u32 s26, s26, 1
	s_addc_u32 s27, s27, 0
	v_ldexp_f32 v38, v38, s30
	v_cmp_eq_u64_e32 vcc, s[26:27], v[36:37]
	v_mul_f32_e32 v38, v31, v38
	s_or_b64 s[24:25], vcc, s[24:25]
	v_mov_b32_e32 v31, v30
	v_fma_f32 v30, v32, v30, -v38
	s_andn2_b64 exec, exec, s[24:25]
	s_cbranch_execnz .LBB58_152
; %bb.153:
	s_or_b64 exec, exec, s[24:25]
.LBB58_154:
	s_or_b64 exec, exec, s[22:23]
.LBB58_155:
	s_andn2_saveexec_b64 s[20:21], s[20:21]
; %bb.156:
	v_mov_b32_e32 v30, v32
; %bb.157:
	s_or_b64 exec, exec, s[20:21]
.LBB58_158:
	s_or_b64 exec, exec, s[14:15]
.LBB58_159:
	s_or_b64 exec, exec, s[10:11]
	v_cvt_f32_f16_sdwa v31, v48 dst_sel:DWORD dst_unused:UNUSED_PAD src0_sel:WORD_1
	v_cvt_i32_f32_e32 v36, v31
	v_mov_b32_e32 v31, 0
	v_ashrrev_i32_e32 v37, 31, v36
	v_cmp_lt_i64_e32 vcc, -1, v[36:37]
	s_and_saveexec_b64 s[10:11], vcc
	s_cbranch_execz .LBB58_171
; %bb.160:
	v_cmp_lt_i64_e32 vcc, 0, v[36:37]
	v_mov_b32_e32 v31, 1.0
	s_and_saveexec_b64 s[14:15], vcc
	s_cbranch_execz .LBB58_170
; %bb.161:
	v_cmp_ne_u64_e32 vcc, 1, v[36:37]
	s_and_saveexec_b64 s[20:21], vcc
	s_xor_b64 s[20:21], exec, s[20:21]
	s_cbranch_execz .LBB58_167
; %bb.162:
	s_mov_b64 s[22:23], 0x81
	v_cmp_gt_u64_e32 vcc, s[22:23], v[36:37]
	v_mov_b32_e32 v31, 0x7fc00000
	s_and_saveexec_b64 s[22:23], vcc
	s_cbranch_execz .LBB58_166
; %bb.163:
	s_mov_b64 s[26:27], 1
	s_mov_b64 s[24:25], 0
	v_mov_b32_e32 v32, 1.0
	v_mov_b32_e32 v31, v33
.LBB58_164:                             ; =>This Inner Loop Header: Depth=1
	s_flbit_i32_b32 s28, s27
	s_min_u32 s30, s28, 32
	s_lshl_b64 s[28:29], s[26:27], s30
	s_min_u32 s28, s28, 1
	s_or_b32 s28, s29, s28
	v_cvt_f32_u32_e32 v38, s28
	s_sub_i32 s30, 32, s30
	s_add_u32 s26, s26, 1
	s_addc_u32 s27, s27, 0
	v_ldexp_f32 v38, v38, s30
	v_cmp_eq_u64_e32 vcc, s[26:27], v[36:37]
	v_mul_f32_e32 v38, v32, v38
	s_or_b64 s[24:25], vcc, s[24:25]
	v_mov_b32_e32 v32, v31
	v_fma_f32 v31, v33, v31, -v38
	s_andn2_b64 exec, exec, s[24:25]
	s_cbranch_execnz .LBB58_164
; %bb.165:
	s_or_b64 exec, exec, s[24:25]
.LBB58_166:
	s_or_b64 exec, exec, s[22:23]
.LBB58_167:
	s_andn2_saveexec_b64 s[20:21], s[20:21]
; %bb.168:
	v_mov_b32_e32 v31, v33
; %bb.169:
	s_or_b64 exec, exec, s[20:21]
.LBB58_170:
	s_or_b64 exec, exec, s[14:15]
.LBB58_171:
	s_or_b64 exec, exec, s[10:11]
	v_cvt_f32_f16_e32 v32, v49
	v_cvt_i32_f32_e32 v36, v32
	v_mov_b32_e32 v32, 0
	v_ashrrev_i32_e32 v37, 31, v36
	v_cmp_lt_i64_e32 vcc, -1, v[36:37]
	s_and_saveexec_b64 s[10:11], vcc
	s_cbranch_execz .LBB58_183
; %bb.172:
	v_cmp_lt_i64_e32 vcc, 0, v[36:37]
	v_mov_b32_e32 v32, 1.0
	s_and_saveexec_b64 s[14:15], vcc
	s_cbranch_execz .LBB58_182
; %bb.173:
	v_cmp_ne_u64_e32 vcc, 1, v[36:37]
	s_and_saveexec_b64 s[20:21], vcc
	s_xor_b64 s[20:21], exec, s[20:21]
	s_cbranch_execz .LBB58_179
; %bb.174:
	s_mov_b64 s[22:23], 0x81
	v_cmp_gt_u64_e32 vcc, s[22:23], v[36:37]
	v_mov_b32_e32 v32, 0x7fc00000
	s_and_saveexec_b64 s[22:23], vcc
	s_cbranch_execz .LBB58_178
; %bb.175:
	s_mov_b64 s[26:27], 1
	s_mov_b64 s[24:25], 0
	v_mov_b32_e32 v33, 1.0
	v_mov_b32_e32 v32, v34
.LBB58_176:                             ; =>This Inner Loop Header: Depth=1
	s_flbit_i32_b32 s28, s27
	s_min_u32 s30, s28, 32
	s_lshl_b64 s[28:29], s[26:27], s30
	s_min_u32 s28, s28, 1
	s_or_b32 s28, s29, s28
	v_cvt_f32_u32_e32 v38, s28
	s_sub_i32 s30, 32, s30
	s_add_u32 s26, s26, 1
	s_addc_u32 s27, s27, 0
	v_ldexp_f32 v38, v38, s30
	v_cmp_eq_u64_e32 vcc, s[26:27], v[36:37]
	v_mul_f32_e32 v38, v33, v38
	s_or_b64 s[24:25], vcc, s[24:25]
	v_mov_b32_e32 v33, v32
	v_fma_f32 v32, v34, v32, -v38
	s_andn2_b64 exec, exec, s[24:25]
	s_cbranch_execnz .LBB58_176
; %bb.177:
	s_or_b64 exec, exec, s[24:25]
.LBB58_178:
	s_or_b64 exec, exec, s[22:23]
.LBB58_179:
	s_andn2_saveexec_b64 s[20:21], s[20:21]
; %bb.180:
	v_mov_b32_e32 v32, v34
; %bb.181:
	s_or_b64 exec, exec, s[20:21]
.LBB58_182:
	s_or_b64 exec, exec, s[14:15]
.LBB58_183:
	s_or_b64 exec, exec, s[10:11]
	v_cvt_f32_f16_sdwa v33, v49 dst_sel:DWORD dst_unused:UNUSED_PAD src0_sel:WORD_1
	v_cvt_i32_f32_e32 v36, v33
	v_mov_b32_e32 v33, 0
	v_ashrrev_i32_e32 v37, 31, v36
	v_cmp_lt_i64_e32 vcc, -1, v[36:37]
	s_and_saveexec_b64 s[10:11], vcc
	s_cbranch_execz .LBB58_195
; %bb.184:
	v_cmp_lt_i64_e32 vcc, 0, v[36:37]
	v_mov_b32_e32 v33, 1.0
	s_and_saveexec_b64 s[14:15], vcc
	s_cbranch_execz .LBB58_194
; %bb.185:
	v_cmp_ne_u64_e32 vcc, 1, v[36:37]
	s_and_saveexec_b64 s[20:21], vcc
	s_xor_b64 s[20:21], exec, s[20:21]
	s_cbranch_execz .LBB58_191
; %bb.186:
	s_mov_b64 s[22:23], 0x81
	v_cmp_gt_u64_e32 vcc, s[22:23], v[36:37]
	v_mov_b32_e32 v33, 0x7fc00000
	s_and_saveexec_b64 s[22:23], vcc
	s_cbranch_execz .LBB58_190
; %bb.187:
	s_mov_b64 s[26:27], 1
	s_mov_b64 s[24:25], 0
	v_mov_b32_e32 v34, 1.0
	v_mov_b32_e32 v33, v35
.LBB58_188:                             ; =>This Inner Loop Header: Depth=1
	s_flbit_i32_b32 s28, s27
	s_min_u32 s30, s28, 32
	s_lshl_b64 s[28:29], s[26:27], s30
	s_min_u32 s28, s28, 1
	s_or_b32 s28, s29, s28
	v_cvt_f32_u32_e32 v38, s28
	s_sub_i32 s30, 32, s30
	s_add_u32 s26, s26, 1
	s_addc_u32 s27, s27, 0
	v_ldexp_f32 v38, v38, s30
	v_cmp_eq_u64_e32 vcc, s[26:27], v[36:37]
	v_mul_f32_e32 v38, v34, v38
	s_or_b64 s[24:25], vcc, s[24:25]
	v_mov_b32_e32 v34, v33
	v_fma_f32 v33, v35, v33, -v38
	s_andn2_b64 exec, exec, s[24:25]
	s_cbranch_execnz .LBB58_188
; %bb.189:
	s_or_b64 exec, exec, s[24:25]
.LBB58_190:
	s_or_b64 exec, exec, s[22:23]
                                        ; implicit-def: $vgpr35
.LBB58_191:
	s_andn2_saveexec_b64 s[20:21], s[20:21]
; %bb.192:
	v_mov_b32_e32 v33, v35
; %bb.193:
	s_or_b64 exec, exec, s[20:21]
.LBB58_194:
	s_or_b64 exec, exec, s[14:15]
.LBB58_195:
	s_or_b64 exec, exec, s[10:11]
	s_waitcnt vmcnt(3)
	v_cvt_f32_f16_e32 v34, v46
	v_cvt_i32_f32_e32 v36, v34
	v_mov_b32_e32 v34, 0
	v_ashrrev_i32_e32 v37, 31, v36
	v_cmp_lt_i64_e32 vcc, -1, v[36:37]
	s_and_saveexec_b64 s[10:11], vcc
	s_cbranch_execz .LBB58_207
; %bb.196:
	v_cmp_lt_i64_e32 vcc, 0, v[36:37]
	v_mov_b32_e32 v34, 1.0
	s_and_saveexec_b64 s[14:15], vcc
	s_cbranch_execz .LBB58_206
; %bb.197:
	v_cmp_ne_u64_e32 vcc, 1, v[36:37]
                                        ; implicit-def: $vgpr34
	s_and_saveexec_b64 s[20:21], vcc
	s_xor_b64 s[20:21], exec, s[20:21]
	s_cbranch_execz .LBB58_203
; %bb.198:
	s_mov_b64 s[22:23], 0x81
	v_cmp_gt_u64_e32 vcc, s[22:23], v[36:37]
	v_mov_b32_e32 v34, 0x7fc00000
	s_and_saveexec_b64 s[22:23], vcc
	s_cbranch_execz .LBB58_202
; %bb.199:
	s_mov_b64 s[26:27], 1
	s_mov_b64 s[24:25], 0
	v_mov_b32_e32 v35, 1.0
	v_mov_b32_e32 v34, v26
.LBB58_200:                             ; =>This Inner Loop Header: Depth=1
	s_flbit_i32_b32 s28, s27
	s_min_u32 s30, s28, 32
	s_lshl_b64 s[28:29], s[26:27], s30
	s_min_u32 s28, s28, 1
	s_or_b32 s28, s29, s28
	v_cvt_f32_u32_e32 v38, s28
	s_sub_i32 s30, 32, s30
	s_add_u32 s26, s26, 1
	s_addc_u32 s27, s27, 0
	v_ldexp_f32 v38, v38, s30
	v_cmp_eq_u64_e32 vcc, s[26:27], v[36:37]
	v_mul_f32_e32 v38, v35, v38
	s_or_b64 s[24:25], vcc, s[24:25]
	v_mov_b32_e32 v35, v34
	v_fma_f32 v34, v26, v34, -v38
	s_andn2_b64 exec, exec, s[24:25]
	s_cbranch_execnz .LBB58_200
; %bb.201:
	s_or_b64 exec, exec, s[24:25]
.LBB58_202:
	s_or_b64 exec, exec, s[22:23]
.LBB58_203:
	s_andn2_saveexec_b64 s[20:21], s[20:21]
; %bb.204:
	v_mov_b32_e32 v34, v26
; %bb.205:
	s_or_b64 exec, exec, s[20:21]
.LBB58_206:
	s_or_b64 exec, exec, s[14:15]
.LBB58_207:
	s_or_b64 exec, exec, s[10:11]
	v_cvt_f32_f16_sdwa v26, v46 dst_sel:DWORD dst_unused:UNUSED_PAD src0_sel:WORD_1
	v_mov_b32_e32 v35, 0
	v_cvt_i32_f32_e32 v36, v26
	v_ashrrev_i32_e32 v37, 31, v36
	v_cmp_lt_i64_e32 vcc, -1, v[36:37]
	s_and_saveexec_b64 s[10:11], vcc
	s_cbranch_execz .LBB58_219
; %bb.208:
	v_cmp_lt_i64_e32 vcc, 0, v[36:37]
	v_mov_b32_e32 v35, 1.0
	s_and_saveexec_b64 s[14:15], vcc
	s_cbranch_execz .LBB58_218
; %bb.209:
	v_cmp_ne_u64_e32 vcc, 1, v[36:37]
	s_and_saveexec_b64 s[20:21], vcc
	s_xor_b64 s[20:21], exec, s[20:21]
	s_cbranch_execz .LBB58_215
; %bb.210:
	s_mov_b64 s[22:23], 0x81
	v_cmp_gt_u64_e32 vcc, s[22:23], v[36:37]
	v_mov_b32_e32 v35, 0x7fc00000
	s_and_saveexec_b64 s[22:23], vcc
	s_cbranch_execz .LBB58_214
; %bb.211:
	s_mov_b64 s[26:27], 1
	s_mov_b64 s[24:25], 0
	v_mov_b32_e32 v26, 1.0
	v_mov_b32_e32 v35, v27
.LBB58_212:                             ; =>This Inner Loop Header: Depth=1
	s_flbit_i32_b32 s28, s27
	s_min_u32 s30, s28, 32
	s_lshl_b64 s[28:29], s[26:27], s30
	s_min_u32 s28, s28, 1
	s_or_b32 s28, s29, s28
	v_cvt_f32_u32_e32 v38, s28
	s_sub_i32 s30, 32, s30
	s_add_u32 s26, s26, 1
	s_addc_u32 s27, s27, 0
	v_ldexp_f32 v38, v38, s30
	v_cmp_eq_u64_e32 vcc, s[26:27], v[36:37]
	v_mul_f32_e32 v38, v26, v38
	s_or_b64 s[24:25], vcc, s[24:25]
	v_mov_b32_e32 v26, v35
	v_fma_f32 v35, v27, v35, -v38
	s_andn2_b64 exec, exec, s[24:25]
	s_cbranch_execnz .LBB58_212
; %bb.213:
	s_or_b64 exec, exec, s[24:25]
.LBB58_214:
	s_or_b64 exec, exec, s[22:23]
.LBB58_215:
	s_andn2_saveexec_b64 s[20:21], s[20:21]
; %bb.216:
	v_mov_b32_e32 v35, v27
; %bb.217:
	s_or_b64 exec, exec, s[20:21]
.LBB58_218:
	s_or_b64 exec, exec, s[14:15]
.LBB58_219:
	s_or_b64 exec, exec, s[10:11]
	v_cvt_f32_f16_e32 v26, v47
	v_mov_b32_e32 v36, 0
	v_cvt_i32_f32_e32 v26, v26
	v_ashrrev_i32_e32 v27, 31, v26
	v_cmp_lt_i64_e32 vcc, -1, v[26:27]
	s_and_saveexec_b64 s[10:11], vcc
	s_cbranch_execz .LBB58_231
; %bb.220:
	v_cmp_lt_i64_e32 vcc, 0, v[26:27]
	v_mov_b32_e32 v36, 1.0
	s_and_saveexec_b64 s[14:15], vcc
	s_cbranch_execz .LBB58_230
; %bb.221:
	v_cmp_ne_u64_e32 vcc, 1, v[26:27]
	s_and_saveexec_b64 s[20:21], vcc
	s_xor_b64 s[20:21], exec, s[20:21]
	s_cbranch_execz .LBB58_227
; %bb.222:
	s_mov_b64 s[22:23], 0x81
	v_cmp_gt_u64_e32 vcc, s[22:23], v[26:27]
	v_mov_b32_e32 v36, 0x7fc00000
	s_and_saveexec_b64 s[22:23], vcc
	s_cbranch_execz .LBB58_226
; %bb.223:
	s_mov_b64 s[26:27], 1
	s_mov_b64 s[24:25], 0
	v_mov_b32_e32 v37, 1.0
	v_mov_b32_e32 v36, v28
.LBB58_224:                             ; =>This Inner Loop Header: Depth=1
	s_flbit_i32_b32 s28, s27
	s_min_u32 s30, s28, 32
	s_lshl_b64 s[28:29], s[26:27], s30
	s_min_u32 s28, s28, 1
	s_or_b32 s28, s29, s28
	v_cvt_f32_u32_e32 v38, s28
	s_sub_i32 s30, 32, s30
	s_add_u32 s26, s26, 1
	s_addc_u32 s27, s27, 0
	v_ldexp_f32 v38, v38, s30
	v_cmp_eq_u64_e32 vcc, s[26:27], v[26:27]
	v_mul_f32_e32 v38, v37, v38
	s_or_b64 s[24:25], vcc, s[24:25]
	v_mov_b32_e32 v37, v36
	v_fma_f32 v36, v28, v36, -v38
	s_andn2_b64 exec, exec, s[24:25]
	s_cbranch_execnz .LBB58_224
; %bb.225:
	s_or_b64 exec, exec, s[24:25]
.LBB58_226:
	s_or_b64 exec, exec, s[22:23]
.LBB58_227:
	s_andn2_saveexec_b64 s[20:21], s[20:21]
; %bb.228:
	v_mov_b32_e32 v36, v28
; %bb.229:
	s_or_b64 exec, exec, s[20:21]
.LBB58_230:
	s_or_b64 exec, exec, s[14:15]
.LBB58_231:
	s_or_b64 exec, exec, s[10:11]
	v_cvt_f32_f16_sdwa v26, v47 dst_sel:DWORD dst_unused:UNUSED_PAD src0_sel:WORD_1
	v_mov_b32_e32 v37, 0
	v_cvt_i32_f32_e32 v26, v26
	v_ashrrev_i32_e32 v27, 31, v26
	v_cmp_lt_i64_e32 vcc, -1, v[26:27]
	s_and_saveexec_b64 s[10:11], vcc
	s_cbranch_execz .LBB58_243
; %bb.232:
	v_cmp_lt_i64_e32 vcc, 0, v[26:27]
	v_mov_b32_e32 v37, 1.0
	s_and_saveexec_b64 s[14:15], vcc
	s_cbranch_execz .LBB58_242
; %bb.233:
	v_cmp_ne_u64_e32 vcc, 1, v[26:27]
	s_and_saveexec_b64 s[20:21], vcc
	s_xor_b64 s[20:21], exec, s[20:21]
	s_cbranch_execz .LBB58_239
; %bb.234:
	s_mov_b64 s[22:23], 0x81
	v_cmp_gt_u64_e32 vcc, s[22:23], v[26:27]
	v_mov_b32_e32 v37, 0x7fc00000
	s_and_saveexec_b64 s[22:23], vcc
	s_cbranch_execz .LBB58_238
; %bb.235:
	s_mov_b64 s[26:27], 1
	s_mov_b64 s[24:25], 0
	v_mov_b32_e32 v28, 1.0
	v_mov_b32_e32 v37, v29
.LBB58_236:                             ; =>This Inner Loop Header: Depth=1
	s_flbit_i32_b32 s28, s27
	s_min_u32 s30, s28, 32
	s_lshl_b64 s[28:29], s[26:27], s30
	s_min_u32 s28, s28, 1
	s_or_b32 s28, s29, s28
	v_cvt_f32_u32_e32 v38, s28
	s_sub_i32 s30, 32, s30
	s_add_u32 s26, s26, 1
	s_addc_u32 s27, s27, 0
	v_ldexp_f32 v38, v38, s30
	v_cmp_eq_u64_e32 vcc, s[26:27], v[26:27]
	v_mul_f32_e32 v38, v28, v38
	s_or_b64 s[24:25], vcc, s[24:25]
	v_mov_b32_e32 v28, v37
	v_fma_f32 v37, v29, v37, -v38
	s_andn2_b64 exec, exec, s[24:25]
	s_cbranch_execnz .LBB58_236
; %bb.237:
	s_or_b64 exec, exec, s[24:25]
.LBB58_238:
	s_or_b64 exec, exec, s[22:23]
                                        ; implicit-def: $vgpr29
.LBB58_239:
	s_andn2_saveexec_b64 s[20:21], s[20:21]
; %bb.240:
	v_mov_b32_e32 v37, v29
; %bb.241:
	s_or_b64 exec, exec, s[20:21]
.LBB58_242:
	s_or_b64 exec, exec, s[14:15]
.LBB58_243:
	s_or_b64 exec, exec, s[10:11]
	s_waitcnt vmcnt(2)
	v_cvt_f32_f16_e32 v26, v44
	v_cvt_i32_f32_e32 v28, v26
	v_mov_b32_e32 v26, 0
	v_ashrrev_i32_e32 v29, 31, v28
	v_cmp_lt_i64_e32 vcc, -1, v[28:29]
	s_and_saveexec_b64 s[10:11], vcc
	s_cbranch_execz .LBB58_255
; %bb.244:
	v_cmp_lt_i64_e32 vcc, 0, v[28:29]
	v_mov_b32_e32 v26, 1.0
	s_and_saveexec_b64 s[14:15], vcc
	s_cbranch_execz .LBB58_254
; %bb.245:
	v_cmp_ne_u64_e32 vcc, 1, v[28:29]
                                        ; implicit-def: $vgpr26
	s_and_saveexec_b64 s[20:21], vcc
	s_xor_b64 s[20:21], exec, s[20:21]
	s_cbranch_execz .LBB58_251
; %bb.246:
	s_mov_b64 s[22:23], 0x81
	v_cmp_gt_u64_e32 vcc, s[22:23], v[28:29]
	v_mov_b32_e32 v26, 0x7fc00000
	s_and_saveexec_b64 s[22:23], vcc
	s_cbranch_execz .LBB58_250
; %bb.247:
	s_mov_b64 s[26:27], 1
	s_mov_b64 s[24:25], 0
	v_mov_b32_e32 v27, 1.0
	v_mov_b32_e32 v26, v18
.LBB58_248:                             ; =>This Inner Loop Header: Depth=1
	s_flbit_i32_b32 s28, s27
	s_min_u32 s30, s28, 32
	s_lshl_b64 s[28:29], s[26:27], s30
	s_min_u32 s28, s28, 1
	s_or_b32 s28, s29, s28
	v_cvt_f32_u32_e32 v38, s28
	s_sub_i32 s30, 32, s30
	s_add_u32 s26, s26, 1
	s_addc_u32 s27, s27, 0
	v_ldexp_f32 v38, v38, s30
	v_cmp_eq_u64_e32 vcc, s[26:27], v[28:29]
	v_mul_f32_e32 v38, v27, v38
	s_or_b64 s[24:25], vcc, s[24:25]
	v_mov_b32_e32 v27, v26
	v_fma_f32 v26, v18, v26, -v38
	s_andn2_b64 exec, exec, s[24:25]
	s_cbranch_execnz .LBB58_248
; %bb.249:
	s_or_b64 exec, exec, s[24:25]
.LBB58_250:
	s_or_b64 exec, exec, s[22:23]
.LBB58_251:
	s_andn2_saveexec_b64 s[20:21], s[20:21]
; %bb.252:
	v_mov_b32_e32 v26, v18
; %bb.253:
	s_or_b64 exec, exec, s[20:21]
.LBB58_254:
	s_or_b64 exec, exec, s[14:15]
.LBB58_255:
	s_or_b64 exec, exec, s[10:11]
	v_cvt_f32_f16_sdwa v18, v44 dst_sel:DWORD dst_unused:UNUSED_PAD src0_sel:WORD_1
	v_mov_b32_e32 v27, 0
	v_cvt_i32_f32_e32 v28, v18
	v_ashrrev_i32_e32 v29, 31, v28
	v_cmp_lt_i64_e32 vcc, -1, v[28:29]
	s_and_saveexec_b64 s[10:11], vcc
	s_cbranch_execz .LBB58_267
; %bb.256:
	v_cmp_lt_i64_e32 vcc, 0, v[28:29]
	v_mov_b32_e32 v27, 1.0
	s_and_saveexec_b64 s[14:15], vcc
	s_cbranch_execz .LBB58_266
; %bb.257:
	v_cmp_ne_u64_e32 vcc, 1, v[28:29]
	s_and_saveexec_b64 s[20:21], vcc
	s_xor_b64 s[20:21], exec, s[20:21]
	s_cbranch_execz .LBB58_263
; %bb.258:
	s_mov_b64 s[22:23], 0x81
	v_cmp_gt_u64_e32 vcc, s[22:23], v[28:29]
	v_mov_b32_e32 v27, 0x7fc00000
	s_and_saveexec_b64 s[22:23], vcc
	s_cbranch_execz .LBB58_262
; %bb.259:
	s_mov_b64 s[26:27], 1
	s_mov_b64 s[24:25], 0
	v_mov_b32_e32 v18, 1.0
	v_mov_b32_e32 v27, v19
.LBB58_260:                             ; =>This Inner Loop Header: Depth=1
	s_flbit_i32_b32 s28, s27
	s_min_u32 s30, s28, 32
	s_lshl_b64 s[28:29], s[26:27], s30
	s_min_u32 s28, s28, 1
	s_or_b32 s28, s29, s28
	v_cvt_f32_u32_e32 v38, s28
	s_sub_i32 s30, 32, s30
	s_add_u32 s26, s26, 1
	s_addc_u32 s27, s27, 0
	v_ldexp_f32 v38, v38, s30
	v_cmp_eq_u64_e32 vcc, s[26:27], v[28:29]
	v_mul_f32_e32 v38, v18, v38
	s_or_b64 s[24:25], vcc, s[24:25]
	v_mov_b32_e32 v18, v27
	v_fma_f32 v27, v19, v27, -v38
	s_andn2_b64 exec, exec, s[24:25]
	s_cbranch_execnz .LBB58_260
; %bb.261:
	s_or_b64 exec, exec, s[24:25]
.LBB58_262:
	s_or_b64 exec, exec, s[22:23]
.LBB58_263:
	s_andn2_saveexec_b64 s[20:21], s[20:21]
; %bb.264:
	v_mov_b32_e32 v27, v19
; %bb.265:
	s_or_b64 exec, exec, s[20:21]
.LBB58_266:
	s_or_b64 exec, exec, s[14:15]
.LBB58_267:
	s_or_b64 exec, exec, s[10:11]
	v_cvt_f32_f16_e32 v18, v45
	v_mov_b32_e32 v28, 0
	v_cvt_i32_f32_e32 v18, v18
	v_ashrrev_i32_e32 v19, 31, v18
	v_cmp_lt_i64_e32 vcc, -1, v[18:19]
	s_and_saveexec_b64 s[10:11], vcc
	s_cbranch_execz .LBB58_279
; %bb.268:
	v_cmp_lt_i64_e32 vcc, 0, v[18:19]
	v_mov_b32_e32 v28, 1.0
	s_and_saveexec_b64 s[14:15], vcc
	s_cbranch_execz .LBB58_278
; %bb.269:
	v_cmp_ne_u64_e32 vcc, 1, v[18:19]
	s_and_saveexec_b64 s[20:21], vcc
	s_xor_b64 s[20:21], exec, s[20:21]
	s_cbranch_execz .LBB58_275
; %bb.270:
	s_mov_b64 s[22:23], 0x81
	v_cmp_gt_u64_e32 vcc, s[22:23], v[18:19]
	v_mov_b32_e32 v28, 0x7fc00000
	s_and_saveexec_b64 s[22:23], vcc
	s_cbranch_execz .LBB58_274
; %bb.271:
	s_mov_b64 s[26:27], 1
	s_mov_b64 s[24:25], 0
	v_mov_b32_e32 v29, 1.0
	v_mov_b32_e32 v28, v20
.LBB58_272:                             ; =>This Inner Loop Header: Depth=1
	s_flbit_i32_b32 s28, s27
	s_min_u32 s30, s28, 32
	s_lshl_b64 s[28:29], s[26:27], s30
	s_min_u32 s28, s28, 1
	s_or_b32 s28, s29, s28
	v_cvt_f32_u32_e32 v38, s28
	s_sub_i32 s30, 32, s30
	s_add_u32 s26, s26, 1
	s_addc_u32 s27, s27, 0
	v_ldexp_f32 v38, v38, s30
	v_cmp_eq_u64_e32 vcc, s[26:27], v[18:19]
	v_mul_f32_e32 v38, v29, v38
	s_or_b64 s[24:25], vcc, s[24:25]
	v_mov_b32_e32 v29, v28
	v_fma_f32 v28, v20, v28, -v38
	s_andn2_b64 exec, exec, s[24:25]
	s_cbranch_execnz .LBB58_272
; %bb.273:
	s_or_b64 exec, exec, s[24:25]
.LBB58_274:
	s_or_b64 exec, exec, s[22:23]
.LBB58_275:
	s_andn2_saveexec_b64 s[20:21], s[20:21]
; %bb.276:
	v_mov_b32_e32 v28, v20
; %bb.277:
	s_or_b64 exec, exec, s[20:21]
.LBB58_278:
	s_or_b64 exec, exec, s[14:15]
.LBB58_279:
	s_or_b64 exec, exec, s[10:11]
	v_cvt_f32_f16_sdwa v18, v45 dst_sel:DWORD dst_unused:UNUSED_PAD src0_sel:WORD_1
	v_mov_b32_e32 v29, 0
	v_cvt_i32_f32_e32 v18, v18
	v_ashrrev_i32_e32 v19, 31, v18
	v_cmp_lt_i64_e32 vcc, -1, v[18:19]
	s_and_saveexec_b64 s[10:11], vcc
	s_cbranch_execz .LBB58_291
; %bb.280:
	v_cmp_lt_i64_e32 vcc, 0, v[18:19]
	v_mov_b32_e32 v29, 1.0
	s_and_saveexec_b64 s[14:15], vcc
	s_cbranch_execz .LBB58_290
; %bb.281:
	v_cmp_ne_u64_e32 vcc, 1, v[18:19]
	s_and_saveexec_b64 s[20:21], vcc
	s_xor_b64 s[20:21], exec, s[20:21]
	s_cbranch_execz .LBB58_287
; %bb.282:
	s_mov_b64 s[22:23], 0x81
	v_cmp_gt_u64_e32 vcc, s[22:23], v[18:19]
	v_mov_b32_e32 v29, 0x7fc00000
	s_and_saveexec_b64 s[22:23], vcc
	s_cbranch_execz .LBB58_286
; %bb.283:
	s_mov_b64 s[26:27], 1
	s_mov_b64 s[24:25], 0
	v_mov_b32_e32 v20, 1.0
	v_mov_b32_e32 v29, v21
.LBB58_284:                             ; =>This Inner Loop Header: Depth=1
	s_flbit_i32_b32 s28, s27
	s_min_u32 s30, s28, 32
	s_lshl_b64 s[28:29], s[26:27], s30
	s_min_u32 s28, s28, 1
	s_or_b32 s28, s29, s28
	v_cvt_f32_u32_e32 v38, s28
	s_sub_i32 s30, 32, s30
	s_add_u32 s26, s26, 1
	s_addc_u32 s27, s27, 0
	v_ldexp_f32 v38, v38, s30
	v_cmp_eq_u64_e32 vcc, s[26:27], v[18:19]
	v_mul_f32_e32 v38, v20, v38
	s_or_b64 s[24:25], vcc, s[24:25]
	v_mov_b32_e32 v20, v29
	v_fma_f32 v29, v21, v29, -v38
	s_andn2_b64 exec, exec, s[24:25]
	s_cbranch_execnz .LBB58_284
; %bb.285:
	s_or_b64 exec, exec, s[24:25]
.LBB58_286:
	s_or_b64 exec, exec, s[22:23]
                                        ; implicit-def: $vgpr21
.LBB58_287:
	s_andn2_saveexec_b64 s[20:21], s[20:21]
; %bb.288:
	v_mov_b32_e32 v29, v21
; %bb.289:
	s_or_b64 exec, exec, s[20:21]
.LBB58_290:
	s_or_b64 exec, exec, s[14:15]
.LBB58_291:
	s_or_b64 exec, exec, s[10:11]
	s_waitcnt vmcnt(1)
	v_cvt_f32_f16_e32 v18, v42
	v_cvt_i32_f32_e32 v20, v18
	v_mov_b32_e32 v18, 0
	v_ashrrev_i32_e32 v21, 31, v20
	v_cmp_lt_i64_e32 vcc, -1, v[20:21]
	s_and_saveexec_b64 s[10:11], vcc
	s_cbranch_execz .LBB58_303
; %bb.292:
	v_cmp_lt_i64_e32 vcc, 0, v[20:21]
	v_mov_b32_e32 v18, 1.0
	s_and_saveexec_b64 s[14:15], vcc
	s_cbranch_execz .LBB58_302
; %bb.293:
	v_cmp_ne_u64_e32 vcc, 1, v[20:21]
                                        ; implicit-def: $vgpr18
	s_and_saveexec_b64 s[20:21], vcc
	s_xor_b64 s[20:21], exec, s[20:21]
	s_cbranch_execz .LBB58_299
; %bb.294:
	s_mov_b64 s[22:23], 0x81
	v_cmp_gt_u64_e32 vcc, s[22:23], v[20:21]
	v_mov_b32_e32 v18, 0x7fc00000
	s_and_saveexec_b64 s[22:23], vcc
	s_cbranch_execz .LBB58_298
; %bb.295:
	s_mov_b64 s[26:27], 1
	s_mov_b64 s[24:25], 0
	v_mov_b32_e32 v19, 1.0
	v_mov_b32_e32 v18, v10
.LBB58_296:                             ; =>This Inner Loop Header: Depth=1
	s_flbit_i32_b32 s28, s27
	s_min_u32 s30, s28, 32
	s_lshl_b64 s[28:29], s[26:27], s30
	s_min_u32 s28, s28, 1
	s_or_b32 s28, s29, s28
	v_cvt_f32_u32_e32 v38, s28
	s_sub_i32 s30, 32, s30
	s_add_u32 s26, s26, 1
	s_addc_u32 s27, s27, 0
	v_ldexp_f32 v38, v38, s30
	v_cmp_eq_u64_e32 vcc, s[26:27], v[20:21]
	v_mul_f32_e32 v38, v19, v38
	s_or_b64 s[24:25], vcc, s[24:25]
	v_mov_b32_e32 v19, v18
	v_fma_f32 v18, v10, v18, -v38
	s_andn2_b64 exec, exec, s[24:25]
	s_cbranch_execnz .LBB58_296
; %bb.297:
	s_or_b64 exec, exec, s[24:25]
.LBB58_298:
	s_or_b64 exec, exec, s[22:23]
.LBB58_299:
	s_andn2_saveexec_b64 s[20:21], s[20:21]
; %bb.300:
	v_mov_b32_e32 v18, v10
; %bb.301:
	s_or_b64 exec, exec, s[20:21]
.LBB58_302:
	s_or_b64 exec, exec, s[14:15]
.LBB58_303:
	s_or_b64 exec, exec, s[10:11]
	v_cvt_f32_f16_sdwa v10, v42 dst_sel:DWORD dst_unused:UNUSED_PAD src0_sel:WORD_1
	v_mov_b32_e32 v19, 0
	v_cvt_i32_f32_e32 v20, v10
	v_ashrrev_i32_e32 v21, 31, v20
	v_cmp_lt_i64_e32 vcc, -1, v[20:21]
	s_and_saveexec_b64 s[10:11], vcc
	s_cbranch_execz .LBB58_315
; %bb.304:
	v_cmp_lt_i64_e32 vcc, 0, v[20:21]
	v_mov_b32_e32 v19, 1.0
	s_and_saveexec_b64 s[14:15], vcc
	s_cbranch_execz .LBB58_314
; %bb.305:
	v_cmp_ne_u64_e32 vcc, 1, v[20:21]
	s_and_saveexec_b64 s[20:21], vcc
	s_xor_b64 s[20:21], exec, s[20:21]
	s_cbranch_execz .LBB58_311
; %bb.306:
	s_mov_b64 s[22:23], 0x81
	v_cmp_gt_u64_e32 vcc, s[22:23], v[20:21]
	v_mov_b32_e32 v19, 0x7fc00000
	s_and_saveexec_b64 s[22:23], vcc
	s_cbranch_execz .LBB58_310
; %bb.307:
	s_mov_b64 s[26:27], 1
	s_mov_b64 s[24:25], 0
	v_mov_b32_e32 v10, 1.0
	v_mov_b32_e32 v19, v11
.LBB58_308:                             ; =>This Inner Loop Header: Depth=1
	s_flbit_i32_b32 s28, s27
	s_min_u32 s30, s28, 32
	s_lshl_b64 s[28:29], s[26:27], s30
	s_min_u32 s28, s28, 1
	s_or_b32 s28, s29, s28
	v_cvt_f32_u32_e32 v38, s28
	s_sub_i32 s30, 32, s30
	s_add_u32 s26, s26, 1
	s_addc_u32 s27, s27, 0
	v_ldexp_f32 v38, v38, s30
	v_cmp_eq_u64_e32 vcc, s[26:27], v[20:21]
	v_mul_f32_e32 v38, v10, v38
	s_or_b64 s[24:25], vcc, s[24:25]
	v_mov_b32_e32 v10, v19
	v_fma_f32 v19, v11, v19, -v38
	s_andn2_b64 exec, exec, s[24:25]
	s_cbranch_execnz .LBB58_308
; %bb.309:
	s_or_b64 exec, exec, s[24:25]
.LBB58_310:
	s_or_b64 exec, exec, s[22:23]
.LBB58_311:
	s_andn2_saveexec_b64 s[20:21], s[20:21]
; %bb.312:
	v_mov_b32_e32 v19, v11
; %bb.313:
	s_or_b64 exec, exec, s[20:21]
.LBB58_314:
	s_or_b64 exec, exec, s[14:15]
.LBB58_315:
	s_or_b64 exec, exec, s[10:11]
	v_cvt_f32_f16_e32 v10, v43
	v_mov_b32_e32 v20, 0
	v_cvt_i32_f32_e32 v10, v10
	v_ashrrev_i32_e32 v11, 31, v10
	v_cmp_lt_i64_e32 vcc, -1, v[10:11]
	s_and_saveexec_b64 s[10:11], vcc
	s_cbranch_execz .LBB58_327
; %bb.316:
	v_cmp_lt_i64_e32 vcc, 0, v[10:11]
	v_mov_b32_e32 v20, 1.0
	s_and_saveexec_b64 s[14:15], vcc
	s_cbranch_execz .LBB58_326
; %bb.317:
	v_cmp_ne_u64_e32 vcc, 1, v[10:11]
	s_and_saveexec_b64 s[20:21], vcc
	s_xor_b64 s[20:21], exec, s[20:21]
	s_cbranch_execz .LBB58_323
; %bb.318:
	s_mov_b64 s[22:23], 0x81
	v_cmp_gt_u64_e32 vcc, s[22:23], v[10:11]
	v_mov_b32_e32 v20, 0x7fc00000
	s_and_saveexec_b64 s[22:23], vcc
	s_cbranch_execz .LBB58_322
; %bb.319:
	s_mov_b64 s[26:27], 1
	s_mov_b64 s[24:25], 0
	v_mov_b32_e32 v21, 1.0
	v_mov_b32_e32 v20, v12
.LBB58_320:                             ; =>This Inner Loop Header: Depth=1
	s_flbit_i32_b32 s28, s27
	s_min_u32 s30, s28, 32
	s_lshl_b64 s[28:29], s[26:27], s30
	s_min_u32 s28, s28, 1
	s_or_b32 s28, s29, s28
	v_cvt_f32_u32_e32 v38, s28
	s_sub_i32 s30, 32, s30
	s_add_u32 s26, s26, 1
	s_addc_u32 s27, s27, 0
	v_ldexp_f32 v38, v38, s30
	v_cmp_eq_u64_e32 vcc, s[26:27], v[10:11]
	v_mul_f32_e32 v38, v21, v38
	s_or_b64 s[24:25], vcc, s[24:25]
	v_mov_b32_e32 v21, v20
	v_fma_f32 v20, v12, v20, -v38
	s_andn2_b64 exec, exec, s[24:25]
	s_cbranch_execnz .LBB58_320
; %bb.321:
	s_or_b64 exec, exec, s[24:25]
.LBB58_322:
	s_or_b64 exec, exec, s[22:23]
.LBB58_323:
	s_andn2_saveexec_b64 s[20:21], s[20:21]
; %bb.324:
	v_mov_b32_e32 v20, v12
; %bb.325:
	s_or_b64 exec, exec, s[20:21]
.LBB58_326:
	s_or_b64 exec, exec, s[14:15]
.LBB58_327:
	s_or_b64 exec, exec, s[10:11]
	v_cvt_f32_f16_sdwa v10, v43 dst_sel:DWORD dst_unused:UNUSED_PAD src0_sel:WORD_1
	v_mov_b32_e32 v21, 0
	v_cvt_i32_f32_e32 v10, v10
	v_ashrrev_i32_e32 v11, 31, v10
	v_cmp_lt_i64_e32 vcc, -1, v[10:11]
	s_and_saveexec_b64 s[10:11], vcc
	s_cbranch_execz .LBB58_339
; %bb.328:
	v_cmp_lt_i64_e32 vcc, 0, v[10:11]
	v_mov_b32_e32 v21, 1.0
	s_and_saveexec_b64 s[14:15], vcc
	s_cbranch_execz .LBB58_338
; %bb.329:
	v_cmp_ne_u64_e32 vcc, 1, v[10:11]
	s_and_saveexec_b64 s[20:21], vcc
	s_xor_b64 s[20:21], exec, s[20:21]
	s_cbranch_execz .LBB58_335
; %bb.330:
	s_mov_b64 s[22:23], 0x81
	v_cmp_gt_u64_e32 vcc, s[22:23], v[10:11]
	v_mov_b32_e32 v21, 0x7fc00000
	s_and_saveexec_b64 s[22:23], vcc
	s_cbranch_execz .LBB58_334
; %bb.331:
	s_mov_b64 s[26:27], 1
	s_mov_b64 s[24:25], 0
	v_mov_b32_e32 v12, 1.0
	v_mov_b32_e32 v21, v13
.LBB58_332:                             ; =>This Inner Loop Header: Depth=1
	s_flbit_i32_b32 s28, s27
	s_min_u32 s30, s28, 32
	s_lshl_b64 s[28:29], s[26:27], s30
	s_min_u32 s28, s28, 1
	s_or_b32 s28, s29, s28
	v_cvt_f32_u32_e32 v38, s28
	s_sub_i32 s30, 32, s30
	s_add_u32 s26, s26, 1
	s_addc_u32 s27, s27, 0
	v_ldexp_f32 v38, v38, s30
	v_cmp_eq_u64_e32 vcc, s[26:27], v[10:11]
	v_mul_f32_e32 v38, v12, v38
	s_or_b64 s[24:25], vcc, s[24:25]
	v_mov_b32_e32 v12, v21
	v_fma_f32 v21, v13, v21, -v38
	s_andn2_b64 exec, exec, s[24:25]
	s_cbranch_execnz .LBB58_332
; %bb.333:
	s_or_b64 exec, exec, s[24:25]
.LBB58_334:
	s_or_b64 exec, exec, s[22:23]
                                        ; implicit-def: $vgpr13
.LBB58_335:
	s_andn2_saveexec_b64 s[20:21], s[20:21]
; %bb.336:
	v_mov_b32_e32 v21, v13
; %bb.337:
	s_or_b64 exec, exec, s[20:21]
.LBB58_338:
	s_or_b64 exec, exec, s[14:15]
.LBB58_339:
	s_or_b64 exec, exec, s[10:11]
	s_waitcnt vmcnt(0)
	v_cvt_f32_f16_e32 v10, v40
	v_cvt_i32_f32_e32 v12, v10
	v_mov_b32_e32 v10, 0
	v_ashrrev_i32_e32 v13, 31, v12
	v_cmp_lt_i64_e32 vcc, -1, v[12:13]
	s_and_saveexec_b64 s[10:11], vcc
	s_cbranch_execz .LBB58_351
; %bb.340:
	v_cmp_lt_i64_e32 vcc, 0, v[12:13]
	v_mov_b32_e32 v10, 1.0
	s_and_saveexec_b64 s[14:15], vcc
	s_cbranch_execz .LBB58_350
; %bb.341:
	v_cmp_ne_u64_e32 vcc, 1, v[12:13]
                                        ; implicit-def: $vgpr10
	s_and_saveexec_b64 s[20:21], vcc
	s_xor_b64 s[20:21], exec, s[20:21]
	s_cbranch_execz .LBB58_347
; %bb.342:
	s_mov_b64 s[22:23], 0x81
	v_cmp_gt_u64_e32 vcc, s[22:23], v[12:13]
	v_mov_b32_e32 v10, 0x7fc00000
	s_and_saveexec_b64 s[22:23], vcc
	s_cbranch_execz .LBB58_346
; %bb.343:
	s_mov_b64 s[26:27], 1
	s_mov_b64 s[24:25], 0
	v_mov_b32_e32 v11, 1.0
	v_mov_b32_e32 v10, v2
.LBB58_344:                             ; =>This Inner Loop Header: Depth=1
	s_flbit_i32_b32 s28, s27
	s_min_u32 s30, s28, 32
	s_lshl_b64 s[28:29], s[26:27], s30
	s_min_u32 s28, s28, 1
	s_or_b32 s28, s29, s28
	v_cvt_f32_u32_e32 v38, s28
	s_sub_i32 s30, 32, s30
	s_add_u32 s26, s26, 1
	s_addc_u32 s27, s27, 0
	v_ldexp_f32 v38, v38, s30
	v_cmp_eq_u64_e32 vcc, s[26:27], v[12:13]
	v_mul_f32_e32 v38, v11, v38
	s_or_b64 s[24:25], vcc, s[24:25]
	v_mov_b32_e32 v11, v10
	v_fma_f32 v10, v2, v10, -v38
	s_andn2_b64 exec, exec, s[24:25]
	s_cbranch_execnz .LBB58_344
; %bb.345:
	s_or_b64 exec, exec, s[24:25]
.LBB58_346:
	s_or_b64 exec, exec, s[22:23]
.LBB58_347:
	s_andn2_saveexec_b64 s[20:21], s[20:21]
; %bb.348:
	v_mov_b32_e32 v10, v2
; %bb.349:
	s_or_b64 exec, exec, s[20:21]
.LBB58_350:
	s_or_b64 exec, exec, s[14:15]
.LBB58_351:
	s_or_b64 exec, exec, s[10:11]
	v_cvt_f32_f16_sdwa v2, v40 dst_sel:DWORD dst_unused:UNUSED_PAD src0_sel:WORD_1
	v_mov_b32_e32 v11, 0
	v_cvt_i32_f32_e32 v12, v2
	v_ashrrev_i32_e32 v13, 31, v12
	v_cmp_lt_i64_e32 vcc, -1, v[12:13]
	s_and_saveexec_b64 s[10:11], vcc
	s_cbranch_execz .LBB58_363
; %bb.352:
	v_cmp_lt_i64_e32 vcc, 0, v[12:13]
	v_mov_b32_e32 v11, 1.0
	s_and_saveexec_b64 s[14:15], vcc
	s_cbranch_execz .LBB58_362
; %bb.353:
	v_cmp_ne_u64_e32 vcc, 1, v[12:13]
	s_and_saveexec_b64 s[20:21], vcc
	s_xor_b64 s[20:21], exec, s[20:21]
	s_cbranch_execz .LBB58_359
; %bb.354:
	s_mov_b64 s[22:23], 0x81
	v_cmp_gt_u64_e32 vcc, s[22:23], v[12:13]
	v_mov_b32_e32 v11, 0x7fc00000
	s_and_saveexec_b64 s[22:23], vcc
	s_cbranch_execz .LBB58_358
; %bb.355:
	s_mov_b64 s[26:27], 1
	s_mov_b64 s[24:25], 0
	v_mov_b32_e32 v2, 1.0
	v_mov_b32_e32 v11, v3
.LBB58_356:                             ; =>This Inner Loop Header: Depth=1
	s_flbit_i32_b32 s28, s27
	s_min_u32 s30, s28, 32
	s_lshl_b64 s[28:29], s[26:27], s30
	s_min_u32 s28, s28, 1
	s_or_b32 s28, s29, s28
	v_cvt_f32_u32_e32 v38, s28
	s_sub_i32 s30, 32, s30
	s_add_u32 s26, s26, 1
	s_addc_u32 s27, s27, 0
	v_ldexp_f32 v38, v38, s30
	v_cmp_eq_u64_e32 vcc, s[26:27], v[12:13]
	v_mul_f32_e32 v38, v2, v38
	s_or_b64 s[24:25], vcc, s[24:25]
	v_mov_b32_e32 v2, v11
	v_fma_f32 v11, v3, v11, -v38
	s_andn2_b64 exec, exec, s[24:25]
	s_cbranch_execnz .LBB58_356
; %bb.357:
	s_or_b64 exec, exec, s[24:25]
.LBB58_358:
	s_or_b64 exec, exec, s[22:23]
.LBB58_359:
	s_andn2_saveexec_b64 s[20:21], s[20:21]
; %bb.360:
	v_mov_b32_e32 v11, v3
; %bb.361:
	s_or_b64 exec, exec, s[20:21]
.LBB58_362:
	s_or_b64 exec, exec, s[14:15]
.LBB58_363:
	s_or_b64 exec, exec, s[10:11]
	v_cvt_f32_f16_e32 v2, v41
	v_mov_b32_e32 v12, 0
	v_cvt_i32_f32_e32 v2, v2
	v_ashrrev_i32_e32 v3, 31, v2
	v_cmp_lt_i64_e32 vcc, -1, v[2:3]
	s_and_saveexec_b64 s[10:11], vcc
	s_cbranch_execz .LBB58_375
; %bb.364:
	v_cmp_lt_i64_e32 vcc, 0, v[2:3]
	v_mov_b32_e32 v12, 1.0
	s_and_saveexec_b64 s[14:15], vcc
	s_cbranch_execz .LBB58_374
; %bb.365:
	v_cmp_ne_u64_e32 vcc, 1, v[2:3]
	s_and_saveexec_b64 s[20:21], vcc
	s_xor_b64 s[20:21], exec, s[20:21]
	s_cbranch_execz .LBB58_371
; %bb.366:
	s_mov_b64 s[22:23], 0x81
	v_cmp_gt_u64_e32 vcc, s[22:23], v[2:3]
	v_mov_b32_e32 v12, 0x7fc00000
	s_and_saveexec_b64 s[22:23], vcc
	s_cbranch_execz .LBB58_370
; %bb.367:
	s_mov_b64 s[26:27], 1
	s_mov_b64 s[24:25], 0
	v_mov_b32_e32 v13, 1.0
	v_mov_b32_e32 v12, v4
.LBB58_368:                             ; =>This Inner Loop Header: Depth=1
	s_flbit_i32_b32 s28, s27
	s_min_u32 s30, s28, 32
	s_lshl_b64 s[28:29], s[26:27], s30
	s_min_u32 s28, s28, 1
	s_or_b32 s28, s29, s28
	v_cvt_f32_u32_e32 v38, s28
	s_sub_i32 s30, 32, s30
	s_add_u32 s26, s26, 1
	s_addc_u32 s27, s27, 0
	v_ldexp_f32 v38, v38, s30
	v_cmp_eq_u64_e32 vcc, s[26:27], v[2:3]
	v_mul_f32_e32 v38, v13, v38
	s_or_b64 s[24:25], vcc, s[24:25]
	v_mov_b32_e32 v13, v12
	v_fma_f32 v12, v4, v12, -v38
	s_andn2_b64 exec, exec, s[24:25]
	s_cbranch_execnz .LBB58_368
; %bb.369:
	s_or_b64 exec, exec, s[24:25]
.LBB58_370:
	s_or_b64 exec, exec, s[22:23]
.LBB58_371:
	s_andn2_saveexec_b64 s[20:21], s[20:21]
; %bb.372:
	v_mov_b32_e32 v12, v4
; %bb.373:
	s_or_b64 exec, exec, s[20:21]
.LBB58_374:
	s_or_b64 exec, exec, s[14:15]
.LBB58_375:
	s_or_b64 exec, exec, s[10:11]
	v_cvt_f32_f16_sdwa v2, v41 dst_sel:DWORD dst_unused:UNUSED_PAD src0_sel:WORD_1
	v_mov_b32_e32 v13, 0
	v_cvt_i32_f32_e32 v2, v2
	v_ashrrev_i32_e32 v3, 31, v2
	v_cmp_lt_i64_e32 vcc, -1, v[2:3]
	s_and_saveexec_b64 s[10:11], vcc
	s_cbranch_execz .LBB58_387
; %bb.376:
	v_cmp_lt_i64_e32 vcc, 0, v[2:3]
	v_mov_b32_e32 v13, 1.0
	s_and_saveexec_b64 s[14:15], vcc
	s_cbranch_execz .LBB58_386
; %bb.377:
	v_cmp_ne_u64_e32 vcc, 1, v[2:3]
	s_and_saveexec_b64 s[20:21], vcc
	s_xor_b64 s[20:21], exec, s[20:21]
	s_cbranch_execz .LBB58_383
; %bb.378:
	s_mov_b64 s[22:23], 0x81
	v_cmp_gt_u64_e32 vcc, s[22:23], v[2:3]
	v_mov_b32_e32 v13, 0x7fc00000
	s_and_saveexec_b64 s[22:23], vcc
	s_cbranch_execz .LBB58_382
; %bb.379:
	s_mov_b64 s[26:27], 1
	s_mov_b64 s[24:25], 0
	v_mov_b32_e32 v4, 1.0
	v_mov_b32_e32 v13, v5
.LBB58_380:                             ; =>This Inner Loop Header: Depth=1
	s_flbit_i32_b32 s28, s27
	s_min_u32 s30, s28, 32
	s_lshl_b64 s[28:29], s[26:27], s30
	s_min_u32 s28, s28, 1
	s_or_b32 s28, s29, s28
	v_cvt_f32_u32_e32 v38, s28
	s_sub_i32 s30, 32, s30
	s_add_u32 s26, s26, 1
	s_addc_u32 s27, s27, 0
	v_ldexp_f32 v38, v38, s30
	v_cmp_eq_u64_e32 vcc, s[26:27], v[2:3]
	v_mul_f32_e32 v38, v4, v38
	s_or_b64 s[24:25], vcc, s[24:25]
	v_mov_b32_e32 v4, v13
	v_fma_f32 v13, v5, v13, -v38
	s_andn2_b64 exec, exec, s[24:25]
	s_cbranch_execnz .LBB58_380
; %bb.381:
	s_or_b64 exec, exec, s[24:25]
.LBB58_382:
	s_or_b64 exec, exec, s[22:23]
                                        ; implicit-def: $vgpr5
.LBB58_383:
	s_andn2_saveexec_b64 s[20:21], s[20:21]
; %bb.384:
	v_mov_b32_e32 v13, v5
; %bb.385:
	s_or_b64 exec, exec, s[20:21]
.LBB58_386:
	s_or_b64 exec, exec, s[14:15]
.LBB58_387:
	s_or_b64 exec, exec, s[10:11]
	s_add_u32 s8, s16, s8
	s_addc_u32 s9, s17, s9
	v_mov_b32_e32 v2, s9
	v_add_co_u32_e32 v4, vcc, s8, v55
	v_addc_co_u32_e32 v5, vcc, 0, v2, vcc
	v_add_co_u32_e32 v2, vcc, 0x2000, v4
	v_addc_co_u32_e32 v3, vcc, 0, v5, vcc
	global_store_dwordx4 v55, v[6:9], s[8:9]
	global_store_dwordx4 v[2:3], v[14:17], off
	global_store_dwordx4 v56, v[22:25], s[8:9]
	v_add_co_u32_e32 v2, vcc, 0x6000, v4
	v_addc_co_u32_e32 v3, vcc, 0, v5, vcc
	global_store_dwordx4 v[2:3], v[30:33], off
	global_store_dwordx4 v54, v[34:37], s[8:9]
	v_add_co_u32_e32 v2, vcc, 0xa000, v4
	v_addc_co_u32_e32 v3, vcc, 0, v5, vcc
	global_store_dwordx4 v[2:3], v[26:29], off
	global_store_dwordx4 v1, v[18:21], s[8:9]
	v_add_co_u32_e32 v2, vcc, 0xe000, v4
	v_addc_co_u32_e32 v3, vcc, 0, v5, vcc
	global_store_dwordx4 v[2:3], v[10:13], off
	s_branch .LBB58_2
.LBB58_388:
	s_load_dword s10, s[4:5], 0x24
	s_load_dwordx4 s[20:23], s[4:5], 0x28
	s_add_u32 s8, s4, 56
	s_addc_u32 s9, s5, 0
	v_mov_b32_e32 v31, v0
	s_waitcnt lgkmcnt(0)
	v_lshrrev_b16_e64 v8, 8, s10
	v_mov_b32_e32 v0, s16
	v_mov_b32_e32 v1, s17
	;; [unrolled: 1-line block ×12, first 2 shown]
	s_getpc_b64 s[4:5]
	s_add_u32 s4, s4, _ZN2at6native25elementwise_kernel_helperILb1ENS0_13BinaryFunctorIfffZZZNS0_12_GLOBAL__N_133hermite_polynomial_he_kernel_cudaERNS_18TensorIteratorBaseEENKUlvE_clEvENKUlvE0_clEvEUlffE_EENS0_6memory8policies11unroll_baseILi512ESt5arrayIPcLm3EE23TrivialOffsetCalculatorILi2EjESG_ILi1EjENSA_12LoadWithCastILi2EEENSA_13StoreWithCastILi1EEELi32ELi1EEEEEvT0_T1_@rel32@lo+4
	s_addc_u32 s5, s5, _ZN2at6native25elementwise_kernel_helperILb1ENS0_13BinaryFunctorIfffZZZNS0_12_GLOBAL__N_133hermite_polynomial_he_kernel_cudaERNS_18TensorIteratorBaseEENKUlvE_clEvENKUlvE0_clEvEUlffE_EENS0_6memory8policies11unroll_baseILi512ESt5arrayIPcLm3EE23TrivialOffsetCalculatorILi2EjESG_ILi1EjENSA_12LoadWithCastILi2EEENSA_13StoreWithCastILi1EEELi32ELi1EEEEEvT0_T1_@rel32@hi+12
	s_swappc_b64 s[30:31], s[4:5]
	s_endpgm
	.section	.rodata,"a",@progbits
	.p2align	6, 0x0
	.amdhsa_kernel _ZN2at6native39vectorized_templated_elementwise_kernelILi4ENS0_13BinaryFunctorIfffZZZNS0_12_GLOBAL__N_133hermite_polynomial_he_kernel_cudaERNS_18TensorIteratorBaseEENKUlvE_clEvENKUlvE0_clEvEUlffE_EESt5arrayIPcLm3EE23TrivialOffsetCalculatorILi2EjESD_ILi1EjENS0_6memory12LoadWithCastILi2EEENSG_13StoreWithCastILi1EEEfJfN3c104HalfEEEEviT0_T1_T2_T3_T4_T5_
		.amdhsa_group_segment_fixed_size 0
		.amdhsa_private_segment_fixed_size 288
		.amdhsa_kernarg_size 312
		.amdhsa_user_sgpr_count 8
		.amdhsa_user_sgpr_private_segment_buffer 1
		.amdhsa_user_sgpr_dispatch_ptr 0
		.amdhsa_user_sgpr_queue_ptr 0
		.amdhsa_user_sgpr_kernarg_segment_ptr 1
		.amdhsa_user_sgpr_dispatch_id 0
		.amdhsa_user_sgpr_flat_scratch_init 1
		.amdhsa_user_sgpr_kernarg_preload_length 0
		.amdhsa_user_sgpr_kernarg_preload_offset 0
		.amdhsa_user_sgpr_private_segment_size 0
		.amdhsa_uses_dynamic_stack 0
		.amdhsa_system_sgpr_private_segment_wavefront_offset 1
		.amdhsa_system_sgpr_workgroup_id_x 1
		.amdhsa_system_sgpr_workgroup_id_y 0
		.amdhsa_system_sgpr_workgroup_id_z 0
		.amdhsa_system_sgpr_workgroup_info 0
		.amdhsa_system_vgpr_workitem_id 0
		.amdhsa_next_free_vgpr 120
		.amdhsa_next_free_sgpr 98
		.amdhsa_accum_offset 120
		.amdhsa_reserve_vcc 1
		.amdhsa_reserve_flat_scratch 1
		.amdhsa_float_round_mode_32 0
		.amdhsa_float_round_mode_16_64 0
		.amdhsa_float_denorm_mode_32 3
		.amdhsa_float_denorm_mode_16_64 3
		.amdhsa_dx10_clamp 1
		.amdhsa_ieee_mode 1
		.amdhsa_fp16_overflow 0
		.amdhsa_tg_split 0
		.amdhsa_exception_fp_ieee_invalid_op 0
		.amdhsa_exception_fp_denorm_src 0
		.amdhsa_exception_fp_ieee_div_zero 0
		.amdhsa_exception_fp_ieee_overflow 0
		.amdhsa_exception_fp_ieee_underflow 0
		.amdhsa_exception_fp_ieee_inexact 0
		.amdhsa_exception_int_div_zero 0
	.end_amdhsa_kernel
	.section	.text._ZN2at6native39vectorized_templated_elementwise_kernelILi4ENS0_13BinaryFunctorIfffZZZNS0_12_GLOBAL__N_133hermite_polynomial_he_kernel_cudaERNS_18TensorIteratorBaseEENKUlvE_clEvENKUlvE0_clEvEUlffE_EESt5arrayIPcLm3EE23TrivialOffsetCalculatorILi2EjESD_ILi1EjENS0_6memory12LoadWithCastILi2EEENSG_13StoreWithCastILi1EEEfJfN3c104HalfEEEEviT0_T1_T2_T3_T4_T5_,"axG",@progbits,_ZN2at6native39vectorized_templated_elementwise_kernelILi4ENS0_13BinaryFunctorIfffZZZNS0_12_GLOBAL__N_133hermite_polynomial_he_kernel_cudaERNS_18TensorIteratorBaseEENKUlvE_clEvENKUlvE0_clEvEUlffE_EESt5arrayIPcLm3EE23TrivialOffsetCalculatorILi2EjESD_ILi1EjENS0_6memory12LoadWithCastILi2EEENSG_13StoreWithCastILi1EEEfJfN3c104HalfEEEEviT0_T1_T2_T3_T4_T5_,comdat
.Lfunc_end58:
	.size	_ZN2at6native39vectorized_templated_elementwise_kernelILi4ENS0_13BinaryFunctorIfffZZZNS0_12_GLOBAL__N_133hermite_polynomial_he_kernel_cudaERNS_18TensorIteratorBaseEENKUlvE_clEvENKUlvE0_clEvEUlffE_EESt5arrayIPcLm3EE23TrivialOffsetCalculatorILi2EjESD_ILi1EjENS0_6memory12LoadWithCastILi2EEENSG_13StoreWithCastILi1EEEfJfN3c104HalfEEEEviT0_T1_T2_T3_T4_T5_, .Lfunc_end58-_ZN2at6native39vectorized_templated_elementwise_kernelILi4ENS0_13BinaryFunctorIfffZZZNS0_12_GLOBAL__N_133hermite_polynomial_he_kernel_cudaERNS_18TensorIteratorBaseEENKUlvE_clEvENKUlvE0_clEvEUlffE_EESt5arrayIPcLm3EE23TrivialOffsetCalculatorILi2EjESD_ILi1EjENS0_6memory12LoadWithCastILi2EEENSG_13StoreWithCastILi1EEEfJfN3c104HalfEEEEviT0_T1_T2_T3_T4_T5_
                                        ; -- End function
	.section	.AMDGPU.csdata,"",@progbits
; Kernel info:
; codeLenInByte = 7440
; NumSgprs: 104
; NumVgprs: 120
; NumAgprs: 0
; TotalNumVgprs: 120
; ScratchSize: 288
; MemoryBound: 0
; FloatMode: 240
; IeeeMode: 1
; LDSByteSize: 0 bytes/workgroup (compile time only)
; SGPRBlocks: 12
; VGPRBlocks: 14
; NumSGPRsForWavesPerEU: 104
; NumVGPRsForWavesPerEU: 120
; AccumOffset: 120
; Occupancy: 4
; WaveLimiterHint : 0
; COMPUTE_PGM_RSRC2:SCRATCH_EN: 1
; COMPUTE_PGM_RSRC2:USER_SGPR: 8
; COMPUTE_PGM_RSRC2:TRAP_HANDLER: 0
; COMPUTE_PGM_RSRC2:TGID_X_EN: 1
; COMPUTE_PGM_RSRC2:TGID_Y_EN: 0
; COMPUTE_PGM_RSRC2:TGID_Z_EN: 0
; COMPUTE_PGM_RSRC2:TIDIG_COMP_CNT: 0
; COMPUTE_PGM_RSRC3_GFX90A:ACCUM_OFFSET: 29
; COMPUTE_PGM_RSRC3_GFX90A:TG_SPLIT: 0
	.section	.text._ZN2at6native39vectorized_templated_elementwise_kernelILi2ENS0_13BinaryFunctorIfffZZZNS0_12_GLOBAL__N_133hermite_polynomial_he_kernel_cudaERNS_18TensorIteratorBaseEENKUlvE_clEvENKUlvE0_clEvEUlffE_EESt5arrayIPcLm3EE23TrivialOffsetCalculatorILi2EjESD_ILi1EjENS0_6memory12LoadWithCastILi2EEENSG_13StoreWithCastILi1EEEfJfN3c104HalfEEEEviT0_T1_T2_T3_T4_T5_,"axG",@progbits,_ZN2at6native39vectorized_templated_elementwise_kernelILi2ENS0_13BinaryFunctorIfffZZZNS0_12_GLOBAL__N_133hermite_polynomial_he_kernel_cudaERNS_18TensorIteratorBaseEENKUlvE_clEvENKUlvE0_clEvEUlffE_EESt5arrayIPcLm3EE23TrivialOffsetCalculatorILi2EjESD_ILi1EjENS0_6memory12LoadWithCastILi2EEENSG_13StoreWithCastILi1EEEfJfN3c104HalfEEEEviT0_T1_T2_T3_T4_T5_,comdat
	.globl	_ZN2at6native39vectorized_templated_elementwise_kernelILi2ENS0_13BinaryFunctorIfffZZZNS0_12_GLOBAL__N_133hermite_polynomial_he_kernel_cudaERNS_18TensorIteratorBaseEENKUlvE_clEvENKUlvE0_clEvEUlffE_EESt5arrayIPcLm3EE23TrivialOffsetCalculatorILi2EjESD_ILi1EjENS0_6memory12LoadWithCastILi2EEENSG_13StoreWithCastILi1EEEfJfN3c104HalfEEEEviT0_T1_T2_T3_T4_T5_ ; -- Begin function _ZN2at6native39vectorized_templated_elementwise_kernelILi2ENS0_13BinaryFunctorIfffZZZNS0_12_GLOBAL__N_133hermite_polynomial_he_kernel_cudaERNS_18TensorIteratorBaseEENKUlvE_clEvENKUlvE0_clEvEUlffE_EESt5arrayIPcLm3EE23TrivialOffsetCalculatorILi2EjESD_ILi1EjENS0_6memory12LoadWithCastILi2EEENSG_13StoreWithCastILi1EEEfJfN3c104HalfEEEEviT0_T1_T2_T3_T4_T5_
	.p2align	8
	.type	_ZN2at6native39vectorized_templated_elementwise_kernelILi2ENS0_13BinaryFunctorIfffZZZNS0_12_GLOBAL__N_133hermite_polynomial_he_kernel_cudaERNS_18TensorIteratorBaseEENKUlvE_clEvENKUlvE0_clEvEUlffE_EESt5arrayIPcLm3EE23TrivialOffsetCalculatorILi2EjESD_ILi1EjENS0_6memory12LoadWithCastILi2EEENSG_13StoreWithCastILi1EEEfJfN3c104HalfEEEEviT0_T1_T2_T3_T4_T5_,@function
_ZN2at6native39vectorized_templated_elementwise_kernelILi2ENS0_13BinaryFunctorIfffZZZNS0_12_GLOBAL__N_133hermite_polynomial_he_kernel_cudaERNS_18TensorIteratorBaseEENKUlvE_clEvENKUlvE0_clEvEUlffE_EESt5arrayIPcLm3EE23TrivialOffsetCalculatorILi2EjESD_ILi1EjENS0_6memory12LoadWithCastILi2EEENSG_13StoreWithCastILi1EEEfJfN3c104HalfEEEEviT0_T1_T2_T3_T4_T5_: ; @_ZN2at6native39vectorized_templated_elementwise_kernelILi2ENS0_13BinaryFunctorIfffZZZNS0_12_GLOBAL__N_133hermite_polynomial_he_kernel_cudaERNS_18TensorIteratorBaseEENKUlvE_clEvENKUlvE0_clEvEUlffE_EESt5arrayIPcLm3EE23TrivialOffsetCalculatorILi2EjESD_ILi1EjENS0_6memory12LoadWithCastILi2EEENSG_13StoreWithCastILi1EEEfJfN3c104HalfEEEEviT0_T1_T2_T3_T4_T5_
; %bb.0:
	s_add_u32 flat_scratch_lo, s6, s9
	s_addc_u32 flat_scratch_hi, s7, 0
	s_add_u32 s0, s0, s9
	s_mov_b32 s12, s8
	s_load_dword s8, s[4:5], 0x38
	s_load_dwordx2 s[6:7], s[4:5], 0x18
	s_load_dword s9, s[4:5], 0x0
	s_load_dwordx4 s[16:19], s[4:5], 0x8
	s_addc_u32 s1, s1, 0
	s_not_b32 s10, s12
	s_waitcnt lgkmcnt(0)
	s_add_i32 s8, s8, s10
	s_lshl_b32 s14, s8, 14
	s_sub_i32 s13, s9, s14
	s_cmpk_gt_i32 s13, 0x3fff
	s_mov_b64 s[8:9], -1
	s_mov_b32 s32, 0
	s_cbranch_scc1 .LBB59_3
; %bb.1:
	s_and_b64 vcc, exec, s[8:9]
	s_cbranch_vccnz .LBB59_388
.LBB59_2:
	s_endpgm
.LBB59_3:
	s_ashr_i32 s15, s14, 31
	s_lshl_b64 s[8:9], s[14:15], 2
	s_add_u32 s10, s18, s8
	s_addc_u32 s11, s19, s9
	v_lshlrev_b32_e32 v1, 3, v0
	v_mov_b32_e32 v2, s11
	v_add_co_u32_e32 v6, vcc, s10, v1
	v_addc_co_u32_e32 v7, vcc, 0, v2, vcc
	v_add_co_u32_e32 v2, vcc, 0x1000, v6
	v_addc_co_u32_e32 v3, vcc, 0, v7, vcc
	v_add_co_u32_e32 v4, vcc, 0x3000, v6
	v_or_b32_e32 v10, 0x400, v0
	v_addc_co_u32_e32 v5, vcc, 0, v7, vcc
	v_lshlrev_b32_e32 v38, 3, v10
	global_load_dwordx2 v[8:9], v1, s[10:11]
	global_load_dwordx2 v[12:13], v[2:3], off
	global_load_dwordx2 v[16:17], v38, s[10:11]
	global_load_dwordx2 v[20:21], v[4:5], off
	v_add_co_u32_e32 v2, vcc, 0x5000, v6
	v_addc_co_u32_e32 v3, vcc, 0, v7, vcc
	v_or_b32_e32 v11, 0x800, v0
	v_add_co_u32_e32 v4, vcc, 0x7000, v6
	v_lshlrev_b32_e32 v40, 3, v11
	v_or_b32_e32 v14, 0xc00, v0
	v_addc_co_u32_e32 v5, vcc, 0, v7, vcc
	v_lshlrev_b32_e32 v39, 3, v14
	global_load_dwordx2 v[24:25], v40, s[10:11]
	global_load_dwordx2 v[28:29], v[2:3], off
	global_load_dwordx2 v[32:33], v39, s[10:11]
	global_load_dwordx2 v[34:35], v[4:5], off
	v_add_co_u32_e32 v2, vcc, 0x9000, v6
	v_addc_co_u32_e32 v3, vcc, 0, v7, vcc
	v_add_co_u32_e32 v4, vcc, 0xb000, v6
	v_addc_co_u32_e32 v5, vcc, 0, v7, vcc
	;; [unrolled: 2-line block ×3, first 2 shown]
	s_lshl_b64 s[14:15], s[14:15], 1
	v_or_b32_e32 v15, 0x1000, v0
	v_add_co_u32_e32 v46, vcc, 0xf000, v6
	s_add_u32 s14, s6, s14
	v_lshlrev_b32_e32 v43, 3, v15
	v_or_b32_e32 v45, 0x1400, v0
	v_addc_co_u32_e32 v47, vcc, 0, v7, vcc
	s_addc_u32 s15, s7, s15
	v_lshlrev_b32_e32 v49, 2, v0
	v_lshlrev_b32_e32 v41, 3, v45
	global_load_dwordx2 v[30:31], v43, s[10:11]
	global_load_dwordx2 v[26:27], v[2:3], off
	global_load_dwordx2 v[22:23], v41, s[10:11]
	global_load_dwordx2 v[18:19], v[4:5], off
	v_mov_b32_e32 v2, s15
	v_add_co_u32_e32 v50, vcc, s14, v49
	s_movk_i32 s20, 0x1000
	v_addc_co_u32_e32 v65, vcc, 0, v2, vcc
	v_add_co_u32_e32 v2, vcc, s20, v50
	v_addc_co_u32_e32 v3, vcc, 0, v65, vcc
	s_movk_i32 s20, 0x2000
	v_add_co_u32_e32 v6, vcc, s20, v50
	s_movk_i32 s21, 0x3000
	v_addc_co_u32_e32 v7, vcc, 0, v65, vcc
	v_lshlrev_b32_e32 v51, 2, v10
	v_add_co_u32_e32 v10, vcc, s21, v50
	v_lshlrev_b32_e32 v52, 2, v11
	v_addc_co_u32_e32 v11, vcc, 0, v65, vcc
	s_movk_i32 s20, 0x4000
	v_lshlrev_b32_e32 v14, 2, v14
	global_load_dword v5, v49, s[14:15]
	global_load_dword v59, v49, s[14:15] offset:2048
	global_load_dword v58, v51, s[14:15]
	global_load_dword v57, v[2:3], off offset:2048
	global_load_dword v56, v52, s[14:15]
	global_load_dword v55, v[6:7], off offset:2048
	;; [unrolled: 2-line block ×3, first 2 shown]
	v_add_co_u32_e32 v2, vcc, s20, v50
	s_movk_i32 s22, 0x5000
	v_addc_co_u32_e32 v3, vcc, 0, v65, vcc
	v_add_co_u32_e32 v60, vcc, s22, v50
	v_addc_co_u32_e32 v61, vcc, 0, v65, vcc
	v_or_b32_e32 v4, 0x1800, v0
	v_add_co_u32_e32 v62, vcc, 0x6000, v50
	v_lshlrev_b32_e32 v44, 3, v4
	v_or_b32_e32 v48, 0x1c00, v0
	v_lshlrev_b32_e32 v6, 2, v15
	v_addc_co_u32_e32 v63, vcc, 0, v65, vcc
	v_lshlrev_b32_e32 v42, 3, v48
	global_load_dword v52, v6, s[14:15]
	global_load_dword v51, v[2:3], off offset:2048
	v_add_co_u32_e32 v64, vcc, 0x7000, v50
	global_load_dwordx2 v[14:15], v44, s[10:11]
	global_load_dwordx2 v[10:11], v[36:37], off
	global_load_dwordx2 v[6:7], v42, s[10:11]
	global_load_dwordx2 v[2:3], v[46:47], off
	v_lshlrev_b32_e32 v36, 2, v45
	v_addc_co_u32_e32 v65, vcc, 0, v65, vcc
	v_lshlrev_b32_e32 v4, 2, v4
	v_lshlrev_b32_e32 v37, 2, v48
	global_load_dword v50, v36, s[14:15]
	global_load_dword v49, v[60:61], off offset:2048
	global_load_dword v48, v4, s[14:15]
	global_load_dword v47, v[62:63], off offset:2048
                                        ; kill: killed $vgpr4
                                        ; kill: killed $vgpr36
                                        ; kill: killed $vgpr60 killed $vgpr61
                                        ; kill: killed $vgpr62 killed $vgpr63
	global_load_dword v46, v37, s[14:15]
	global_load_dword v45, v[64:65], off offset:2048
	s_waitcnt vmcnt(19)
	v_cvt_f32_f16_e32 v4, v5
	v_cvt_i32_f32_e32 v36, v4
	v_mov_b32_e32 v4, 0
	v_ashrrev_i32_e32 v37, 31, v36
	v_cmp_lt_i64_e32 vcc, -1, v[36:37]
	s_and_saveexec_b64 s[10:11], vcc
	s_cbranch_execz .LBB59_15
; %bb.4:
	v_cmp_lt_i64_e32 vcc, 0, v[36:37]
	v_mov_b32_e32 v4, 1.0
	s_and_saveexec_b64 s[14:15], vcc
	s_cbranch_execz .LBB59_14
; %bb.5:
	v_cmp_ne_u64_e32 vcc, 1, v[36:37]
                                        ; implicit-def: $vgpr4
	s_and_saveexec_b64 s[20:21], vcc
	s_xor_b64 s[20:21], exec, s[20:21]
	s_cbranch_execz .LBB59_11
; %bb.6:
	s_mov_b64 s[22:23], 0x81
	v_cmp_gt_u64_e32 vcc, s[22:23], v[36:37]
	v_mov_b32_e32 v4, 0x7fc00000
	s_and_saveexec_b64 s[22:23], vcc
	s_cbranch_execz .LBB59_10
; %bb.7:
	s_mov_b64 s[26:27], 1
	s_mov_b64 s[24:25], 0
	v_mov_b32_e32 v60, 1.0
	v_mov_b32_e32 v4, v8
.LBB59_8:                               ; =>This Inner Loop Header: Depth=1
	s_flbit_i32_b32 s28, s27
	s_min_u32 s30, s28, 32
	s_lshl_b64 s[28:29], s[26:27], s30
	s_min_u32 s28, s28, 1
	s_or_b32 s28, s29, s28
	v_cvt_f32_u32_e32 v61, s28
	s_sub_i32 s30, 32, s30
	s_add_u32 s26, s26, 1
	s_addc_u32 s27, s27, 0
	v_ldexp_f32 v61, v61, s30
	v_cmp_eq_u64_e32 vcc, s[26:27], v[36:37]
	v_mul_f32_e32 v61, v60, v61
	s_or_b64 s[24:25], vcc, s[24:25]
	v_mov_b32_e32 v60, v4
	v_fma_f32 v4, v8, v4, -v61
	s_andn2_b64 exec, exec, s[24:25]
	s_cbranch_execnz .LBB59_8
; %bb.9:
	s_or_b64 exec, exec, s[24:25]
.LBB59_10:
	s_or_b64 exec, exec, s[22:23]
.LBB59_11:
	s_andn2_saveexec_b64 s[20:21], s[20:21]
; %bb.12:
	v_mov_b32_e32 v4, v8
; %bb.13:
	s_or_b64 exec, exec, s[20:21]
.LBB59_14:
	s_or_b64 exec, exec, s[14:15]
.LBB59_15:
	s_or_b64 exec, exec, s[10:11]
	v_cvt_f32_f16_sdwa v5, v5 dst_sel:DWORD dst_unused:UNUSED_PAD src0_sel:WORD_1
	v_cvt_i32_f32_e32 v36, v5
	v_mov_b32_e32 v5, 0
	v_ashrrev_i32_e32 v37, 31, v36
	v_cmp_lt_i64_e32 vcc, -1, v[36:37]
	s_and_saveexec_b64 s[10:11], vcc
	s_cbranch_execz .LBB59_27
; %bb.16:
	v_cmp_lt_i64_e32 vcc, 0, v[36:37]
	v_mov_b32_e32 v5, 1.0
	s_and_saveexec_b64 s[14:15], vcc
	s_cbranch_execz .LBB59_26
; %bb.17:
	v_cmp_ne_u64_e32 vcc, 1, v[36:37]
	s_and_saveexec_b64 s[20:21], vcc
	s_xor_b64 s[20:21], exec, s[20:21]
	s_cbranch_execz .LBB59_23
; %bb.18:
	s_mov_b64 s[22:23], 0x81
	v_cmp_gt_u64_e32 vcc, s[22:23], v[36:37]
	v_mov_b32_e32 v5, 0x7fc00000
	s_and_saveexec_b64 s[22:23], vcc
	s_cbranch_execz .LBB59_22
; %bb.19:
	s_mov_b64 s[26:27], 1
	s_mov_b64 s[24:25], 0
	v_mov_b32_e32 v8, 1.0
	v_mov_b32_e32 v5, v9
.LBB59_20:                              ; =>This Inner Loop Header: Depth=1
	s_flbit_i32_b32 s28, s27
	s_min_u32 s30, s28, 32
	s_lshl_b64 s[28:29], s[26:27], s30
	s_min_u32 s28, s28, 1
	s_or_b32 s28, s29, s28
	v_cvt_f32_u32_e32 v60, s28
	s_sub_i32 s30, 32, s30
	s_add_u32 s26, s26, 1
	s_addc_u32 s27, s27, 0
	v_ldexp_f32 v60, v60, s30
	v_cmp_eq_u64_e32 vcc, s[26:27], v[36:37]
	v_mul_f32_e32 v60, v8, v60
	s_or_b64 s[24:25], vcc, s[24:25]
	v_mov_b32_e32 v8, v5
	v_fma_f32 v5, v9, v5, -v60
	s_andn2_b64 exec, exec, s[24:25]
	s_cbranch_execnz .LBB59_20
; %bb.21:
	s_or_b64 exec, exec, s[24:25]
.LBB59_22:
	s_or_b64 exec, exec, s[22:23]
                                        ; implicit-def: $vgpr9
.LBB59_23:
	s_andn2_saveexec_b64 s[20:21], s[20:21]
; %bb.24:
	v_mov_b32_e32 v5, v9
; %bb.25:
	s_or_b64 exec, exec, s[20:21]
.LBB59_26:
	s_or_b64 exec, exec, s[14:15]
.LBB59_27:
	s_or_b64 exec, exec, s[10:11]
	s_waitcnt vmcnt(18)
	v_cvt_f32_f16_e32 v8, v59
	v_cvt_i32_f32_e32 v36, v8
	v_mov_b32_e32 v8, 0
	v_ashrrev_i32_e32 v37, 31, v36
	v_cmp_lt_i64_e32 vcc, -1, v[36:37]
	s_and_saveexec_b64 s[10:11], vcc
	s_cbranch_execz .LBB59_39
; %bb.28:
	v_cmp_lt_i64_e32 vcc, 0, v[36:37]
	v_mov_b32_e32 v8, 1.0
	s_and_saveexec_b64 s[14:15], vcc
	s_cbranch_execz .LBB59_38
; %bb.29:
	v_cmp_ne_u64_e32 vcc, 1, v[36:37]
                                        ; implicit-def: $vgpr8
	s_and_saveexec_b64 s[20:21], vcc
	s_xor_b64 s[20:21], exec, s[20:21]
	s_cbranch_execz .LBB59_35
; %bb.30:
	s_mov_b64 s[22:23], 0x81
	v_cmp_gt_u64_e32 vcc, s[22:23], v[36:37]
	v_mov_b32_e32 v8, 0x7fc00000
	s_and_saveexec_b64 s[22:23], vcc
	s_cbranch_execz .LBB59_34
; %bb.31:
	s_mov_b64 s[26:27], 1
	s_mov_b64 s[24:25], 0
	v_mov_b32_e32 v9, 1.0
	v_mov_b32_e32 v8, v12
.LBB59_32:                              ; =>This Inner Loop Header: Depth=1
	s_flbit_i32_b32 s28, s27
	s_min_u32 s30, s28, 32
	s_lshl_b64 s[28:29], s[26:27], s30
	s_min_u32 s28, s28, 1
	s_or_b32 s28, s29, s28
	v_cvt_f32_u32_e32 v60, s28
	s_sub_i32 s30, 32, s30
	s_add_u32 s26, s26, 1
	s_addc_u32 s27, s27, 0
	v_ldexp_f32 v60, v60, s30
	v_cmp_eq_u64_e32 vcc, s[26:27], v[36:37]
	v_mul_f32_e32 v60, v9, v60
	s_or_b64 s[24:25], vcc, s[24:25]
	v_mov_b32_e32 v9, v8
	v_fma_f32 v8, v12, v8, -v60
	s_andn2_b64 exec, exec, s[24:25]
	s_cbranch_execnz .LBB59_32
; %bb.33:
	s_or_b64 exec, exec, s[24:25]
.LBB59_34:
	s_or_b64 exec, exec, s[22:23]
.LBB59_35:
	s_andn2_saveexec_b64 s[20:21], s[20:21]
; %bb.36:
	v_mov_b32_e32 v8, v12
; %bb.37:
	s_or_b64 exec, exec, s[20:21]
.LBB59_38:
	s_or_b64 exec, exec, s[14:15]
.LBB59_39:
	s_or_b64 exec, exec, s[10:11]
	v_cvt_f32_f16_sdwa v9, v59 dst_sel:DWORD dst_unused:UNUSED_PAD src0_sel:WORD_1
	v_cvt_i32_f32_e32 v36, v9
	v_mov_b32_e32 v9, 0
	v_ashrrev_i32_e32 v37, 31, v36
	v_cmp_lt_i64_e32 vcc, -1, v[36:37]
	s_and_saveexec_b64 s[10:11], vcc
	s_cbranch_execz .LBB59_51
; %bb.40:
	v_cmp_lt_i64_e32 vcc, 0, v[36:37]
	v_mov_b32_e32 v9, 1.0
	s_and_saveexec_b64 s[14:15], vcc
	s_cbranch_execz .LBB59_50
; %bb.41:
	v_cmp_ne_u64_e32 vcc, 1, v[36:37]
	s_and_saveexec_b64 s[20:21], vcc
	s_xor_b64 s[20:21], exec, s[20:21]
	s_cbranch_execz .LBB59_47
; %bb.42:
	s_mov_b64 s[22:23], 0x81
	v_cmp_gt_u64_e32 vcc, s[22:23], v[36:37]
	v_mov_b32_e32 v9, 0x7fc00000
	s_and_saveexec_b64 s[22:23], vcc
	s_cbranch_execz .LBB59_46
; %bb.43:
	s_mov_b64 s[26:27], 1
	s_mov_b64 s[24:25], 0
	v_mov_b32_e32 v12, 1.0
	v_mov_b32_e32 v9, v13
.LBB59_44:                              ; =>This Inner Loop Header: Depth=1
	s_flbit_i32_b32 s28, s27
	s_min_u32 s30, s28, 32
	s_lshl_b64 s[28:29], s[26:27], s30
	s_min_u32 s28, s28, 1
	s_or_b32 s28, s29, s28
	v_cvt_f32_u32_e32 v59, s28
	s_sub_i32 s30, 32, s30
	s_add_u32 s26, s26, 1
	s_addc_u32 s27, s27, 0
	v_ldexp_f32 v59, v59, s30
	v_cmp_eq_u64_e32 vcc, s[26:27], v[36:37]
	v_mul_f32_e32 v59, v12, v59
	s_or_b64 s[24:25], vcc, s[24:25]
	v_mov_b32_e32 v12, v9
	v_fma_f32 v9, v13, v9, -v59
	s_andn2_b64 exec, exec, s[24:25]
	s_cbranch_execnz .LBB59_44
; %bb.45:
	s_or_b64 exec, exec, s[24:25]
.LBB59_46:
	s_or_b64 exec, exec, s[22:23]
                                        ; implicit-def: $vgpr13
.LBB59_47:
	s_andn2_saveexec_b64 s[20:21], s[20:21]
; %bb.48:
	v_mov_b32_e32 v9, v13
; %bb.49:
	s_or_b64 exec, exec, s[20:21]
.LBB59_50:
	s_or_b64 exec, exec, s[14:15]
.LBB59_51:
	s_or_b64 exec, exec, s[10:11]
	s_waitcnt vmcnt(17)
	v_cvt_f32_f16_e32 v12, v58
	v_cvt_i32_f32_e32 v36, v12
	v_mov_b32_e32 v12, 0
	v_ashrrev_i32_e32 v37, 31, v36
	v_cmp_lt_i64_e32 vcc, -1, v[36:37]
	s_and_saveexec_b64 s[10:11], vcc
	s_cbranch_execz .LBB59_63
; %bb.52:
	v_cmp_lt_i64_e32 vcc, 0, v[36:37]
	v_mov_b32_e32 v12, 1.0
	s_and_saveexec_b64 s[14:15], vcc
	s_cbranch_execz .LBB59_62
; %bb.53:
	v_cmp_ne_u64_e32 vcc, 1, v[36:37]
                                        ; implicit-def: $vgpr12
	s_and_saveexec_b64 s[20:21], vcc
	s_xor_b64 s[20:21], exec, s[20:21]
	s_cbranch_execz .LBB59_59
; %bb.54:
	s_mov_b64 s[22:23], 0x81
	v_cmp_gt_u64_e32 vcc, s[22:23], v[36:37]
	v_mov_b32_e32 v12, 0x7fc00000
	s_and_saveexec_b64 s[22:23], vcc
	s_cbranch_execz .LBB59_58
; %bb.55:
	s_mov_b64 s[26:27], 1
	s_mov_b64 s[24:25], 0
	v_mov_b32_e32 v13, 1.0
	v_mov_b32_e32 v12, v16
.LBB59_56:                              ; =>This Inner Loop Header: Depth=1
	s_flbit_i32_b32 s28, s27
	s_min_u32 s30, s28, 32
	s_lshl_b64 s[28:29], s[26:27], s30
	s_min_u32 s28, s28, 1
	s_or_b32 s28, s29, s28
	v_cvt_f32_u32_e32 v59, s28
	s_sub_i32 s30, 32, s30
	s_add_u32 s26, s26, 1
	s_addc_u32 s27, s27, 0
	v_ldexp_f32 v59, v59, s30
	v_cmp_eq_u64_e32 vcc, s[26:27], v[36:37]
	v_mul_f32_e32 v59, v13, v59
	s_or_b64 s[24:25], vcc, s[24:25]
	v_mov_b32_e32 v13, v12
	v_fma_f32 v12, v16, v12, -v59
	s_andn2_b64 exec, exec, s[24:25]
	s_cbranch_execnz .LBB59_56
; %bb.57:
	s_or_b64 exec, exec, s[24:25]
.LBB59_58:
	s_or_b64 exec, exec, s[22:23]
.LBB59_59:
	s_andn2_saveexec_b64 s[20:21], s[20:21]
; %bb.60:
	v_mov_b32_e32 v12, v16
; %bb.61:
	s_or_b64 exec, exec, s[20:21]
.LBB59_62:
	s_or_b64 exec, exec, s[14:15]
.LBB59_63:
	s_or_b64 exec, exec, s[10:11]
	v_cvt_f32_f16_sdwa v13, v58 dst_sel:DWORD dst_unused:UNUSED_PAD src0_sel:WORD_1
	v_cvt_i32_f32_e32 v36, v13
	v_mov_b32_e32 v13, 0
	v_ashrrev_i32_e32 v37, 31, v36
	v_cmp_lt_i64_e32 vcc, -1, v[36:37]
	s_and_saveexec_b64 s[10:11], vcc
	s_cbranch_execz .LBB59_75
; %bb.64:
	v_cmp_lt_i64_e32 vcc, 0, v[36:37]
	v_mov_b32_e32 v13, 1.0
	s_and_saveexec_b64 s[14:15], vcc
	s_cbranch_execz .LBB59_74
; %bb.65:
	v_cmp_ne_u64_e32 vcc, 1, v[36:37]
	s_and_saveexec_b64 s[20:21], vcc
	s_xor_b64 s[20:21], exec, s[20:21]
	s_cbranch_execz .LBB59_71
; %bb.66:
	s_mov_b64 s[22:23], 0x81
	v_cmp_gt_u64_e32 vcc, s[22:23], v[36:37]
	v_mov_b32_e32 v13, 0x7fc00000
	s_and_saveexec_b64 s[22:23], vcc
	s_cbranch_execz .LBB59_70
; %bb.67:
	s_mov_b64 s[26:27], 1
	s_mov_b64 s[24:25], 0
	v_mov_b32_e32 v16, 1.0
	v_mov_b32_e32 v13, v17
.LBB59_68:                              ; =>This Inner Loop Header: Depth=1
	s_flbit_i32_b32 s28, s27
	s_min_u32 s30, s28, 32
	s_lshl_b64 s[28:29], s[26:27], s30
	s_min_u32 s28, s28, 1
	s_or_b32 s28, s29, s28
	v_cvt_f32_u32_e32 v58, s28
	s_sub_i32 s30, 32, s30
	s_add_u32 s26, s26, 1
	s_addc_u32 s27, s27, 0
	v_ldexp_f32 v58, v58, s30
	v_cmp_eq_u64_e32 vcc, s[26:27], v[36:37]
	v_mul_f32_e32 v58, v16, v58
	s_or_b64 s[24:25], vcc, s[24:25]
	v_mov_b32_e32 v16, v13
	v_fma_f32 v13, v17, v13, -v58
	s_andn2_b64 exec, exec, s[24:25]
	s_cbranch_execnz .LBB59_68
; %bb.69:
	s_or_b64 exec, exec, s[24:25]
.LBB59_70:
	s_or_b64 exec, exec, s[22:23]
                                        ; implicit-def: $vgpr17
.LBB59_71:
	s_andn2_saveexec_b64 s[20:21], s[20:21]
; %bb.72:
	v_mov_b32_e32 v13, v17
; %bb.73:
	s_or_b64 exec, exec, s[20:21]
.LBB59_74:
	s_or_b64 exec, exec, s[14:15]
.LBB59_75:
	s_or_b64 exec, exec, s[10:11]
	s_waitcnt vmcnt(16)
	v_cvt_f32_f16_e32 v16, v57
	v_cvt_i32_f32_e32 v36, v16
	v_mov_b32_e32 v16, 0
	v_ashrrev_i32_e32 v37, 31, v36
	v_cmp_lt_i64_e32 vcc, -1, v[36:37]
	s_and_saveexec_b64 s[10:11], vcc
	s_cbranch_execz .LBB59_87
; %bb.76:
	v_cmp_lt_i64_e32 vcc, 0, v[36:37]
	v_mov_b32_e32 v16, 1.0
	s_and_saveexec_b64 s[14:15], vcc
	s_cbranch_execz .LBB59_86
; %bb.77:
	v_cmp_ne_u64_e32 vcc, 1, v[36:37]
                                        ; implicit-def: $vgpr16
	s_and_saveexec_b64 s[20:21], vcc
	s_xor_b64 s[20:21], exec, s[20:21]
	s_cbranch_execz .LBB59_83
; %bb.78:
	s_mov_b64 s[22:23], 0x81
	v_cmp_gt_u64_e32 vcc, s[22:23], v[36:37]
	v_mov_b32_e32 v16, 0x7fc00000
	s_and_saveexec_b64 s[22:23], vcc
	s_cbranch_execz .LBB59_82
; %bb.79:
	s_mov_b64 s[26:27], 1
	s_mov_b64 s[24:25], 0
	v_mov_b32_e32 v17, 1.0
	v_mov_b32_e32 v16, v20
.LBB59_80:                              ; =>This Inner Loop Header: Depth=1
	s_flbit_i32_b32 s28, s27
	s_min_u32 s30, s28, 32
	s_lshl_b64 s[28:29], s[26:27], s30
	s_min_u32 s28, s28, 1
	s_or_b32 s28, s29, s28
	v_cvt_f32_u32_e32 v58, s28
	s_sub_i32 s30, 32, s30
	s_add_u32 s26, s26, 1
	s_addc_u32 s27, s27, 0
	v_ldexp_f32 v58, v58, s30
	v_cmp_eq_u64_e32 vcc, s[26:27], v[36:37]
	v_mul_f32_e32 v58, v17, v58
	s_or_b64 s[24:25], vcc, s[24:25]
	v_mov_b32_e32 v17, v16
	v_fma_f32 v16, v20, v16, -v58
	s_andn2_b64 exec, exec, s[24:25]
	s_cbranch_execnz .LBB59_80
; %bb.81:
	s_or_b64 exec, exec, s[24:25]
.LBB59_82:
	s_or_b64 exec, exec, s[22:23]
.LBB59_83:
	s_andn2_saveexec_b64 s[20:21], s[20:21]
; %bb.84:
	v_mov_b32_e32 v16, v20
; %bb.85:
	s_or_b64 exec, exec, s[20:21]
.LBB59_86:
	s_or_b64 exec, exec, s[14:15]
.LBB59_87:
	s_or_b64 exec, exec, s[10:11]
	v_cvt_f32_f16_sdwa v17, v57 dst_sel:DWORD dst_unused:UNUSED_PAD src0_sel:WORD_1
	v_cvt_i32_f32_e32 v36, v17
	v_mov_b32_e32 v17, 0
	v_ashrrev_i32_e32 v37, 31, v36
	v_cmp_lt_i64_e32 vcc, -1, v[36:37]
	s_and_saveexec_b64 s[10:11], vcc
	s_cbranch_execz .LBB59_99
; %bb.88:
	v_cmp_lt_i64_e32 vcc, 0, v[36:37]
	v_mov_b32_e32 v17, 1.0
	s_and_saveexec_b64 s[14:15], vcc
	s_cbranch_execz .LBB59_98
; %bb.89:
	v_cmp_ne_u64_e32 vcc, 1, v[36:37]
	s_and_saveexec_b64 s[20:21], vcc
	s_xor_b64 s[20:21], exec, s[20:21]
	s_cbranch_execz .LBB59_95
; %bb.90:
	s_mov_b64 s[22:23], 0x81
	v_cmp_gt_u64_e32 vcc, s[22:23], v[36:37]
	v_mov_b32_e32 v17, 0x7fc00000
	s_and_saveexec_b64 s[22:23], vcc
	s_cbranch_execz .LBB59_94
; %bb.91:
	s_mov_b64 s[26:27], 1
	s_mov_b64 s[24:25], 0
	v_mov_b32_e32 v20, 1.0
	v_mov_b32_e32 v17, v21
.LBB59_92:                              ; =>This Inner Loop Header: Depth=1
	s_flbit_i32_b32 s28, s27
	s_min_u32 s30, s28, 32
	s_lshl_b64 s[28:29], s[26:27], s30
	s_min_u32 s28, s28, 1
	s_or_b32 s28, s29, s28
	v_cvt_f32_u32_e32 v57, s28
	s_sub_i32 s30, 32, s30
	s_add_u32 s26, s26, 1
	s_addc_u32 s27, s27, 0
	v_ldexp_f32 v57, v57, s30
	v_cmp_eq_u64_e32 vcc, s[26:27], v[36:37]
	v_mul_f32_e32 v57, v20, v57
	s_or_b64 s[24:25], vcc, s[24:25]
	v_mov_b32_e32 v20, v17
	v_fma_f32 v17, v21, v17, -v57
	s_andn2_b64 exec, exec, s[24:25]
	s_cbranch_execnz .LBB59_92
; %bb.93:
	s_or_b64 exec, exec, s[24:25]
.LBB59_94:
	s_or_b64 exec, exec, s[22:23]
                                        ; implicit-def: $vgpr21
.LBB59_95:
	s_andn2_saveexec_b64 s[20:21], s[20:21]
; %bb.96:
	v_mov_b32_e32 v17, v21
; %bb.97:
	s_or_b64 exec, exec, s[20:21]
.LBB59_98:
	s_or_b64 exec, exec, s[14:15]
.LBB59_99:
	s_or_b64 exec, exec, s[10:11]
	s_waitcnt vmcnt(15)
	v_cvt_f32_f16_e32 v20, v56
	v_cvt_i32_f32_e32 v36, v20
	v_mov_b32_e32 v20, 0
	v_ashrrev_i32_e32 v37, 31, v36
	v_cmp_lt_i64_e32 vcc, -1, v[36:37]
	s_and_saveexec_b64 s[10:11], vcc
	s_cbranch_execz .LBB59_111
; %bb.100:
	v_cmp_lt_i64_e32 vcc, 0, v[36:37]
	v_mov_b32_e32 v20, 1.0
	s_and_saveexec_b64 s[14:15], vcc
	s_cbranch_execz .LBB59_110
; %bb.101:
	v_cmp_ne_u64_e32 vcc, 1, v[36:37]
                                        ; implicit-def: $vgpr20
	s_and_saveexec_b64 s[20:21], vcc
	s_xor_b64 s[20:21], exec, s[20:21]
	s_cbranch_execz .LBB59_107
; %bb.102:
	s_mov_b64 s[22:23], 0x81
	v_cmp_gt_u64_e32 vcc, s[22:23], v[36:37]
	v_mov_b32_e32 v20, 0x7fc00000
	s_and_saveexec_b64 s[22:23], vcc
	s_cbranch_execz .LBB59_106
; %bb.103:
	s_mov_b64 s[26:27], 1
	s_mov_b64 s[24:25], 0
	v_mov_b32_e32 v21, 1.0
	v_mov_b32_e32 v20, v24
.LBB59_104:                             ; =>This Inner Loop Header: Depth=1
	s_flbit_i32_b32 s28, s27
	s_min_u32 s30, s28, 32
	s_lshl_b64 s[28:29], s[26:27], s30
	s_min_u32 s28, s28, 1
	s_or_b32 s28, s29, s28
	v_cvt_f32_u32_e32 v57, s28
	s_sub_i32 s30, 32, s30
	s_add_u32 s26, s26, 1
	s_addc_u32 s27, s27, 0
	v_ldexp_f32 v57, v57, s30
	v_cmp_eq_u64_e32 vcc, s[26:27], v[36:37]
	v_mul_f32_e32 v57, v21, v57
	s_or_b64 s[24:25], vcc, s[24:25]
	v_mov_b32_e32 v21, v20
	v_fma_f32 v20, v24, v20, -v57
	s_andn2_b64 exec, exec, s[24:25]
	s_cbranch_execnz .LBB59_104
; %bb.105:
	s_or_b64 exec, exec, s[24:25]
.LBB59_106:
	s_or_b64 exec, exec, s[22:23]
.LBB59_107:
	s_andn2_saveexec_b64 s[20:21], s[20:21]
; %bb.108:
	v_mov_b32_e32 v20, v24
; %bb.109:
	s_or_b64 exec, exec, s[20:21]
.LBB59_110:
	s_or_b64 exec, exec, s[14:15]
.LBB59_111:
	s_or_b64 exec, exec, s[10:11]
	v_cvt_f32_f16_sdwa v21, v56 dst_sel:DWORD dst_unused:UNUSED_PAD src0_sel:WORD_1
	v_cvt_i32_f32_e32 v36, v21
	v_mov_b32_e32 v21, 0
	v_ashrrev_i32_e32 v37, 31, v36
	v_cmp_lt_i64_e32 vcc, -1, v[36:37]
	s_and_saveexec_b64 s[10:11], vcc
	s_cbranch_execz .LBB59_123
; %bb.112:
	v_cmp_lt_i64_e32 vcc, 0, v[36:37]
	v_mov_b32_e32 v21, 1.0
	s_and_saveexec_b64 s[14:15], vcc
	s_cbranch_execz .LBB59_122
; %bb.113:
	v_cmp_ne_u64_e32 vcc, 1, v[36:37]
	s_and_saveexec_b64 s[20:21], vcc
	s_xor_b64 s[20:21], exec, s[20:21]
	s_cbranch_execz .LBB59_119
; %bb.114:
	s_mov_b64 s[22:23], 0x81
	v_cmp_gt_u64_e32 vcc, s[22:23], v[36:37]
	v_mov_b32_e32 v21, 0x7fc00000
	s_and_saveexec_b64 s[22:23], vcc
	s_cbranch_execz .LBB59_118
; %bb.115:
	s_mov_b64 s[26:27], 1
	s_mov_b64 s[24:25], 0
	v_mov_b32_e32 v24, 1.0
	v_mov_b32_e32 v21, v25
.LBB59_116:                             ; =>This Inner Loop Header: Depth=1
	s_flbit_i32_b32 s28, s27
	s_min_u32 s30, s28, 32
	s_lshl_b64 s[28:29], s[26:27], s30
	s_min_u32 s28, s28, 1
	s_or_b32 s28, s29, s28
	v_cvt_f32_u32_e32 v56, s28
	s_sub_i32 s30, 32, s30
	s_add_u32 s26, s26, 1
	s_addc_u32 s27, s27, 0
	v_ldexp_f32 v56, v56, s30
	v_cmp_eq_u64_e32 vcc, s[26:27], v[36:37]
	v_mul_f32_e32 v56, v24, v56
	s_or_b64 s[24:25], vcc, s[24:25]
	v_mov_b32_e32 v24, v21
	v_fma_f32 v21, v25, v21, -v56
	s_andn2_b64 exec, exec, s[24:25]
	s_cbranch_execnz .LBB59_116
; %bb.117:
	s_or_b64 exec, exec, s[24:25]
.LBB59_118:
	s_or_b64 exec, exec, s[22:23]
                                        ; implicit-def: $vgpr25
.LBB59_119:
	s_andn2_saveexec_b64 s[20:21], s[20:21]
; %bb.120:
	v_mov_b32_e32 v21, v25
; %bb.121:
	s_or_b64 exec, exec, s[20:21]
.LBB59_122:
	s_or_b64 exec, exec, s[14:15]
.LBB59_123:
	s_or_b64 exec, exec, s[10:11]
	s_waitcnt vmcnt(14)
	v_cvt_f32_f16_e32 v24, v55
	v_cvt_i32_f32_e32 v36, v24
	v_mov_b32_e32 v24, 0
	v_ashrrev_i32_e32 v37, 31, v36
	v_cmp_lt_i64_e32 vcc, -1, v[36:37]
	s_and_saveexec_b64 s[10:11], vcc
	s_cbranch_execz .LBB59_135
; %bb.124:
	v_cmp_lt_i64_e32 vcc, 0, v[36:37]
	v_mov_b32_e32 v24, 1.0
	s_and_saveexec_b64 s[14:15], vcc
	s_cbranch_execz .LBB59_134
; %bb.125:
	v_cmp_ne_u64_e32 vcc, 1, v[36:37]
                                        ; implicit-def: $vgpr24
	s_and_saveexec_b64 s[20:21], vcc
	s_xor_b64 s[20:21], exec, s[20:21]
	s_cbranch_execz .LBB59_131
; %bb.126:
	s_mov_b64 s[22:23], 0x81
	v_cmp_gt_u64_e32 vcc, s[22:23], v[36:37]
	v_mov_b32_e32 v24, 0x7fc00000
	s_and_saveexec_b64 s[22:23], vcc
	s_cbranch_execz .LBB59_130
; %bb.127:
	s_mov_b64 s[26:27], 1
	s_mov_b64 s[24:25], 0
	v_mov_b32_e32 v25, 1.0
	v_mov_b32_e32 v24, v28
.LBB59_128:                             ; =>This Inner Loop Header: Depth=1
	s_flbit_i32_b32 s28, s27
	s_min_u32 s30, s28, 32
	s_lshl_b64 s[28:29], s[26:27], s30
	s_min_u32 s28, s28, 1
	s_or_b32 s28, s29, s28
	v_cvt_f32_u32_e32 v56, s28
	s_sub_i32 s30, 32, s30
	s_add_u32 s26, s26, 1
	s_addc_u32 s27, s27, 0
	v_ldexp_f32 v56, v56, s30
	v_cmp_eq_u64_e32 vcc, s[26:27], v[36:37]
	v_mul_f32_e32 v56, v25, v56
	s_or_b64 s[24:25], vcc, s[24:25]
	v_mov_b32_e32 v25, v24
	v_fma_f32 v24, v28, v24, -v56
	s_andn2_b64 exec, exec, s[24:25]
	s_cbranch_execnz .LBB59_128
; %bb.129:
	s_or_b64 exec, exec, s[24:25]
.LBB59_130:
	s_or_b64 exec, exec, s[22:23]
.LBB59_131:
	s_andn2_saveexec_b64 s[20:21], s[20:21]
; %bb.132:
	v_mov_b32_e32 v24, v28
; %bb.133:
	s_or_b64 exec, exec, s[20:21]
.LBB59_134:
	s_or_b64 exec, exec, s[14:15]
.LBB59_135:
	s_or_b64 exec, exec, s[10:11]
	v_cvt_f32_f16_sdwa v25, v55 dst_sel:DWORD dst_unused:UNUSED_PAD src0_sel:WORD_1
	v_cvt_i32_f32_e32 v36, v25
	v_mov_b32_e32 v25, 0
	v_ashrrev_i32_e32 v37, 31, v36
	v_cmp_lt_i64_e32 vcc, -1, v[36:37]
	s_and_saveexec_b64 s[10:11], vcc
	s_cbranch_execz .LBB59_147
; %bb.136:
	v_cmp_lt_i64_e32 vcc, 0, v[36:37]
	v_mov_b32_e32 v25, 1.0
	s_and_saveexec_b64 s[14:15], vcc
	s_cbranch_execz .LBB59_146
; %bb.137:
	v_cmp_ne_u64_e32 vcc, 1, v[36:37]
	s_and_saveexec_b64 s[20:21], vcc
	s_xor_b64 s[20:21], exec, s[20:21]
	s_cbranch_execz .LBB59_143
; %bb.138:
	s_mov_b64 s[22:23], 0x81
	v_cmp_gt_u64_e32 vcc, s[22:23], v[36:37]
	v_mov_b32_e32 v25, 0x7fc00000
	s_and_saveexec_b64 s[22:23], vcc
	s_cbranch_execz .LBB59_142
; %bb.139:
	s_mov_b64 s[26:27], 1
	s_mov_b64 s[24:25], 0
	v_mov_b32_e32 v28, 1.0
	v_mov_b32_e32 v25, v29
.LBB59_140:                             ; =>This Inner Loop Header: Depth=1
	s_flbit_i32_b32 s28, s27
	s_min_u32 s30, s28, 32
	s_lshl_b64 s[28:29], s[26:27], s30
	s_min_u32 s28, s28, 1
	s_or_b32 s28, s29, s28
	v_cvt_f32_u32_e32 v55, s28
	s_sub_i32 s30, 32, s30
	s_add_u32 s26, s26, 1
	s_addc_u32 s27, s27, 0
	v_ldexp_f32 v55, v55, s30
	v_cmp_eq_u64_e32 vcc, s[26:27], v[36:37]
	v_mul_f32_e32 v55, v28, v55
	s_or_b64 s[24:25], vcc, s[24:25]
	v_mov_b32_e32 v28, v25
	v_fma_f32 v25, v29, v25, -v55
	s_andn2_b64 exec, exec, s[24:25]
	s_cbranch_execnz .LBB59_140
; %bb.141:
	s_or_b64 exec, exec, s[24:25]
.LBB59_142:
	s_or_b64 exec, exec, s[22:23]
                                        ; implicit-def: $vgpr29
.LBB59_143:
	s_andn2_saveexec_b64 s[20:21], s[20:21]
; %bb.144:
	v_mov_b32_e32 v25, v29
; %bb.145:
	s_or_b64 exec, exec, s[20:21]
.LBB59_146:
	s_or_b64 exec, exec, s[14:15]
.LBB59_147:
	s_or_b64 exec, exec, s[10:11]
	s_waitcnt vmcnt(13)
	v_cvt_f32_f16_e32 v28, v54
	v_cvt_i32_f32_e32 v36, v28
	v_mov_b32_e32 v28, 0
	v_ashrrev_i32_e32 v37, 31, v36
	v_cmp_lt_i64_e32 vcc, -1, v[36:37]
	s_and_saveexec_b64 s[10:11], vcc
	s_cbranch_execz .LBB59_159
; %bb.148:
	v_cmp_lt_i64_e32 vcc, 0, v[36:37]
	v_mov_b32_e32 v28, 1.0
	s_and_saveexec_b64 s[14:15], vcc
	s_cbranch_execz .LBB59_158
; %bb.149:
	v_cmp_ne_u64_e32 vcc, 1, v[36:37]
                                        ; implicit-def: $vgpr28
	s_and_saveexec_b64 s[20:21], vcc
	s_xor_b64 s[20:21], exec, s[20:21]
	s_cbranch_execz .LBB59_155
; %bb.150:
	s_mov_b64 s[22:23], 0x81
	v_cmp_gt_u64_e32 vcc, s[22:23], v[36:37]
	v_mov_b32_e32 v28, 0x7fc00000
	s_and_saveexec_b64 s[22:23], vcc
	s_cbranch_execz .LBB59_154
; %bb.151:
	s_mov_b64 s[26:27], 1
	s_mov_b64 s[24:25], 0
	v_mov_b32_e32 v29, 1.0
	v_mov_b32_e32 v28, v32
.LBB59_152:                             ; =>This Inner Loop Header: Depth=1
	s_flbit_i32_b32 s28, s27
	s_min_u32 s30, s28, 32
	s_lshl_b64 s[28:29], s[26:27], s30
	s_min_u32 s28, s28, 1
	s_or_b32 s28, s29, s28
	v_cvt_f32_u32_e32 v55, s28
	s_sub_i32 s30, 32, s30
	s_add_u32 s26, s26, 1
	s_addc_u32 s27, s27, 0
	v_ldexp_f32 v55, v55, s30
	v_cmp_eq_u64_e32 vcc, s[26:27], v[36:37]
	v_mul_f32_e32 v55, v29, v55
	s_or_b64 s[24:25], vcc, s[24:25]
	v_mov_b32_e32 v29, v28
	v_fma_f32 v28, v32, v28, -v55
	s_andn2_b64 exec, exec, s[24:25]
	s_cbranch_execnz .LBB59_152
; %bb.153:
	s_or_b64 exec, exec, s[24:25]
.LBB59_154:
	s_or_b64 exec, exec, s[22:23]
.LBB59_155:
	s_andn2_saveexec_b64 s[20:21], s[20:21]
; %bb.156:
	v_mov_b32_e32 v28, v32
; %bb.157:
	s_or_b64 exec, exec, s[20:21]
.LBB59_158:
	s_or_b64 exec, exec, s[14:15]
.LBB59_159:
	s_or_b64 exec, exec, s[10:11]
	v_cvt_f32_f16_sdwa v29, v54 dst_sel:DWORD dst_unused:UNUSED_PAD src0_sel:WORD_1
	v_cvt_i32_f32_e32 v36, v29
	v_mov_b32_e32 v29, 0
	v_ashrrev_i32_e32 v37, 31, v36
	v_cmp_lt_i64_e32 vcc, -1, v[36:37]
	s_and_saveexec_b64 s[10:11], vcc
	s_cbranch_execz .LBB59_171
; %bb.160:
	v_cmp_lt_i64_e32 vcc, 0, v[36:37]
	v_mov_b32_e32 v29, 1.0
	s_and_saveexec_b64 s[14:15], vcc
	s_cbranch_execz .LBB59_170
; %bb.161:
	v_cmp_ne_u64_e32 vcc, 1, v[36:37]
	s_and_saveexec_b64 s[20:21], vcc
	s_xor_b64 s[20:21], exec, s[20:21]
	s_cbranch_execz .LBB59_167
; %bb.162:
	s_mov_b64 s[22:23], 0x81
	v_cmp_gt_u64_e32 vcc, s[22:23], v[36:37]
	v_mov_b32_e32 v29, 0x7fc00000
	s_and_saveexec_b64 s[22:23], vcc
	s_cbranch_execz .LBB59_166
; %bb.163:
	s_mov_b64 s[26:27], 1
	s_mov_b64 s[24:25], 0
	v_mov_b32_e32 v32, 1.0
	v_mov_b32_e32 v29, v33
.LBB59_164:                             ; =>This Inner Loop Header: Depth=1
	s_flbit_i32_b32 s28, s27
	s_min_u32 s30, s28, 32
	s_lshl_b64 s[28:29], s[26:27], s30
	s_min_u32 s28, s28, 1
	s_or_b32 s28, s29, s28
	v_cvt_f32_u32_e32 v54, s28
	s_sub_i32 s30, 32, s30
	s_add_u32 s26, s26, 1
	s_addc_u32 s27, s27, 0
	v_ldexp_f32 v54, v54, s30
	v_cmp_eq_u64_e32 vcc, s[26:27], v[36:37]
	v_mul_f32_e32 v54, v32, v54
	s_or_b64 s[24:25], vcc, s[24:25]
	v_mov_b32_e32 v32, v29
	v_fma_f32 v29, v33, v29, -v54
	s_andn2_b64 exec, exec, s[24:25]
	s_cbranch_execnz .LBB59_164
; %bb.165:
	s_or_b64 exec, exec, s[24:25]
.LBB59_166:
	s_or_b64 exec, exec, s[22:23]
                                        ; implicit-def: $vgpr33
.LBB59_167:
	s_andn2_saveexec_b64 s[20:21], s[20:21]
; %bb.168:
	v_mov_b32_e32 v29, v33
; %bb.169:
	s_or_b64 exec, exec, s[20:21]
.LBB59_170:
	s_or_b64 exec, exec, s[14:15]
.LBB59_171:
	s_or_b64 exec, exec, s[10:11]
	s_waitcnt vmcnt(12)
	v_cvt_f32_f16_e32 v32, v53
	v_cvt_i32_f32_e32 v36, v32
	v_mov_b32_e32 v32, 0
	v_ashrrev_i32_e32 v37, 31, v36
	v_cmp_lt_i64_e32 vcc, -1, v[36:37]
	s_and_saveexec_b64 s[10:11], vcc
	s_cbranch_execz .LBB59_183
; %bb.172:
	v_cmp_lt_i64_e32 vcc, 0, v[36:37]
	v_mov_b32_e32 v32, 1.0
	s_and_saveexec_b64 s[14:15], vcc
	s_cbranch_execz .LBB59_182
; %bb.173:
	v_cmp_ne_u64_e32 vcc, 1, v[36:37]
                                        ; implicit-def: $vgpr32
	s_and_saveexec_b64 s[20:21], vcc
	s_xor_b64 s[20:21], exec, s[20:21]
	s_cbranch_execz .LBB59_179
; %bb.174:
	s_mov_b64 s[22:23], 0x81
	v_cmp_gt_u64_e32 vcc, s[22:23], v[36:37]
	v_mov_b32_e32 v32, 0x7fc00000
	s_and_saveexec_b64 s[22:23], vcc
	s_cbranch_execz .LBB59_178
; %bb.175:
	s_mov_b64 s[26:27], 1
	s_mov_b64 s[24:25], 0
	v_mov_b32_e32 v33, 1.0
	v_mov_b32_e32 v32, v34
.LBB59_176:                             ; =>This Inner Loop Header: Depth=1
	s_flbit_i32_b32 s28, s27
	s_min_u32 s30, s28, 32
	s_lshl_b64 s[28:29], s[26:27], s30
	s_min_u32 s28, s28, 1
	s_or_b32 s28, s29, s28
	v_cvt_f32_u32_e32 v54, s28
	s_sub_i32 s30, 32, s30
	s_add_u32 s26, s26, 1
	s_addc_u32 s27, s27, 0
	v_ldexp_f32 v54, v54, s30
	v_cmp_eq_u64_e32 vcc, s[26:27], v[36:37]
	v_mul_f32_e32 v54, v33, v54
	s_or_b64 s[24:25], vcc, s[24:25]
	v_mov_b32_e32 v33, v32
	v_fma_f32 v32, v34, v32, -v54
	s_andn2_b64 exec, exec, s[24:25]
	s_cbranch_execnz .LBB59_176
; %bb.177:
	s_or_b64 exec, exec, s[24:25]
.LBB59_178:
	s_or_b64 exec, exec, s[22:23]
.LBB59_179:
	s_andn2_saveexec_b64 s[20:21], s[20:21]
; %bb.180:
	v_mov_b32_e32 v32, v34
; %bb.181:
	s_or_b64 exec, exec, s[20:21]
.LBB59_182:
	s_or_b64 exec, exec, s[14:15]
.LBB59_183:
	s_or_b64 exec, exec, s[10:11]
	v_cvt_f32_f16_sdwa v33, v53 dst_sel:DWORD dst_unused:UNUSED_PAD src0_sel:WORD_1
	v_cvt_i32_f32_e32 v36, v33
	v_mov_b32_e32 v33, 0
	v_ashrrev_i32_e32 v37, 31, v36
	v_cmp_lt_i64_e32 vcc, -1, v[36:37]
	s_and_saveexec_b64 s[10:11], vcc
	s_cbranch_execz .LBB59_195
; %bb.184:
	v_cmp_lt_i64_e32 vcc, 0, v[36:37]
	v_mov_b32_e32 v33, 1.0
	s_and_saveexec_b64 s[14:15], vcc
	s_cbranch_execz .LBB59_194
; %bb.185:
	v_cmp_ne_u64_e32 vcc, 1, v[36:37]
	s_and_saveexec_b64 s[20:21], vcc
	s_xor_b64 s[20:21], exec, s[20:21]
	s_cbranch_execz .LBB59_191
; %bb.186:
	s_mov_b64 s[22:23], 0x81
	v_cmp_gt_u64_e32 vcc, s[22:23], v[36:37]
	v_mov_b32_e32 v33, 0x7fc00000
	s_and_saveexec_b64 s[22:23], vcc
	s_cbranch_execz .LBB59_190
; %bb.187:
	s_mov_b64 s[26:27], 1
	s_mov_b64 s[24:25], 0
	v_mov_b32_e32 v34, 1.0
	v_mov_b32_e32 v33, v35
.LBB59_188:                             ; =>This Inner Loop Header: Depth=1
	s_flbit_i32_b32 s28, s27
	s_min_u32 s30, s28, 32
	s_lshl_b64 s[28:29], s[26:27], s30
	s_min_u32 s28, s28, 1
	s_or_b32 s28, s29, s28
	v_cvt_f32_u32_e32 v53, s28
	s_sub_i32 s30, 32, s30
	s_add_u32 s26, s26, 1
	s_addc_u32 s27, s27, 0
	v_ldexp_f32 v53, v53, s30
	v_cmp_eq_u64_e32 vcc, s[26:27], v[36:37]
	v_mul_f32_e32 v53, v34, v53
	s_or_b64 s[24:25], vcc, s[24:25]
	v_mov_b32_e32 v34, v33
	v_fma_f32 v33, v35, v33, -v53
	s_andn2_b64 exec, exec, s[24:25]
	s_cbranch_execnz .LBB59_188
; %bb.189:
	s_or_b64 exec, exec, s[24:25]
.LBB59_190:
	s_or_b64 exec, exec, s[22:23]
                                        ; implicit-def: $vgpr35
.LBB59_191:
	s_andn2_saveexec_b64 s[20:21], s[20:21]
; %bb.192:
	v_mov_b32_e32 v33, v35
; %bb.193:
	s_or_b64 exec, exec, s[20:21]
.LBB59_194:
	s_or_b64 exec, exec, s[14:15]
.LBB59_195:
	s_or_b64 exec, exec, s[10:11]
	s_waitcnt vmcnt(11)
	v_cvt_f32_f16_e32 v34, v52
	v_cvt_i32_f32_e32 v36, v34
	v_mov_b32_e32 v34, 0
	v_ashrrev_i32_e32 v37, 31, v36
	v_cmp_lt_i64_e32 vcc, -1, v[36:37]
	s_and_saveexec_b64 s[10:11], vcc
	s_cbranch_execz .LBB59_207
; %bb.196:
	v_cmp_lt_i64_e32 vcc, 0, v[36:37]
	v_mov_b32_e32 v34, 1.0
	s_and_saveexec_b64 s[14:15], vcc
	s_cbranch_execz .LBB59_206
; %bb.197:
	v_cmp_ne_u64_e32 vcc, 1, v[36:37]
                                        ; implicit-def: $vgpr34
	s_and_saveexec_b64 s[20:21], vcc
	s_xor_b64 s[20:21], exec, s[20:21]
	s_cbranch_execz .LBB59_203
; %bb.198:
	s_mov_b64 s[22:23], 0x81
	v_cmp_gt_u64_e32 vcc, s[22:23], v[36:37]
	v_mov_b32_e32 v34, 0x7fc00000
	s_and_saveexec_b64 s[22:23], vcc
	s_cbranch_execz .LBB59_202
; %bb.199:
	s_mov_b64 s[26:27], 1
	s_mov_b64 s[24:25], 0
	v_mov_b32_e32 v35, 1.0
	v_mov_b32_e32 v34, v30
.LBB59_200:                             ; =>This Inner Loop Header: Depth=1
	s_flbit_i32_b32 s28, s27
	s_min_u32 s30, s28, 32
	s_lshl_b64 s[28:29], s[26:27], s30
	s_min_u32 s28, s28, 1
	s_or_b32 s28, s29, s28
	v_cvt_f32_u32_e32 v53, s28
	s_sub_i32 s30, 32, s30
	s_add_u32 s26, s26, 1
	s_addc_u32 s27, s27, 0
	v_ldexp_f32 v53, v53, s30
	v_cmp_eq_u64_e32 vcc, s[26:27], v[36:37]
	v_mul_f32_e32 v53, v35, v53
	s_or_b64 s[24:25], vcc, s[24:25]
	v_mov_b32_e32 v35, v34
	v_fma_f32 v34, v30, v34, -v53
	s_andn2_b64 exec, exec, s[24:25]
	s_cbranch_execnz .LBB59_200
; %bb.201:
	s_or_b64 exec, exec, s[24:25]
.LBB59_202:
	s_or_b64 exec, exec, s[22:23]
.LBB59_203:
	s_andn2_saveexec_b64 s[20:21], s[20:21]
; %bb.204:
	v_mov_b32_e32 v34, v30
; %bb.205:
	s_or_b64 exec, exec, s[20:21]
.LBB59_206:
	s_or_b64 exec, exec, s[14:15]
.LBB59_207:
	s_or_b64 exec, exec, s[10:11]
	v_cvt_f32_f16_sdwa v30, v52 dst_sel:DWORD dst_unused:UNUSED_PAD src0_sel:WORD_1
	v_mov_b32_e32 v35, 0
	v_cvt_i32_f32_e32 v36, v30
	v_ashrrev_i32_e32 v37, 31, v36
	v_cmp_lt_i64_e32 vcc, -1, v[36:37]
	s_and_saveexec_b64 s[10:11], vcc
	s_cbranch_execz .LBB59_219
; %bb.208:
	v_cmp_lt_i64_e32 vcc, 0, v[36:37]
	v_mov_b32_e32 v35, 1.0
	s_and_saveexec_b64 s[14:15], vcc
	s_cbranch_execz .LBB59_218
; %bb.209:
	v_cmp_ne_u64_e32 vcc, 1, v[36:37]
	s_and_saveexec_b64 s[20:21], vcc
	s_xor_b64 s[20:21], exec, s[20:21]
	s_cbranch_execz .LBB59_215
; %bb.210:
	s_mov_b64 s[22:23], 0x81
	v_cmp_gt_u64_e32 vcc, s[22:23], v[36:37]
	v_mov_b32_e32 v35, 0x7fc00000
	s_and_saveexec_b64 s[22:23], vcc
	s_cbranch_execz .LBB59_214
; %bb.211:
	s_mov_b64 s[26:27], 1
	s_mov_b64 s[24:25], 0
	v_mov_b32_e32 v30, 1.0
	v_mov_b32_e32 v35, v31
.LBB59_212:                             ; =>This Inner Loop Header: Depth=1
	s_flbit_i32_b32 s28, s27
	s_min_u32 s30, s28, 32
	s_lshl_b64 s[28:29], s[26:27], s30
	s_min_u32 s28, s28, 1
	s_or_b32 s28, s29, s28
	v_cvt_f32_u32_e32 v52, s28
	s_sub_i32 s30, 32, s30
	s_add_u32 s26, s26, 1
	s_addc_u32 s27, s27, 0
	v_ldexp_f32 v52, v52, s30
	v_cmp_eq_u64_e32 vcc, s[26:27], v[36:37]
	v_mul_f32_e32 v52, v30, v52
	s_or_b64 s[24:25], vcc, s[24:25]
	v_mov_b32_e32 v30, v35
	v_fma_f32 v35, v31, v35, -v52
	s_andn2_b64 exec, exec, s[24:25]
	s_cbranch_execnz .LBB59_212
; %bb.213:
	s_or_b64 exec, exec, s[24:25]
.LBB59_214:
	s_or_b64 exec, exec, s[22:23]
                                        ; implicit-def: $vgpr31
.LBB59_215:
	s_andn2_saveexec_b64 s[20:21], s[20:21]
; %bb.216:
	v_mov_b32_e32 v35, v31
; %bb.217:
	s_or_b64 exec, exec, s[20:21]
.LBB59_218:
	s_or_b64 exec, exec, s[14:15]
.LBB59_219:
	s_or_b64 exec, exec, s[10:11]
	s_waitcnt vmcnt(10)
	v_cvt_f32_f16_e32 v30, v51
	v_cvt_i32_f32_e32 v36, v30
	v_mov_b32_e32 v30, 0
	v_ashrrev_i32_e32 v37, 31, v36
	v_cmp_lt_i64_e32 vcc, -1, v[36:37]
	s_and_saveexec_b64 s[10:11], vcc
	s_cbranch_execz .LBB59_231
; %bb.220:
	v_cmp_lt_i64_e32 vcc, 0, v[36:37]
	v_mov_b32_e32 v30, 1.0
	s_and_saveexec_b64 s[14:15], vcc
	s_cbranch_execz .LBB59_230
; %bb.221:
	v_cmp_ne_u64_e32 vcc, 1, v[36:37]
                                        ; implicit-def: $vgpr30
	s_and_saveexec_b64 s[20:21], vcc
	s_xor_b64 s[20:21], exec, s[20:21]
	s_cbranch_execz .LBB59_227
; %bb.222:
	s_mov_b64 s[22:23], 0x81
	v_cmp_gt_u64_e32 vcc, s[22:23], v[36:37]
	v_mov_b32_e32 v30, 0x7fc00000
	s_and_saveexec_b64 s[22:23], vcc
	s_cbranch_execz .LBB59_226
; %bb.223:
	s_mov_b64 s[26:27], 1
	s_mov_b64 s[24:25], 0
	v_mov_b32_e32 v31, 1.0
	v_mov_b32_e32 v30, v26
.LBB59_224:                             ; =>This Inner Loop Header: Depth=1
	s_flbit_i32_b32 s28, s27
	s_min_u32 s30, s28, 32
	s_lshl_b64 s[28:29], s[26:27], s30
	s_min_u32 s28, s28, 1
	s_or_b32 s28, s29, s28
	v_cvt_f32_u32_e32 v52, s28
	s_sub_i32 s30, 32, s30
	s_add_u32 s26, s26, 1
	s_addc_u32 s27, s27, 0
	v_ldexp_f32 v52, v52, s30
	v_cmp_eq_u64_e32 vcc, s[26:27], v[36:37]
	v_mul_f32_e32 v52, v31, v52
	s_or_b64 s[24:25], vcc, s[24:25]
	v_mov_b32_e32 v31, v30
	v_fma_f32 v30, v26, v30, -v52
	s_andn2_b64 exec, exec, s[24:25]
	s_cbranch_execnz .LBB59_224
; %bb.225:
	s_or_b64 exec, exec, s[24:25]
.LBB59_226:
	s_or_b64 exec, exec, s[22:23]
.LBB59_227:
	s_andn2_saveexec_b64 s[20:21], s[20:21]
; %bb.228:
	v_mov_b32_e32 v30, v26
; %bb.229:
	s_or_b64 exec, exec, s[20:21]
.LBB59_230:
	s_or_b64 exec, exec, s[14:15]
.LBB59_231:
	s_or_b64 exec, exec, s[10:11]
	v_cvt_f32_f16_sdwa v26, v51 dst_sel:DWORD dst_unused:UNUSED_PAD src0_sel:WORD_1
	v_mov_b32_e32 v31, 0
	v_cvt_i32_f32_e32 v36, v26
	v_ashrrev_i32_e32 v37, 31, v36
	v_cmp_lt_i64_e32 vcc, -1, v[36:37]
	s_and_saveexec_b64 s[10:11], vcc
	s_cbranch_execz .LBB59_243
; %bb.232:
	v_cmp_lt_i64_e32 vcc, 0, v[36:37]
	v_mov_b32_e32 v31, 1.0
	s_and_saveexec_b64 s[14:15], vcc
	s_cbranch_execz .LBB59_242
; %bb.233:
	v_cmp_ne_u64_e32 vcc, 1, v[36:37]
	s_and_saveexec_b64 s[20:21], vcc
	s_xor_b64 s[20:21], exec, s[20:21]
	s_cbranch_execz .LBB59_239
; %bb.234:
	s_mov_b64 s[22:23], 0x81
	v_cmp_gt_u64_e32 vcc, s[22:23], v[36:37]
	v_mov_b32_e32 v31, 0x7fc00000
	s_and_saveexec_b64 s[22:23], vcc
	s_cbranch_execz .LBB59_238
; %bb.235:
	s_mov_b64 s[26:27], 1
	s_mov_b64 s[24:25], 0
	v_mov_b32_e32 v26, 1.0
	v_mov_b32_e32 v31, v27
.LBB59_236:                             ; =>This Inner Loop Header: Depth=1
	s_flbit_i32_b32 s28, s27
	s_min_u32 s30, s28, 32
	s_lshl_b64 s[28:29], s[26:27], s30
	s_min_u32 s28, s28, 1
	s_or_b32 s28, s29, s28
	v_cvt_f32_u32_e32 v51, s28
	s_sub_i32 s30, 32, s30
	s_add_u32 s26, s26, 1
	s_addc_u32 s27, s27, 0
	v_ldexp_f32 v51, v51, s30
	v_cmp_eq_u64_e32 vcc, s[26:27], v[36:37]
	v_mul_f32_e32 v51, v26, v51
	s_or_b64 s[24:25], vcc, s[24:25]
	v_mov_b32_e32 v26, v31
	v_fma_f32 v31, v27, v31, -v51
	s_andn2_b64 exec, exec, s[24:25]
	s_cbranch_execnz .LBB59_236
; %bb.237:
	s_or_b64 exec, exec, s[24:25]
.LBB59_238:
	s_or_b64 exec, exec, s[22:23]
                                        ; implicit-def: $vgpr27
.LBB59_239:
	s_andn2_saveexec_b64 s[20:21], s[20:21]
; %bb.240:
	v_mov_b32_e32 v31, v27
; %bb.241:
	s_or_b64 exec, exec, s[20:21]
.LBB59_242:
	s_or_b64 exec, exec, s[14:15]
.LBB59_243:
	s_or_b64 exec, exec, s[10:11]
	s_waitcnt vmcnt(5)
	v_cvt_f32_f16_e32 v26, v50
	v_cvt_i32_f32_e32 v36, v26
	v_mov_b32_e32 v26, 0
	v_ashrrev_i32_e32 v37, 31, v36
	v_cmp_lt_i64_e32 vcc, -1, v[36:37]
	s_and_saveexec_b64 s[10:11], vcc
	s_cbranch_execz .LBB59_255
; %bb.244:
	v_cmp_lt_i64_e32 vcc, 0, v[36:37]
	v_mov_b32_e32 v26, 1.0
	s_and_saveexec_b64 s[14:15], vcc
	s_cbranch_execz .LBB59_254
; %bb.245:
	v_cmp_ne_u64_e32 vcc, 1, v[36:37]
                                        ; implicit-def: $vgpr26
	s_and_saveexec_b64 s[20:21], vcc
	s_xor_b64 s[20:21], exec, s[20:21]
	s_cbranch_execz .LBB59_251
; %bb.246:
	s_mov_b64 s[22:23], 0x81
	v_cmp_gt_u64_e32 vcc, s[22:23], v[36:37]
	v_mov_b32_e32 v26, 0x7fc00000
	s_and_saveexec_b64 s[22:23], vcc
	s_cbranch_execz .LBB59_250
; %bb.247:
	s_mov_b64 s[26:27], 1
	s_mov_b64 s[24:25], 0
	v_mov_b32_e32 v27, 1.0
	v_mov_b32_e32 v26, v22
.LBB59_248:                             ; =>This Inner Loop Header: Depth=1
	s_flbit_i32_b32 s28, s27
	s_min_u32 s30, s28, 32
	s_lshl_b64 s[28:29], s[26:27], s30
	s_min_u32 s28, s28, 1
	s_or_b32 s28, s29, s28
	v_cvt_f32_u32_e32 v51, s28
	s_sub_i32 s30, 32, s30
	s_add_u32 s26, s26, 1
	s_addc_u32 s27, s27, 0
	v_ldexp_f32 v51, v51, s30
	v_cmp_eq_u64_e32 vcc, s[26:27], v[36:37]
	v_mul_f32_e32 v51, v27, v51
	s_or_b64 s[24:25], vcc, s[24:25]
	v_mov_b32_e32 v27, v26
	v_fma_f32 v26, v22, v26, -v51
	s_andn2_b64 exec, exec, s[24:25]
	s_cbranch_execnz .LBB59_248
; %bb.249:
	s_or_b64 exec, exec, s[24:25]
.LBB59_250:
	s_or_b64 exec, exec, s[22:23]
.LBB59_251:
	s_andn2_saveexec_b64 s[20:21], s[20:21]
; %bb.252:
	v_mov_b32_e32 v26, v22
; %bb.253:
	s_or_b64 exec, exec, s[20:21]
.LBB59_254:
	s_or_b64 exec, exec, s[14:15]
.LBB59_255:
	s_or_b64 exec, exec, s[10:11]
	v_cvt_f32_f16_sdwa v22, v50 dst_sel:DWORD dst_unused:UNUSED_PAD src0_sel:WORD_1
	v_mov_b32_e32 v27, 0
	v_cvt_i32_f32_e32 v36, v22
	v_ashrrev_i32_e32 v37, 31, v36
	v_cmp_lt_i64_e32 vcc, -1, v[36:37]
	s_and_saveexec_b64 s[10:11], vcc
	s_cbranch_execz .LBB59_267
; %bb.256:
	v_cmp_lt_i64_e32 vcc, 0, v[36:37]
	v_mov_b32_e32 v27, 1.0
	s_and_saveexec_b64 s[14:15], vcc
	s_cbranch_execz .LBB59_266
; %bb.257:
	v_cmp_ne_u64_e32 vcc, 1, v[36:37]
	s_and_saveexec_b64 s[20:21], vcc
	s_xor_b64 s[20:21], exec, s[20:21]
	s_cbranch_execz .LBB59_263
; %bb.258:
	s_mov_b64 s[22:23], 0x81
	v_cmp_gt_u64_e32 vcc, s[22:23], v[36:37]
	v_mov_b32_e32 v27, 0x7fc00000
	s_and_saveexec_b64 s[22:23], vcc
	s_cbranch_execz .LBB59_262
; %bb.259:
	s_mov_b64 s[26:27], 1
	s_mov_b64 s[24:25], 0
	v_mov_b32_e32 v22, 1.0
	v_mov_b32_e32 v27, v23
.LBB59_260:                             ; =>This Inner Loop Header: Depth=1
	s_flbit_i32_b32 s28, s27
	s_min_u32 s30, s28, 32
	s_lshl_b64 s[28:29], s[26:27], s30
	s_min_u32 s28, s28, 1
	s_or_b32 s28, s29, s28
	v_cvt_f32_u32_e32 v50, s28
	s_sub_i32 s30, 32, s30
	s_add_u32 s26, s26, 1
	s_addc_u32 s27, s27, 0
	v_ldexp_f32 v50, v50, s30
	v_cmp_eq_u64_e32 vcc, s[26:27], v[36:37]
	v_mul_f32_e32 v50, v22, v50
	s_or_b64 s[24:25], vcc, s[24:25]
	v_mov_b32_e32 v22, v27
	v_fma_f32 v27, v23, v27, -v50
	s_andn2_b64 exec, exec, s[24:25]
	s_cbranch_execnz .LBB59_260
; %bb.261:
	s_or_b64 exec, exec, s[24:25]
.LBB59_262:
	s_or_b64 exec, exec, s[22:23]
                                        ; implicit-def: $vgpr23
.LBB59_263:
	s_andn2_saveexec_b64 s[20:21], s[20:21]
; %bb.264:
	v_mov_b32_e32 v27, v23
; %bb.265:
	s_or_b64 exec, exec, s[20:21]
.LBB59_266:
	s_or_b64 exec, exec, s[14:15]
.LBB59_267:
	s_or_b64 exec, exec, s[10:11]
	s_waitcnt vmcnt(4)
	v_cvt_f32_f16_e32 v22, v49
	v_cvt_i32_f32_e32 v36, v22
	v_mov_b32_e32 v22, 0
	v_ashrrev_i32_e32 v37, 31, v36
	v_cmp_lt_i64_e32 vcc, -1, v[36:37]
	s_and_saveexec_b64 s[10:11], vcc
	s_cbranch_execz .LBB59_279
; %bb.268:
	v_cmp_lt_i64_e32 vcc, 0, v[36:37]
	v_mov_b32_e32 v22, 1.0
	s_and_saveexec_b64 s[14:15], vcc
	s_cbranch_execz .LBB59_278
; %bb.269:
	v_cmp_ne_u64_e32 vcc, 1, v[36:37]
                                        ; implicit-def: $vgpr22
	s_and_saveexec_b64 s[20:21], vcc
	s_xor_b64 s[20:21], exec, s[20:21]
	s_cbranch_execz .LBB59_275
; %bb.270:
	s_mov_b64 s[22:23], 0x81
	v_cmp_gt_u64_e32 vcc, s[22:23], v[36:37]
	v_mov_b32_e32 v22, 0x7fc00000
	s_and_saveexec_b64 s[22:23], vcc
	s_cbranch_execz .LBB59_274
; %bb.271:
	s_mov_b64 s[26:27], 1
	s_mov_b64 s[24:25], 0
	v_mov_b32_e32 v23, 1.0
	v_mov_b32_e32 v22, v18
.LBB59_272:                             ; =>This Inner Loop Header: Depth=1
	s_flbit_i32_b32 s28, s27
	s_min_u32 s30, s28, 32
	s_lshl_b64 s[28:29], s[26:27], s30
	s_min_u32 s28, s28, 1
	s_or_b32 s28, s29, s28
	v_cvt_f32_u32_e32 v50, s28
	s_sub_i32 s30, 32, s30
	s_add_u32 s26, s26, 1
	s_addc_u32 s27, s27, 0
	v_ldexp_f32 v50, v50, s30
	v_cmp_eq_u64_e32 vcc, s[26:27], v[36:37]
	v_mul_f32_e32 v50, v23, v50
	s_or_b64 s[24:25], vcc, s[24:25]
	v_mov_b32_e32 v23, v22
	v_fma_f32 v22, v18, v22, -v50
	s_andn2_b64 exec, exec, s[24:25]
	s_cbranch_execnz .LBB59_272
; %bb.273:
	s_or_b64 exec, exec, s[24:25]
.LBB59_274:
	s_or_b64 exec, exec, s[22:23]
.LBB59_275:
	s_andn2_saveexec_b64 s[20:21], s[20:21]
; %bb.276:
	v_mov_b32_e32 v22, v18
; %bb.277:
	s_or_b64 exec, exec, s[20:21]
.LBB59_278:
	s_or_b64 exec, exec, s[14:15]
.LBB59_279:
	s_or_b64 exec, exec, s[10:11]
	v_cvt_f32_f16_sdwa v18, v49 dst_sel:DWORD dst_unused:UNUSED_PAD src0_sel:WORD_1
	v_mov_b32_e32 v23, 0
	v_cvt_i32_f32_e32 v36, v18
	v_ashrrev_i32_e32 v37, 31, v36
	v_cmp_lt_i64_e32 vcc, -1, v[36:37]
	s_and_saveexec_b64 s[10:11], vcc
	s_cbranch_execz .LBB59_291
; %bb.280:
	v_cmp_lt_i64_e32 vcc, 0, v[36:37]
	v_mov_b32_e32 v23, 1.0
	s_and_saveexec_b64 s[14:15], vcc
	s_cbranch_execz .LBB59_290
; %bb.281:
	v_cmp_ne_u64_e32 vcc, 1, v[36:37]
	s_and_saveexec_b64 s[20:21], vcc
	s_xor_b64 s[20:21], exec, s[20:21]
	s_cbranch_execz .LBB59_287
; %bb.282:
	s_mov_b64 s[22:23], 0x81
	v_cmp_gt_u64_e32 vcc, s[22:23], v[36:37]
	v_mov_b32_e32 v23, 0x7fc00000
	s_and_saveexec_b64 s[22:23], vcc
	s_cbranch_execz .LBB59_286
; %bb.283:
	s_mov_b64 s[26:27], 1
	s_mov_b64 s[24:25], 0
	v_mov_b32_e32 v18, 1.0
	v_mov_b32_e32 v23, v19
.LBB59_284:                             ; =>This Inner Loop Header: Depth=1
	s_flbit_i32_b32 s28, s27
	s_min_u32 s30, s28, 32
	s_lshl_b64 s[28:29], s[26:27], s30
	s_min_u32 s28, s28, 1
	s_or_b32 s28, s29, s28
	v_cvt_f32_u32_e32 v49, s28
	s_sub_i32 s30, 32, s30
	s_add_u32 s26, s26, 1
	s_addc_u32 s27, s27, 0
	v_ldexp_f32 v49, v49, s30
	v_cmp_eq_u64_e32 vcc, s[26:27], v[36:37]
	v_mul_f32_e32 v49, v18, v49
	s_or_b64 s[24:25], vcc, s[24:25]
	v_mov_b32_e32 v18, v23
	v_fma_f32 v23, v19, v23, -v49
	s_andn2_b64 exec, exec, s[24:25]
	s_cbranch_execnz .LBB59_284
; %bb.285:
	s_or_b64 exec, exec, s[24:25]
.LBB59_286:
	s_or_b64 exec, exec, s[22:23]
                                        ; implicit-def: $vgpr19
.LBB59_287:
	s_andn2_saveexec_b64 s[20:21], s[20:21]
; %bb.288:
	v_mov_b32_e32 v23, v19
; %bb.289:
	s_or_b64 exec, exec, s[20:21]
.LBB59_290:
	s_or_b64 exec, exec, s[14:15]
.LBB59_291:
	s_or_b64 exec, exec, s[10:11]
	s_waitcnt vmcnt(3)
	v_cvt_f32_f16_e32 v18, v48
	v_cvt_i32_f32_e32 v36, v18
	v_mov_b32_e32 v18, 0
	v_ashrrev_i32_e32 v37, 31, v36
	v_cmp_lt_i64_e32 vcc, -1, v[36:37]
	s_and_saveexec_b64 s[10:11], vcc
	s_cbranch_execz .LBB59_303
; %bb.292:
	v_cmp_lt_i64_e32 vcc, 0, v[36:37]
	v_mov_b32_e32 v18, 1.0
	s_and_saveexec_b64 s[14:15], vcc
	s_cbranch_execz .LBB59_302
; %bb.293:
	v_cmp_ne_u64_e32 vcc, 1, v[36:37]
                                        ; implicit-def: $vgpr18
	s_and_saveexec_b64 s[20:21], vcc
	s_xor_b64 s[20:21], exec, s[20:21]
	s_cbranch_execz .LBB59_299
; %bb.294:
	s_mov_b64 s[22:23], 0x81
	v_cmp_gt_u64_e32 vcc, s[22:23], v[36:37]
	v_mov_b32_e32 v18, 0x7fc00000
	s_and_saveexec_b64 s[22:23], vcc
	s_cbranch_execz .LBB59_298
; %bb.295:
	s_mov_b64 s[26:27], 1
	s_mov_b64 s[24:25], 0
	v_mov_b32_e32 v19, 1.0
	v_mov_b32_e32 v18, v14
.LBB59_296:                             ; =>This Inner Loop Header: Depth=1
	s_flbit_i32_b32 s28, s27
	s_min_u32 s30, s28, 32
	s_lshl_b64 s[28:29], s[26:27], s30
	s_min_u32 s28, s28, 1
	s_or_b32 s28, s29, s28
	v_cvt_f32_u32_e32 v49, s28
	s_sub_i32 s30, 32, s30
	s_add_u32 s26, s26, 1
	s_addc_u32 s27, s27, 0
	v_ldexp_f32 v49, v49, s30
	v_cmp_eq_u64_e32 vcc, s[26:27], v[36:37]
	v_mul_f32_e32 v49, v19, v49
	s_or_b64 s[24:25], vcc, s[24:25]
	v_mov_b32_e32 v19, v18
	v_fma_f32 v18, v14, v18, -v49
	s_andn2_b64 exec, exec, s[24:25]
	s_cbranch_execnz .LBB59_296
; %bb.297:
	s_or_b64 exec, exec, s[24:25]
.LBB59_298:
	s_or_b64 exec, exec, s[22:23]
.LBB59_299:
	s_andn2_saveexec_b64 s[20:21], s[20:21]
; %bb.300:
	v_mov_b32_e32 v18, v14
; %bb.301:
	s_or_b64 exec, exec, s[20:21]
.LBB59_302:
	s_or_b64 exec, exec, s[14:15]
.LBB59_303:
	s_or_b64 exec, exec, s[10:11]
	v_cvt_f32_f16_sdwa v14, v48 dst_sel:DWORD dst_unused:UNUSED_PAD src0_sel:WORD_1
	v_mov_b32_e32 v19, 0
	v_cvt_i32_f32_e32 v36, v14
	v_ashrrev_i32_e32 v37, 31, v36
	v_cmp_lt_i64_e32 vcc, -1, v[36:37]
	s_and_saveexec_b64 s[10:11], vcc
	s_cbranch_execz .LBB59_315
; %bb.304:
	v_cmp_lt_i64_e32 vcc, 0, v[36:37]
	v_mov_b32_e32 v19, 1.0
	s_and_saveexec_b64 s[14:15], vcc
	s_cbranch_execz .LBB59_314
; %bb.305:
	v_cmp_ne_u64_e32 vcc, 1, v[36:37]
	s_and_saveexec_b64 s[20:21], vcc
	s_xor_b64 s[20:21], exec, s[20:21]
	s_cbranch_execz .LBB59_311
; %bb.306:
	s_mov_b64 s[22:23], 0x81
	v_cmp_gt_u64_e32 vcc, s[22:23], v[36:37]
	v_mov_b32_e32 v19, 0x7fc00000
	s_and_saveexec_b64 s[22:23], vcc
	s_cbranch_execz .LBB59_310
; %bb.307:
	s_mov_b64 s[26:27], 1
	s_mov_b64 s[24:25], 0
	v_mov_b32_e32 v14, 1.0
	v_mov_b32_e32 v19, v15
.LBB59_308:                             ; =>This Inner Loop Header: Depth=1
	s_flbit_i32_b32 s28, s27
	s_min_u32 s30, s28, 32
	s_lshl_b64 s[28:29], s[26:27], s30
	s_min_u32 s28, s28, 1
	s_or_b32 s28, s29, s28
	v_cvt_f32_u32_e32 v48, s28
	s_sub_i32 s30, 32, s30
	s_add_u32 s26, s26, 1
	s_addc_u32 s27, s27, 0
	v_ldexp_f32 v48, v48, s30
	v_cmp_eq_u64_e32 vcc, s[26:27], v[36:37]
	v_mul_f32_e32 v48, v14, v48
	s_or_b64 s[24:25], vcc, s[24:25]
	v_mov_b32_e32 v14, v19
	v_fma_f32 v19, v15, v19, -v48
	s_andn2_b64 exec, exec, s[24:25]
	s_cbranch_execnz .LBB59_308
; %bb.309:
	s_or_b64 exec, exec, s[24:25]
.LBB59_310:
	s_or_b64 exec, exec, s[22:23]
                                        ; implicit-def: $vgpr15
.LBB59_311:
	s_andn2_saveexec_b64 s[20:21], s[20:21]
; %bb.312:
	v_mov_b32_e32 v19, v15
; %bb.313:
	s_or_b64 exec, exec, s[20:21]
.LBB59_314:
	s_or_b64 exec, exec, s[14:15]
.LBB59_315:
	s_or_b64 exec, exec, s[10:11]
	s_waitcnt vmcnt(2)
	v_cvt_f32_f16_e32 v14, v47
	v_cvt_i32_f32_e32 v36, v14
	v_mov_b32_e32 v14, 0
	v_ashrrev_i32_e32 v37, 31, v36
	v_cmp_lt_i64_e32 vcc, -1, v[36:37]
	s_and_saveexec_b64 s[10:11], vcc
	s_cbranch_execz .LBB59_327
; %bb.316:
	v_cmp_lt_i64_e32 vcc, 0, v[36:37]
	v_mov_b32_e32 v14, 1.0
	s_and_saveexec_b64 s[14:15], vcc
	s_cbranch_execz .LBB59_326
; %bb.317:
	v_cmp_ne_u64_e32 vcc, 1, v[36:37]
                                        ; implicit-def: $vgpr14
	s_and_saveexec_b64 s[20:21], vcc
	s_xor_b64 s[20:21], exec, s[20:21]
	s_cbranch_execz .LBB59_323
; %bb.318:
	s_mov_b64 s[22:23], 0x81
	v_cmp_gt_u64_e32 vcc, s[22:23], v[36:37]
	v_mov_b32_e32 v14, 0x7fc00000
	s_and_saveexec_b64 s[22:23], vcc
	s_cbranch_execz .LBB59_322
; %bb.319:
	s_mov_b64 s[26:27], 1
	s_mov_b64 s[24:25], 0
	v_mov_b32_e32 v15, 1.0
	v_mov_b32_e32 v14, v10
.LBB59_320:                             ; =>This Inner Loop Header: Depth=1
	s_flbit_i32_b32 s28, s27
	s_min_u32 s30, s28, 32
	s_lshl_b64 s[28:29], s[26:27], s30
	s_min_u32 s28, s28, 1
	s_or_b32 s28, s29, s28
	v_cvt_f32_u32_e32 v48, s28
	s_sub_i32 s30, 32, s30
	s_add_u32 s26, s26, 1
	s_addc_u32 s27, s27, 0
	v_ldexp_f32 v48, v48, s30
	v_cmp_eq_u64_e32 vcc, s[26:27], v[36:37]
	v_mul_f32_e32 v48, v15, v48
	s_or_b64 s[24:25], vcc, s[24:25]
	v_mov_b32_e32 v15, v14
	v_fma_f32 v14, v10, v14, -v48
	s_andn2_b64 exec, exec, s[24:25]
	s_cbranch_execnz .LBB59_320
; %bb.321:
	s_or_b64 exec, exec, s[24:25]
.LBB59_322:
	s_or_b64 exec, exec, s[22:23]
.LBB59_323:
	s_andn2_saveexec_b64 s[20:21], s[20:21]
; %bb.324:
	v_mov_b32_e32 v14, v10
; %bb.325:
	s_or_b64 exec, exec, s[20:21]
.LBB59_326:
	s_or_b64 exec, exec, s[14:15]
.LBB59_327:
	s_or_b64 exec, exec, s[10:11]
	v_cvt_f32_f16_sdwa v10, v47 dst_sel:DWORD dst_unused:UNUSED_PAD src0_sel:WORD_1
	v_mov_b32_e32 v15, 0
	v_cvt_i32_f32_e32 v36, v10
	v_ashrrev_i32_e32 v37, 31, v36
	v_cmp_lt_i64_e32 vcc, -1, v[36:37]
	s_and_saveexec_b64 s[10:11], vcc
	s_cbranch_execz .LBB59_339
; %bb.328:
	v_cmp_lt_i64_e32 vcc, 0, v[36:37]
	v_mov_b32_e32 v15, 1.0
	s_and_saveexec_b64 s[14:15], vcc
	s_cbranch_execz .LBB59_338
; %bb.329:
	v_cmp_ne_u64_e32 vcc, 1, v[36:37]
	s_and_saveexec_b64 s[20:21], vcc
	s_xor_b64 s[20:21], exec, s[20:21]
	s_cbranch_execz .LBB59_335
; %bb.330:
	s_mov_b64 s[22:23], 0x81
	v_cmp_gt_u64_e32 vcc, s[22:23], v[36:37]
	v_mov_b32_e32 v15, 0x7fc00000
	s_and_saveexec_b64 s[22:23], vcc
	s_cbranch_execz .LBB59_334
; %bb.331:
	s_mov_b64 s[26:27], 1
	s_mov_b64 s[24:25], 0
	v_mov_b32_e32 v10, 1.0
	v_mov_b32_e32 v15, v11
.LBB59_332:                             ; =>This Inner Loop Header: Depth=1
	s_flbit_i32_b32 s28, s27
	s_min_u32 s30, s28, 32
	s_lshl_b64 s[28:29], s[26:27], s30
	s_min_u32 s28, s28, 1
	s_or_b32 s28, s29, s28
	v_cvt_f32_u32_e32 v47, s28
	s_sub_i32 s30, 32, s30
	s_add_u32 s26, s26, 1
	s_addc_u32 s27, s27, 0
	v_ldexp_f32 v47, v47, s30
	v_cmp_eq_u64_e32 vcc, s[26:27], v[36:37]
	v_mul_f32_e32 v47, v10, v47
	s_or_b64 s[24:25], vcc, s[24:25]
	v_mov_b32_e32 v10, v15
	v_fma_f32 v15, v11, v15, -v47
	s_andn2_b64 exec, exec, s[24:25]
	s_cbranch_execnz .LBB59_332
; %bb.333:
	s_or_b64 exec, exec, s[24:25]
.LBB59_334:
	s_or_b64 exec, exec, s[22:23]
                                        ; implicit-def: $vgpr11
.LBB59_335:
	s_andn2_saveexec_b64 s[20:21], s[20:21]
; %bb.336:
	v_mov_b32_e32 v15, v11
; %bb.337:
	s_or_b64 exec, exec, s[20:21]
.LBB59_338:
	s_or_b64 exec, exec, s[14:15]
.LBB59_339:
	s_or_b64 exec, exec, s[10:11]
	s_waitcnt vmcnt(1)
	v_cvt_f32_f16_e32 v10, v46
	v_cvt_i32_f32_e32 v36, v10
	v_mov_b32_e32 v10, 0
	v_ashrrev_i32_e32 v37, 31, v36
	v_cmp_lt_i64_e32 vcc, -1, v[36:37]
	s_and_saveexec_b64 s[10:11], vcc
	s_cbranch_execz .LBB59_351
; %bb.340:
	v_cmp_lt_i64_e32 vcc, 0, v[36:37]
	v_mov_b32_e32 v10, 1.0
	s_and_saveexec_b64 s[14:15], vcc
	s_cbranch_execz .LBB59_350
; %bb.341:
	v_cmp_ne_u64_e32 vcc, 1, v[36:37]
                                        ; implicit-def: $vgpr10
	s_and_saveexec_b64 s[20:21], vcc
	s_xor_b64 s[20:21], exec, s[20:21]
	s_cbranch_execz .LBB59_347
; %bb.342:
	s_mov_b64 s[22:23], 0x81
	v_cmp_gt_u64_e32 vcc, s[22:23], v[36:37]
	v_mov_b32_e32 v10, 0x7fc00000
	s_and_saveexec_b64 s[22:23], vcc
	s_cbranch_execz .LBB59_346
; %bb.343:
	s_mov_b64 s[26:27], 1
	s_mov_b64 s[24:25], 0
	v_mov_b32_e32 v11, 1.0
	v_mov_b32_e32 v10, v6
.LBB59_344:                             ; =>This Inner Loop Header: Depth=1
	s_flbit_i32_b32 s28, s27
	s_min_u32 s30, s28, 32
	s_lshl_b64 s[28:29], s[26:27], s30
	s_min_u32 s28, s28, 1
	s_or_b32 s28, s29, s28
	v_cvt_f32_u32_e32 v47, s28
	s_sub_i32 s30, 32, s30
	s_add_u32 s26, s26, 1
	s_addc_u32 s27, s27, 0
	v_ldexp_f32 v47, v47, s30
	v_cmp_eq_u64_e32 vcc, s[26:27], v[36:37]
	v_mul_f32_e32 v47, v11, v47
	s_or_b64 s[24:25], vcc, s[24:25]
	v_mov_b32_e32 v11, v10
	v_fma_f32 v10, v6, v10, -v47
	s_andn2_b64 exec, exec, s[24:25]
	s_cbranch_execnz .LBB59_344
; %bb.345:
	s_or_b64 exec, exec, s[24:25]
.LBB59_346:
	s_or_b64 exec, exec, s[22:23]
.LBB59_347:
	s_andn2_saveexec_b64 s[20:21], s[20:21]
; %bb.348:
	v_mov_b32_e32 v10, v6
; %bb.349:
	s_or_b64 exec, exec, s[20:21]
.LBB59_350:
	s_or_b64 exec, exec, s[14:15]
.LBB59_351:
	s_or_b64 exec, exec, s[10:11]
	v_cvt_f32_f16_sdwa v6, v46 dst_sel:DWORD dst_unused:UNUSED_PAD src0_sel:WORD_1
	v_mov_b32_e32 v11, 0
	v_cvt_i32_f32_e32 v36, v6
	v_ashrrev_i32_e32 v37, 31, v36
	v_cmp_lt_i64_e32 vcc, -1, v[36:37]
	s_and_saveexec_b64 s[10:11], vcc
	s_cbranch_execz .LBB59_363
; %bb.352:
	v_cmp_lt_i64_e32 vcc, 0, v[36:37]
	v_mov_b32_e32 v11, 1.0
	s_and_saveexec_b64 s[14:15], vcc
	s_cbranch_execz .LBB59_362
; %bb.353:
	v_cmp_ne_u64_e32 vcc, 1, v[36:37]
	s_and_saveexec_b64 s[20:21], vcc
	s_xor_b64 s[20:21], exec, s[20:21]
	s_cbranch_execz .LBB59_359
; %bb.354:
	s_mov_b64 s[22:23], 0x81
	v_cmp_gt_u64_e32 vcc, s[22:23], v[36:37]
	v_mov_b32_e32 v11, 0x7fc00000
	s_and_saveexec_b64 s[22:23], vcc
	s_cbranch_execz .LBB59_358
; %bb.355:
	s_mov_b64 s[26:27], 1
	s_mov_b64 s[24:25], 0
	v_mov_b32_e32 v6, 1.0
	v_mov_b32_e32 v11, v7
.LBB59_356:                             ; =>This Inner Loop Header: Depth=1
	s_flbit_i32_b32 s28, s27
	s_min_u32 s30, s28, 32
	s_lshl_b64 s[28:29], s[26:27], s30
	s_min_u32 s28, s28, 1
	s_or_b32 s28, s29, s28
	v_cvt_f32_u32_e32 v46, s28
	s_sub_i32 s30, 32, s30
	s_add_u32 s26, s26, 1
	s_addc_u32 s27, s27, 0
	v_ldexp_f32 v46, v46, s30
	v_cmp_eq_u64_e32 vcc, s[26:27], v[36:37]
	v_mul_f32_e32 v46, v6, v46
	s_or_b64 s[24:25], vcc, s[24:25]
	v_mov_b32_e32 v6, v11
	v_fma_f32 v11, v7, v11, -v46
	s_andn2_b64 exec, exec, s[24:25]
	s_cbranch_execnz .LBB59_356
; %bb.357:
	s_or_b64 exec, exec, s[24:25]
.LBB59_358:
	s_or_b64 exec, exec, s[22:23]
                                        ; implicit-def: $vgpr7
.LBB59_359:
	s_andn2_saveexec_b64 s[20:21], s[20:21]
; %bb.360:
	v_mov_b32_e32 v11, v7
; %bb.361:
	s_or_b64 exec, exec, s[20:21]
.LBB59_362:
	s_or_b64 exec, exec, s[14:15]
.LBB59_363:
	s_or_b64 exec, exec, s[10:11]
	s_waitcnt vmcnt(0)
	v_cvt_f32_f16_e32 v6, v45
	v_cvt_i32_f32_e32 v36, v6
	v_mov_b32_e32 v6, 0
	v_ashrrev_i32_e32 v37, 31, v36
	v_cmp_lt_i64_e32 vcc, -1, v[36:37]
	s_and_saveexec_b64 s[10:11], vcc
	s_cbranch_execz .LBB59_375
; %bb.364:
	v_cmp_lt_i64_e32 vcc, 0, v[36:37]
	v_mov_b32_e32 v6, 1.0
	s_and_saveexec_b64 s[14:15], vcc
	s_cbranch_execz .LBB59_374
; %bb.365:
	v_cmp_ne_u64_e32 vcc, 1, v[36:37]
                                        ; implicit-def: $vgpr6
	s_and_saveexec_b64 s[20:21], vcc
	s_xor_b64 s[20:21], exec, s[20:21]
	s_cbranch_execz .LBB59_371
; %bb.366:
	s_mov_b64 s[22:23], 0x81
	v_cmp_gt_u64_e32 vcc, s[22:23], v[36:37]
	v_mov_b32_e32 v6, 0x7fc00000
	s_and_saveexec_b64 s[22:23], vcc
	s_cbranch_execz .LBB59_370
; %bb.367:
	s_mov_b64 s[26:27], 1
	s_mov_b64 s[24:25], 0
	v_mov_b32_e32 v7, 1.0
	v_mov_b32_e32 v6, v2
.LBB59_368:                             ; =>This Inner Loop Header: Depth=1
	s_flbit_i32_b32 s28, s27
	s_min_u32 s30, s28, 32
	s_lshl_b64 s[28:29], s[26:27], s30
	s_min_u32 s28, s28, 1
	s_or_b32 s28, s29, s28
	v_cvt_f32_u32_e32 v46, s28
	s_sub_i32 s30, 32, s30
	s_add_u32 s26, s26, 1
	s_addc_u32 s27, s27, 0
	v_ldexp_f32 v46, v46, s30
	v_cmp_eq_u64_e32 vcc, s[26:27], v[36:37]
	v_mul_f32_e32 v46, v7, v46
	s_or_b64 s[24:25], vcc, s[24:25]
	v_mov_b32_e32 v7, v6
	v_fma_f32 v6, v2, v6, -v46
	s_andn2_b64 exec, exec, s[24:25]
	s_cbranch_execnz .LBB59_368
; %bb.369:
	s_or_b64 exec, exec, s[24:25]
.LBB59_370:
	s_or_b64 exec, exec, s[22:23]
.LBB59_371:
	s_andn2_saveexec_b64 s[20:21], s[20:21]
; %bb.372:
	v_mov_b32_e32 v6, v2
; %bb.373:
	s_or_b64 exec, exec, s[20:21]
.LBB59_374:
	s_or_b64 exec, exec, s[14:15]
.LBB59_375:
	s_or_b64 exec, exec, s[10:11]
	v_cvt_f32_f16_sdwa v2, v45 dst_sel:DWORD dst_unused:UNUSED_PAD src0_sel:WORD_1
	v_mov_b32_e32 v7, 0
	v_cvt_i32_f32_e32 v36, v2
	v_ashrrev_i32_e32 v37, 31, v36
	v_cmp_lt_i64_e32 vcc, -1, v[36:37]
	s_and_saveexec_b64 s[10:11], vcc
	s_cbranch_execz .LBB59_387
; %bb.376:
	v_cmp_lt_i64_e32 vcc, 0, v[36:37]
	v_mov_b32_e32 v7, 1.0
	s_and_saveexec_b64 s[14:15], vcc
	s_cbranch_execz .LBB59_386
; %bb.377:
	v_cmp_ne_u64_e32 vcc, 1, v[36:37]
	s_and_saveexec_b64 s[20:21], vcc
	s_xor_b64 s[20:21], exec, s[20:21]
	s_cbranch_execz .LBB59_383
; %bb.378:
	s_mov_b64 s[22:23], 0x81
	v_cmp_gt_u64_e32 vcc, s[22:23], v[36:37]
	v_mov_b32_e32 v7, 0x7fc00000
	s_and_saveexec_b64 s[22:23], vcc
	s_cbranch_execz .LBB59_382
; %bb.379:
	s_mov_b64 s[26:27], 1
	s_mov_b64 s[24:25], 0
	v_mov_b32_e32 v2, 1.0
	v_mov_b32_e32 v7, v3
.LBB59_380:                             ; =>This Inner Loop Header: Depth=1
	s_flbit_i32_b32 s28, s27
	s_min_u32 s30, s28, 32
	s_lshl_b64 s[28:29], s[26:27], s30
	s_min_u32 s28, s28, 1
	s_or_b32 s28, s29, s28
	v_cvt_f32_u32_e32 v45, s28
	s_sub_i32 s30, 32, s30
	s_add_u32 s26, s26, 1
	s_addc_u32 s27, s27, 0
	v_ldexp_f32 v45, v45, s30
	v_cmp_eq_u64_e32 vcc, s[26:27], v[36:37]
	v_mul_f32_e32 v45, v2, v45
	s_or_b64 s[24:25], vcc, s[24:25]
	v_mov_b32_e32 v2, v7
	v_fma_f32 v7, v3, v7, -v45
	s_andn2_b64 exec, exec, s[24:25]
	s_cbranch_execnz .LBB59_380
; %bb.381:
	s_or_b64 exec, exec, s[24:25]
.LBB59_382:
	s_or_b64 exec, exec, s[22:23]
                                        ; implicit-def: $vgpr3
.LBB59_383:
	s_andn2_saveexec_b64 s[20:21], s[20:21]
; %bb.384:
	v_mov_b32_e32 v7, v3
; %bb.385:
	s_or_b64 exec, exec, s[20:21]
.LBB59_386:
	s_or_b64 exec, exec, s[14:15]
.LBB59_387:
	s_or_b64 exec, exec, s[10:11]
	s_add_u32 s8, s16, s8
	s_addc_u32 s9, s17, s9
	v_mov_b32_e32 v2, s9
	v_add_co_u32_e32 v36, vcc, s8, v1
	v_addc_co_u32_e32 v37, vcc, 0, v2, vcc
	v_add_co_u32_e32 v2, vcc, 0x1000, v36
	v_addc_co_u32_e32 v3, vcc, 0, v37, vcc
	global_store_dwordx2 v1, v[4:5], s[8:9]
	global_store_dwordx2 v[2:3], v[8:9], off
	global_store_dwordx2 v38, v[12:13], s[8:9]
	v_add_co_u32_e32 v2, vcc, 0x3000, v36
	v_addc_co_u32_e32 v3, vcc, 0, v37, vcc
	global_store_dwordx2 v[2:3], v[16:17], off
	global_store_dwordx2 v40, v[20:21], s[8:9]
	v_add_co_u32_e32 v2, vcc, 0x5000, v36
	v_addc_co_u32_e32 v3, vcc, 0, v37, vcc
	;; [unrolled: 4-line block ×7, first 2 shown]
	global_store_dwordx2 v[2:3], v[6:7], off
	s_branch .LBB59_2
.LBB59_388:
	s_load_dword s10, s[4:5], 0x24
	s_load_dwordx4 s[20:23], s[4:5], 0x28
	s_add_u32 s8, s4, 56
	s_addc_u32 s9, s5, 0
	v_mov_b32_e32 v31, v0
	s_waitcnt lgkmcnt(0)
	v_lshrrev_b16_e64 v8, 8, s10
	v_mov_b32_e32 v0, s16
	v_mov_b32_e32 v1, s17
	;; [unrolled: 1-line block ×12, first 2 shown]
	s_getpc_b64 s[4:5]
	s_add_u32 s4, s4, _ZN2at6native25elementwise_kernel_helperILb1ENS0_13BinaryFunctorIfffZZZNS0_12_GLOBAL__N_133hermite_polynomial_he_kernel_cudaERNS_18TensorIteratorBaseEENKUlvE_clEvENKUlvE0_clEvEUlffE_EENS0_6memory8policies11unroll_baseILi512ESt5arrayIPcLm3EE23TrivialOffsetCalculatorILi2EjESG_ILi1EjENSA_12LoadWithCastILi2EEENSA_13StoreWithCastILi1EEELi32ELi1EEEEEvT0_T1_@rel32@lo+4
	s_addc_u32 s5, s5, _ZN2at6native25elementwise_kernel_helperILb1ENS0_13BinaryFunctorIfffZZZNS0_12_GLOBAL__N_133hermite_polynomial_he_kernel_cudaERNS_18TensorIteratorBaseEENKUlvE_clEvENKUlvE0_clEvEUlffE_EENS0_6memory8policies11unroll_baseILi512ESt5arrayIPcLm3EE23TrivialOffsetCalculatorILi2EjESG_ILi1EjENSA_12LoadWithCastILi2EEENSA_13StoreWithCastILi1EEELi32ELi1EEEEEvT0_T1_@rel32@hi+12
	s_swappc_b64 s[30:31], s[4:5]
	s_endpgm
	.section	.rodata,"a",@progbits
	.p2align	6, 0x0
	.amdhsa_kernel _ZN2at6native39vectorized_templated_elementwise_kernelILi2ENS0_13BinaryFunctorIfffZZZNS0_12_GLOBAL__N_133hermite_polynomial_he_kernel_cudaERNS_18TensorIteratorBaseEENKUlvE_clEvENKUlvE0_clEvEUlffE_EESt5arrayIPcLm3EE23TrivialOffsetCalculatorILi2EjESD_ILi1EjENS0_6memory12LoadWithCastILi2EEENSG_13StoreWithCastILi1EEEfJfN3c104HalfEEEEviT0_T1_T2_T3_T4_T5_
		.amdhsa_group_segment_fixed_size 0
		.amdhsa_private_segment_fixed_size 288
		.amdhsa_kernarg_size 312
		.amdhsa_user_sgpr_count 8
		.amdhsa_user_sgpr_private_segment_buffer 1
		.amdhsa_user_sgpr_dispatch_ptr 0
		.amdhsa_user_sgpr_queue_ptr 0
		.amdhsa_user_sgpr_kernarg_segment_ptr 1
		.amdhsa_user_sgpr_dispatch_id 0
		.amdhsa_user_sgpr_flat_scratch_init 1
		.amdhsa_user_sgpr_kernarg_preload_length 0
		.amdhsa_user_sgpr_kernarg_preload_offset 0
		.amdhsa_user_sgpr_private_segment_size 0
		.amdhsa_uses_dynamic_stack 0
		.amdhsa_system_sgpr_private_segment_wavefront_offset 1
		.amdhsa_system_sgpr_workgroup_id_x 1
		.amdhsa_system_sgpr_workgroup_id_y 0
		.amdhsa_system_sgpr_workgroup_id_z 0
		.amdhsa_system_sgpr_workgroup_info 0
		.amdhsa_system_vgpr_workitem_id 0
		.amdhsa_next_free_vgpr 120
		.amdhsa_next_free_sgpr 98
		.amdhsa_accum_offset 120
		.amdhsa_reserve_vcc 1
		.amdhsa_reserve_flat_scratch 1
		.amdhsa_float_round_mode_32 0
		.amdhsa_float_round_mode_16_64 0
		.amdhsa_float_denorm_mode_32 3
		.amdhsa_float_denorm_mode_16_64 3
		.amdhsa_dx10_clamp 1
		.amdhsa_ieee_mode 1
		.amdhsa_fp16_overflow 0
		.amdhsa_tg_split 0
		.amdhsa_exception_fp_ieee_invalid_op 0
		.amdhsa_exception_fp_denorm_src 0
		.amdhsa_exception_fp_ieee_div_zero 0
		.amdhsa_exception_fp_ieee_overflow 0
		.amdhsa_exception_fp_ieee_underflow 0
		.amdhsa_exception_fp_ieee_inexact 0
		.amdhsa_exception_int_div_zero 0
	.end_amdhsa_kernel
	.section	.text._ZN2at6native39vectorized_templated_elementwise_kernelILi2ENS0_13BinaryFunctorIfffZZZNS0_12_GLOBAL__N_133hermite_polynomial_he_kernel_cudaERNS_18TensorIteratorBaseEENKUlvE_clEvENKUlvE0_clEvEUlffE_EESt5arrayIPcLm3EE23TrivialOffsetCalculatorILi2EjESD_ILi1EjENS0_6memory12LoadWithCastILi2EEENSG_13StoreWithCastILi1EEEfJfN3c104HalfEEEEviT0_T1_T2_T3_T4_T5_,"axG",@progbits,_ZN2at6native39vectorized_templated_elementwise_kernelILi2ENS0_13BinaryFunctorIfffZZZNS0_12_GLOBAL__N_133hermite_polynomial_he_kernel_cudaERNS_18TensorIteratorBaseEENKUlvE_clEvENKUlvE0_clEvEUlffE_EESt5arrayIPcLm3EE23TrivialOffsetCalculatorILi2EjESD_ILi1EjENS0_6memory12LoadWithCastILi2EEENSG_13StoreWithCastILi1EEEfJfN3c104HalfEEEEviT0_T1_T2_T3_T4_T5_,comdat
.Lfunc_end59:
	.size	_ZN2at6native39vectorized_templated_elementwise_kernelILi2ENS0_13BinaryFunctorIfffZZZNS0_12_GLOBAL__N_133hermite_polynomial_he_kernel_cudaERNS_18TensorIteratorBaseEENKUlvE_clEvENKUlvE0_clEvEUlffE_EESt5arrayIPcLm3EE23TrivialOffsetCalculatorILi2EjESD_ILi1EjENS0_6memory12LoadWithCastILi2EEENSG_13StoreWithCastILi1EEEfJfN3c104HalfEEEEviT0_T1_T2_T3_T4_T5_, .Lfunc_end59-_ZN2at6native39vectorized_templated_elementwise_kernelILi2ENS0_13BinaryFunctorIfffZZZNS0_12_GLOBAL__N_133hermite_polynomial_he_kernel_cudaERNS_18TensorIteratorBaseEENKUlvE_clEvENKUlvE0_clEvEUlffE_EESt5arrayIPcLm3EE23TrivialOffsetCalculatorILi2EjESD_ILi1EjENS0_6memory12LoadWithCastILi2EEENSG_13StoreWithCastILi1EEEfJfN3c104HalfEEEEviT0_T1_T2_T3_T4_T5_
                                        ; -- End function
	.section	.AMDGPU.csdata,"",@progbits
; Kernel info:
; codeLenInByte = 7856
; NumSgprs: 104
; NumVgprs: 120
; NumAgprs: 0
; TotalNumVgprs: 120
; ScratchSize: 288
; MemoryBound: 0
; FloatMode: 240
; IeeeMode: 1
; LDSByteSize: 0 bytes/workgroup (compile time only)
; SGPRBlocks: 12
; VGPRBlocks: 14
; NumSGPRsForWavesPerEU: 104
; NumVGPRsForWavesPerEU: 120
; AccumOffset: 120
; Occupancy: 4
; WaveLimiterHint : 0
; COMPUTE_PGM_RSRC2:SCRATCH_EN: 1
; COMPUTE_PGM_RSRC2:USER_SGPR: 8
; COMPUTE_PGM_RSRC2:TRAP_HANDLER: 0
; COMPUTE_PGM_RSRC2:TGID_X_EN: 1
; COMPUTE_PGM_RSRC2:TGID_Y_EN: 0
; COMPUTE_PGM_RSRC2:TGID_Z_EN: 0
; COMPUTE_PGM_RSRC2:TIDIG_COMP_CNT: 0
; COMPUTE_PGM_RSRC3_GFX90A:ACCUM_OFFSET: 29
; COMPUTE_PGM_RSRC3_GFX90A:TG_SPLIT: 0
	.section	.text._ZN2at6native39vectorized_templated_elementwise_kernelILi8ENS0_13BinaryFunctorIfffZZZNS0_12_GLOBAL__N_133hermite_polynomial_he_kernel_cudaERNS_18TensorIteratorBaseEENKUlvE_clEvENKUlvE0_clEvEUlffE_EESt5arrayIPcLm3EE23TrivialOffsetCalculatorILi2EjESD_ILi1EjENS0_6memory12LoadWithCastILi2EEENSG_13StoreWithCastILi1EEEfJN3c104HalfEfEEEviT0_T1_T2_T3_T4_T5_,"axG",@progbits,_ZN2at6native39vectorized_templated_elementwise_kernelILi8ENS0_13BinaryFunctorIfffZZZNS0_12_GLOBAL__N_133hermite_polynomial_he_kernel_cudaERNS_18TensorIteratorBaseEENKUlvE_clEvENKUlvE0_clEvEUlffE_EESt5arrayIPcLm3EE23TrivialOffsetCalculatorILi2EjESD_ILi1EjENS0_6memory12LoadWithCastILi2EEENSG_13StoreWithCastILi1EEEfJN3c104HalfEfEEEviT0_T1_T2_T3_T4_T5_,comdat
	.globl	_ZN2at6native39vectorized_templated_elementwise_kernelILi8ENS0_13BinaryFunctorIfffZZZNS0_12_GLOBAL__N_133hermite_polynomial_he_kernel_cudaERNS_18TensorIteratorBaseEENKUlvE_clEvENKUlvE0_clEvEUlffE_EESt5arrayIPcLm3EE23TrivialOffsetCalculatorILi2EjESD_ILi1EjENS0_6memory12LoadWithCastILi2EEENSG_13StoreWithCastILi1EEEfJN3c104HalfEfEEEviT0_T1_T2_T3_T4_T5_ ; -- Begin function _ZN2at6native39vectorized_templated_elementwise_kernelILi8ENS0_13BinaryFunctorIfffZZZNS0_12_GLOBAL__N_133hermite_polynomial_he_kernel_cudaERNS_18TensorIteratorBaseEENKUlvE_clEvENKUlvE0_clEvEUlffE_EESt5arrayIPcLm3EE23TrivialOffsetCalculatorILi2EjESD_ILi1EjENS0_6memory12LoadWithCastILi2EEENSG_13StoreWithCastILi1EEEfJN3c104HalfEfEEEviT0_T1_T2_T3_T4_T5_
	.p2align	8
	.type	_ZN2at6native39vectorized_templated_elementwise_kernelILi8ENS0_13BinaryFunctorIfffZZZNS0_12_GLOBAL__N_133hermite_polynomial_he_kernel_cudaERNS_18TensorIteratorBaseEENKUlvE_clEvENKUlvE0_clEvEUlffE_EESt5arrayIPcLm3EE23TrivialOffsetCalculatorILi2EjESD_ILi1EjENS0_6memory12LoadWithCastILi2EEENSG_13StoreWithCastILi1EEEfJN3c104HalfEfEEEviT0_T1_T2_T3_T4_T5_,@function
_ZN2at6native39vectorized_templated_elementwise_kernelILi8ENS0_13BinaryFunctorIfffZZZNS0_12_GLOBAL__N_133hermite_polynomial_he_kernel_cudaERNS_18TensorIteratorBaseEENKUlvE_clEvENKUlvE0_clEvEUlffE_EESt5arrayIPcLm3EE23TrivialOffsetCalculatorILi2EjESD_ILi1EjENS0_6memory12LoadWithCastILi2EEENSG_13StoreWithCastILi1EEEfJN3c104HalfEfEEEviT0_T1_T2_T3_T4_T5_: ; @_ZN2at6native39vectorized_templated_elementwise_kernelILi8ENS0_13BinaryFunctorIfffZZZNS0_12_GLOBAL__N_133hermite_polynomial_he_kernel_cudaERNS_18TensorIteratorBaseEENKUlvE_clEvENKUlvE0_clEvEUlffE_EESt5arrayIPcLm3EE23TrivialOffsetCalculatorILi2EjESD_ILi1EjENS0_6memory12LoadWithCastILi2EEENSG_13StoreWithCastILi1EEEfJN3c104HalfEfEEEviT0_T1_T2_T3_T4_T5_
; %bb.0:
	s_add_u32 flat_scratch_lo, s6, s9
	s_addc_u32 flat_scratch_hi, s7, 0
	s_add_u32 s0, s0, s9
	s_mov_b32 s12, s8
	s_load_dword s8, s[4:5], 0x38
	s_load_dwordx2 s[6:7], s[4:5], 0x18
	s_load_dword s9, s[4:5], 0x0
	s_load_dwordx4 s[16:19], s[4:5], 0x8
	s_addc_u32 s1, s1, 0
	s_not_b32 s10, s12
	s_waitcnt lgkmcnt(0)
	s_add_i32 s8, s8, s10
	s_lshl_b32 s8, s8, 14
	s_sub_i32 s13, s9, s8
	s_cmpk_gt_i32 s13, 0x3fff
	s_mov_b64 s[10:11], -1
	s_mov_b32 s32, 0
	s_cbranch_scc1 .LBB60_3
; %bb.1:
	s_and_b64 vcc, exec, s[10:11]
	s_cbranch_vccnz .LBB60_388
.LBB60_2:
	s_endpgm
.LBB60_3:
	s_ashr_i32 s9, s8, 31
	s_lshl_b64 s[10:11], s[8:9], 1
	s_add_u32 s10, s18, s10
	s_addc_u32 s11, s19, s11
	v_lshlrev_b32_e32 v1, 4, v0
	v_mov_b32_e32 v2, s11
	v_add_co_u32_e32 v4, vcc, s10, v1
	v_addc_co_u32_e32 v5, vcc, 0, v2, vcc
	v_add_co_u32_e32 v2, vcc, 0x2000, v4
	v_addc_co_u32_e32 v3, vcc, 0, v5, vcc
	global_load_dwordx4 v[46:49], v1, s[10:11]
	global_load_dwordx4 v[42:45], v[2:3], off
	v_or_b32_e32 v1, 0x400, v0
	v_lshlrev_b32_e32 v10, 4, v1
	v_add_co_u32_e32 v2, vcc, 0x6000, v4
	s_lshl_b64 s[8:9], s[8:9], 2
	v_addc_co_u32_e32 v3, vcc, 0, v5, vcc
	global_load_dwordx4 v[26:29], v10, s[10:11]
	global_load_dwordx4 v[6:9], v[2:3], off
	s_add_u32 s10, s6, s8
	s_addc_u32 s11, s7, s9
	v_lshlrev_b32_e32 v52, 5, v0
	v_mov_b32_e32 v2, s11
	v_add_co_u32_e32 v12, vcc, s10, v52
	v_addc_co_u32_e32 v13, vcc, 0, v2, vcc
	global_load_dwordx4 v[14:17], v52, s[10:11] offset:16
	global_load_dwordx4 v[2:5], v52, s[10:11]
	s_movk_i32 s14, 0x4000
	v_add_co_u32_e32 v10, vcc, s14, v12
	v_addc_co_u32_e32 v11, vcc, 0, v13, vcc
	v_lshlrev_b32_e32 v1, 5, v1
	global_load_dwordx4 v[22:25], v[10:11], off
	global_load_dwordx4 v[34:37], v[10:11], off offset:16
	global_load_dwordx4 v[30:33], v1, s[10:11] offset:16
	global_load_dwordx4 v[38:41], v1, s[10:11]
	s_mov_b32 s10, 0xc000
	v_add_co_u32_e32 v50, vcc, s10, v12
	v_addc_co_u32_e32 v51, vcc, 0, v13, vcc
	global_load_dwordx4 v[18:21], v[50:51], off
	global_load_dwordx4 v[10:13], v[50:51], off offset:16
	s_mov_b32 s10, 0x2f800000
	s_mov_b32 s11, 0xcf800000
	s_waitcnt vmcnt(6)
	v_trunc_f32_e32 v2, v2
	v_mul_f32_e64 v50, |v2|, s10
	v_floor_f32_e32 v50, v50
	v_fma_f32 v51, v50, s11, |v2|
	v_cvt_u32_f32_e32 v50, v50
	v_cvt_u32_f32_e32 v51, v51
	v_ashrrev_i32_e32 v2, 31, v2
	v_xor_b32_e32 v53, v50, v2
	v_xor_b32_e32 v50, v51, v2
	v_sub_co_u32_e32 v50, vcc, v50, v2
	v_subb_co_u32_e32 v51, vcc, v53, v2, vcc
	v_cmp_lt_i64_e32 vcc, -1, v[50:51]
	v_mov_b32_e32 v2, 0
	s_and_saveexec_b64 s[10:11], vcc
	s_cbranch_execz .LBB60_15
; %bb.4:
	v_cmp_lt_i64_e32 vcc, 0, v[50:51]
	v_mov_b32_e32 v2, 1.0
	s_and_saveexec_b64 s[14:15], vcc
	s_cbranch_execz .LBB60_14
; %bb.5:
	v_cvt_f32_f16_e32 v53, v46
	v_cmp_ne_u64_e32 vcc, 1, v[50:51]
                                        ; implicit-def: $vgpr2
	s_and_saveexec_b64 s[20:21], vcc
	s_xor_b64 s[20:21], exec, s[20:21]
	s_cbranch_execz .LBB60_11
; %bb.6:
	s_mov_b64 s[22:23], 0x81
	v_cmp_gt_u64_e32 vcc, s[22:23], v[50:51]
	v_mov_b32_e32 v2, 0x7fc00000
	s_and_saveexec_b64 s[22:23], vcc
	s_cbranch_execz .LBB60_10
; %bb.7:
	s_mov_b64 s[26:27], 1
	s_mov_b64 s[24:25], 0
	v_mov_b32_e32 v54, 1.0
	v_mov_b32_e32 v2, v53
.LBB60_8:                               ; =>This Inner Loop Header: Depth=1
	s_flbit_i32_b32 s28, s27
	s_min_u32 s30, s28, 32
	s_lshl_b64 s[28:29], s[26:27], s30
	s_min_u32 s28, s28, 1
	s_or_b32 s28, s29, s28
	v_cvt_f32_u32_e32 v55, s28
	s_sub_i32 s30, 32, s30
	s_add_u32 s26, s26, 1
	s_addc_u32 s27, s27, 0
	v_ldexp_f32 v55, v55, s30
	v_cmp_eq_u64_e32 vcc, s[26:27], v[50:51]
	v_mul_f32_e32 v55, v54, v55
	s_or_b64 s[24:25], vcc, s[24:25]
	v_mov_b32_e32 v54, v2
	v_fma_f32 v2, v2, v53, -v55
	s_andn2_b64 exec, exec, s[24:25]
	s_cbranch_execnz .LBB60_8
; %bb.9:
	s_or_b64 exec, exec, s[24:25]
.LBB60_10:
	s_or_b64 exec, exec, s[22:23]
                                        ; implicit-def: $vgpr53
.LBB60_11:
	s_andn2_saveexec_b64 s[20:21], s[20:21]
; %bb.12:
	v_mov_b32_e32 v2, v53
; %bb.13:
	s_or_b64 exec, exec, s[20:21]
.LBB60_14:
	s_or_b64 exec, exec, s[14:15]
.LBB60_15:
	s_or_b64 exec, exec, s[10:11]
	v_trunc_f32_e32 v3, v3
	s_mov_b32 s10, 0x2f800000
	v_mul_f32_e64 v50, |v3|, s10
	v_floor_f32_e32 v50, v50
	s_mov_b32 s10, 0xcf800000
	v_cvt_u32_f32_e32 v51, v50
	v_fma_f32 v50, v50, s10, |v3|
	v_cvt_u32_f32_e32 v50, v50
	v_ashrrev_i32_e32 v3, 31, v3
	v_xor_b32_e32 v51, v51, v3
	v_xor_b32_e32 v50, v50, v3
	v_sub_co_u32_e32 v50, vcc, v50, v3
	v_subb_co_u32_e32 v51, vcc, v51, v3, vcc
	v_cmp_lt_i64_e32 vcc, -1, v[50:51]
	v_mov_b32_e32 v3, 0
	s_and_saveexec_b64 s[10:11], vcc
	s_cbranch_execz .LBB60_27
; %bb.16:
	v_cmp_lt_i64_e32 vcc, 0, v[50:51]
	v_mov_b32_e32 v3, 1.0
	s_and_saveexec_b64 s[14:15], vcc
	s_cbranch_execz .LBB60_26
; %bb.17:
	v_cvt_f32_f16_sdwa v46, v46 dst_sel:DWORD dst_unused:UNUSED_PAD src0_sel:WORD_1
	v_cmp_ne_u64_e32 vcc, 1, v[50:51]
	s_and_saveexec_b64 s[20:21], vcc
	s_xor_b64 s[20:21], exec, s[20:21]
	s_cbranch_execz .LBB60_23
; %bb.18:
	s_mov_b64 s[22:23], 0x81
	v_cmp_gt_u64_e32 vcc, s[22:23], v[50:51]
	v_mov_b32_e32 v3, 0x7fc00000
	s_and_saveexec_b64 s[22:23], vcc
	s_cbranch_execz .LBB60_22
; %bb.19:
	s_mov_b64 s[26:27], 1
	s_mov_b64 s[24:25], 0
	v_mov_b32_e32 v53, 1.0
	v_mov_b32_e32 v3, v46
.LBB60_20:                              ; =>This Inner Loop Header: Depth=1
	s_flbit_i32_b32 s28, s27
	s_min_u32 s30, s28, 32
	s_lshl_b64 s[28:29], s[26:27], s30
	s_min_u32 s28, s28, 1
	s_or_b32 s28, s29, s28
	v_cvt_f32_u32_e32 v54, s28
	s_sub_i32 s30, 32, s30
	s_add_u32 s26, s26, 1
	s_addc_u32 s27, s27, 0
	v_ldexp_f32 v54, v54, s30
	v_cmp_eq_u64_e32 vcc, s[26:27], v[50:51]
	v_mul_f32_e32 v54, v53, v54
	s_or_b64 s[24:25], vcc, s[24:25]
	v_mov_b32_e32 v53, v3
	v_fma_f32 v3, v3, v46, -v54
	s_andn2_b64 exec, exec, s[24:25]
	s_cbranch_execnz .LBB60_20
; %bb.21:
	s_or_b64 exec, exec, s[24:25]
.LBB60_22:
	s_or_b64 exec, exec, s[22:23]
                                        ; implicit-def: $vgpr46
.LBB60_23:
	s_andn2_saveexec_b64 s[20:21], s[20:21]
; %bb.24:
	v_mov_b32_e32 v3, v46
; %bb.25:
	s_or_b64 exec, exec, s[20:21]
.LBB60_26:
	s_or_b64 exec, exec, s[14:15]
.LBB60_27:
	s_or_b64 exec, exec, s[10:11]
	v_trunc_f32_e32 v4, v4
	s_mov_b32 s10, 0x2f800000
	v_mul_f32_e64 v46, |v4|, s10
	v_floor_f32_e32 v46, v46
	s_mov_b32 s10, 0xcf800000
	v_cvt_u32_f32_e32 v50, v46
	v_fma_f32 v46, v46, s10, |v4|
	v_cvt_u32_f32_e32 v46, v46
	v_ashrrev_i32_e32 v4, 31, v4
	v_xor_b32_e32 v51, v50, v4
	v_xor_b32_e32 v46, v46, v4
	v_sub_co_u32_e32 v50, vcc, v46, v4
	v_subb_co_u32_e32 v51, vcc, v51, v4, vcc
	v_cmp_lt_i64_e32 vcc, -1, v[50:51]
	v_mov_b32_e32 v4, 0
	s_and_saveexec_b64 s[10:11], vcc
	s_cbranch_execz .LBB60_39
; %bb.28:
	v_cmp_lt_i64_e32 vcc, 0, v[50:51]
	v_mov_b32_e32 v4, 1.0
	s_and_saveexec_b64 s[14:15], vcc
	s_cbranch_execz .LBB60_38
; %bb.29:
	v_cvt_f32_f16_e32 v46, v47
	v_cmp_ne_u64_e32 vcc, 1, v[50:51]
	s_and_saveexec_b64 s[20:21], vcc
	s_xor_b64 s[20:21], exec, s[20:21]
	s_cbranch_execz .LBB60_35
; %bb.30:
	s_mov_b64 s[22:23], 0x81
	v_cmp_gt_u64_e32 vcc, s[22:23], v[50:51]
	v_mov_b32_e32 v4, 0x7fc00000
	s_and_saveexec_b64 s[22:23], vcc
	s_cbranch_execz .LBB60_34
; %bb.31:
	s_mov_b64 s[26:27], 1
	s_mov_b64 s[24:25], 0
	v_mov_b32_e32 v53, 1.0
	v_mov_b32_e32 v4, v46
.LBB60_32:                              ; =>This Inner Loop Header: Depth=1
	s_flbit_i32_b32 s28, s27
	s_min_u32 s30, s28, 32
	s_lshl_b64 s[28:29], s[26:27], s30
	s_min_u32 s28, s28, 1
	s_or_b32 s28, s29, s28
	v_cvt_f32_u32_e32 v54, s28
	s_sub_i32 s30, 32, s30
	s_add_u32 s26, s26, 1
	s_addc_u32 s27, s27, 0
	v_ldexp_f32 v54, v54, s30
	v_cmp_eq_u64_e32 vcc, s[26:27], v[50:51]
	v_mul_f32_e32 v54, v53, v54
	s_or_b64 s[24:25], vcc, s[24:25]
	v_mov_b32_e32 v53, v4
	v_fma_f32 v4, v4, v46, -v54
	s_andn2_b64 exec, exec, s[24:25]
	s_cbranch_execnz .LBB60_32
; %bb.33:
	s_or_b64 exec, exec, s[24:25]
.LBB60_34:
	s_or_b64 exec, exec, s[22:23]
                                        ; implicit-def: $vgpr46
.LBB60_35:
	s_andn2_saveexec_b64 s[20:21], s[20:21]
; %bb.36:
	v_mov_b32_e32 v4, v46
; %bb.37:
	s_or_b64 exec, exec, s[20:21]
.LBB60_38:
	s_or_b64 exec, exec, s[14:15]
.LBB60_39:
	s_or_b64 exec, exec, s[10:11]
	v_trunc_f32_e32 v5, v5
	s_mov_b32 s10, 0x2f800000
	v_mul_f32_e64 v46, |v5|, s10
	v_floor_f32_e32 v46, v46
	s_mov_b32 s10, 0xcf800000
	v_cvt_u32_f32_e32 v50, v46
	v_fma_f32 v46, v46, s10, |v5|
	v_cvt_u32_f32_e32 v46, v46
	v_ashrrev_i32_e32 v5, 31, v5
	v_xor_b32_e32 v51, v50, v5
	v_xor_b32_e32 v46, v46, v5
	v_sub_co_u32_e32 v50, vcc, v46, v5
	v_subb_co_u32_e32 v51, vcc, v51, v5, vcc
	v_cmp_lt_i64_e32 vcc, -1, v[50:51]
	v_mov_b32_e32 v5, 0
	s_and_saveexec_b64 s[10:11], vcc
	s_cbranch_execz .LBB60_51
; %bb.40:
	v_cmp_lt_i64_e32 vcc, 0, v[50:51]
	v_mov_b32_e32 v5, 1.0
	s_and_saveexec_b64 s[14:15], vcc
	s_cbranch_execz .LBB60_50
; %bb.41:
	v_cvt_f32_f16_sdwa v46, v47 dst_sel:DWORD dst_unused:UNUSED_PAD src0_sel:WORD_1
	v_cmp_ne_u64_e32 vcc, 1, v[50:51]
	s_and_saveexec_b64 s[20:21], vcc
	s_xor_b64 s[20:21], exec, s[20:21]
	s_cbranch_execz .LBB60_47
; %bb.42:
	s_mov_b64 s[22:23], 0x81
	v_cmp_gt_u64_e32 vcc, s[22:23], v[50:51]
	v_mov_b32_e32 v5, 0x7fc00000
	s_and_saveexec_b64 s[22:23], vcc
	s_cbranch_execz .LBB60_46
; %bb.43:
	s_mov_b64 s[26:27], 1
	s_mov_b64 s[24:25], 0
	v_mov_b32_e32 v47, 1.0
	v_mov_b32_e32 v5, v46
.LBB60_44:                              ; =>This Inner Loop Header: Depth=1
	s_flbit_i32_b32 s28, s27
	s_min_u32 s30, s28, 32
	s_lshl_b64 s[28:29], s[26:27], s30
	s_min_u32 s28, s28, 1
	s_or_b32 s28, s29, s28
	v_cvt_f32_u32_e32 v53, s28
	s_sub_i32 s30, 32, s30
	s_add_u32 s26, s26, 1
	s_addc_u32 s27, s27, 0
	v_ldexp_f32 v53, v53, s30
	v_cmp_eq_u64_e32 vcc, s[26:27], v[50:51]
	v_mul_f32_e32 v53, v47, v53
	s_or_b64 s[24:25], vcc, s[24:25]
	v_mov_b32_e32 v47, v5
	v_fma_f32 v5, v5, v46, -v53
	s_andn2_b64 exec, exec, s[24:25]
	s_cbranch_execnz .LBB60_44
; %bb.45:
	s_or_b64 exec, exec, s[24:25]
.LBB60_46:
	s_or_b64 exec, exec, s[22:23]
                                        ; implicit-def: $vgpr46
.LBB60_47:
	s_andn2_saveexec_b64 s[20:21], s[20:21]
; %bb.48:
	v_mov_b32_e32 v5, v46
; %bb.49:
	s_or_b64 exec, exec, s[20:21]
.LBB60_50:
	s_or_b64 exec, exec, s[14:15]
.LBB60_51:
	s_or_b64 exec, exec, s[10:11]
	v_trunc_f32_e32 v14, v14
	s_mov_b32 s10, 0x2f800000
	v_mul_f32_e64 v46, |v14|, s10
	v_floor_f32_e32 v46, v46
	s_mov_b32 s10, 0xcf800000
	v_cvt_u32_f32_e32 v47, v46
	v_fma_f32 v46, v46, s10, |v14|
	v_cvt_u32_f32_e32 v46, v46
	v_ashrrev_i32_e32 v14, 31, v14
	v_xor_b32_e32 v47, v47, v14
	v_xor_b32_e32 v46, v46, v14
	v_sub_co_u32_e32 v46, vcc, v46, v14
	v_subb_co_u32_e32 v47, vcc, v47, v14, vcc
	v_cmp_lt_i64_e32 vcc, -1, v[46:47]
	v_mov_b32_e32 v14, 0
	s_and_saveexec_b64 s[10:11], vcc
	s_cbranch_execz .LBB60_63
; %bb.52:
	v_cmp_lt_i64_e32 vcc, 0, v[46:47]
	v_mov_b32_e32 v14, 1.0
	s_and_saveexec_b64 s[14:15], vcc
	s_cbranch_execz .LBB60_62
; %bb.53:
	v_cvt_f32_f16_e32 v50, v48
	v_cmp_ne_u64_e32 vcc, 1, v[46:47]
                                        ; implicit-def: $vgpr14
	s_and_saveexec_b64 s[20:21], vcc
	s_xor_b64 s[20:21], exec, s[20:21]
	s_cbranch_execz .LBB60_59
; %bb.54:
	s_mov_b64 s[22:23], 0x81
	v_cmp_gt_u64_e32 vcc, s[22:23], v[46:47]
	v_mov_b32_e32 v14, 0x7fc00000
	s_and_saveexec_b64 s[22:23], vcc
	s_cbranch_execz .LBB60_58
; %bb.55:
	s_mov_b64 s[26:27], 1
	s_mov_b64 s[24:25], 0
	v_mov_b32_e32 v51, 1.0
	v_mov_b32_e32 v14, v50
.LBB60_56:                              ; =>This Inner Loop Header: Depth=1
	s_flbit_i32_b32 s28, s27
	s_min_u32 s30, s28, 32
	s_lshl_b64 s[28:29], s[26:27], s30
	s_min_u32 s28, s28, 1
	s_or_b32 s28, s29, s28
	v_cvt_f32_u32_e32 v53, s28
	s_sub_i32 s30, 32, s30
	s_add_u32 s26, s26, 1
	s_addc_u32 s27, s27, 0
	v_ldexp_f32 v53, v53, s30
	v_cmp_eq_u64_e32 vcc, s[26:27], v[46:47]
	v_mul_f32_e32 v53, v51, v53
	s_or_b64 s[24:25], vcc, s[24:25]
	v_mov_b32_e32 v51, v14
	v_fma_f32 v14, v14, v50, -v53
	s_andn2_b64 exec, exec, s[24:25]
	s_cbranch_execnz .LBB60_56
; %bb.57:
	s_or_b64 exec, exec, s[24:25]
.LBB60_58:
	s_or_b64 exec, exec, s[22:23]
                                        ; implicit-def: $vgpr50
.LBB60_59:
	s_andn2_saveexec_b64 s[20:21], s[20:21]
; %bb.60:
	v_mov_b32_e32 v14, v50
; %bb.61:
	s_or_b64 exec, exec, s[20:21]
.LBB60_62:
	s_or_b64 exec, exec, s[14:15]
.LBB60_63:
	s_or_b64 exec, exec, s[10:11]
	v_trunc_f32_e32 v15, v15
	s_mov_b32 s10, 0x2f800000
	v_mul_f32_e64 v46, |v15|, s10
	v_floor_f32_e32 v46, v46
	s_mov_b32 s10, 0xcf800000
	v_cvt_u32_f32_e32 v47, v46
	v_fma_f32 v46, v46, s10, |v15|
	v_cvt_u32_f32_e32 v46, v46
	v_ashrrev_i32_e32 v15, 31, v15
	v_xor_b32_e32 v47, v47, v15
	v_xor_b32_e32 v46, v46, v15
	v_sub_co_u32_e32 v46, vcc, v46, v15
	v_subb_co_u32_e32 v47, vcc, v47, v15, vcc
	v_cmp_lt_i64_e32 vcc, -1, v[46:47]
	v_mov_b32_e32 v15, 0
	s_and_saveexec_b64 s[10:11], vcc
	s_cbranch_execz .LBB60_75
; %bb.64:
	v_cmp_lt_i64_e32 vcc, 0, v[46:47]
	v_mov_b32_e32 v15, 1.0
	s_and_saveexec_b64 s[14:15], vcc
	s_cbranch_execz .LBB60_74
; %bb.65:
	v_cvt_f32_f16_sdwa v48, v48 dst_sel:DWORD dst_unused:UNUSED_PAD src0_sel:WORD_1
	v_cmp_ne_u64_e32 vcc, 1, v[46:47]
	s_and_saveexec_b64 s[20:21], vcc
	s_xor_b64 s[20:21], exec, s[20:21]
	s_cbranch_execz .LBB60_71
; %bb.66:
	s_mov_b64 s[22:23], 0x81
	v_cmp_gt_u64_e32 vcc, s[22:23], v[46:47]
	v_mov_b32_e32 v15, 0x7fc00000
	s_and_saveexec_b64 s[22:23], vcc
	s_cbranch_execz .LBB60_70
; %bb.67:
	s_mov_b64 s[26:27], 1
	s_mov_b64 s[24:25], 0
	v_mov_b32_e32 v50, 1.0
	v_mov_b32_e32 v15, v48
.LBB60_68:                              ; =>This Inner Loop Header: Depth=1
	s_flbit_i32_b32 s28, s27
	s_min_u32 s30, s28, 32
	s_lshl_b64 s[28:29], s[26:27], s30
	s_min_u32 s28, s28, 1
	s_or_b32 s28, s29, s28
	v_cvt_f32_u32_e32 v51, s28
	s_sub_i32 s30, 32, s30
	s_add_u32 s26, s26, 1
	s_addc_u32 s27, s27, 0
	v_ldexp_f32 v51, v51, s30
	v_cmp_eq_u64_e32 vcc, s[26:27], v[46:47]
	v_mul_f32_e32 v51, v50, v51
	s_or_b64 s[24:25], vcc, s[24:25]
	v_mov_b32_e32 v50, v15
	v_fma_f32 v15, v15, v48, -v51
	s_andn2_b64 exec, exec, s[24:25]
	s_cbranch_execnz .LBB60_68
; %bb.69:
	s_or_b64 exec, exec, s[24:25]
.LBB60_70:
	s_or_b64 exec, exec, s[22:23]
                                        ; implicit-def: $vgpr48
.LBB60_71:
	s_andn2_saveexec_b64 s[20:21], s[20:21]
; %bb.72:
	v_mov_b32_e32 v15, v48
; %bb.73:
	s_or_b64 exec, exec, s[20:21]
.LBB60_74:
	s_or_b64 exec, exec, s[14:15]
.LBB60_75:
	s_or_b64 exec, exec, s[10:11]
	v_trunc_f32_e32 v16, v16
	s_mov_b32 s10, 0x2f800000
	v_mul_f32_e64 v46, |v16|, s10
	v_floor_f32_e32 v46, v46
	s_mov_b32 s10, 0xcf800000
	v_cvt_u32_f32_e32 v47, v46
	v_fma_f32 v46, v46, s10, |v16|
	v_cvt_u32_f32_e32 v46, v46
	v_ashrrev_i32_e32 v16, 31, v16
	v_xor_b32_e32 v47, v47, v16
	v_xor_b32_e32 v46, v46, v16
	v_sub_co_u32_e32 v46, vcc, v46, v16
	v_subb_co_u32_e32 v47, vcc, v47, v16, vcc
	v_cmp_lt_i64_e32 vcc, -1, v[46:47]
	v_mov_b32_e32 v16, 0
	s_and_saveexec_b64 s[10:11], vcc
	s_cbranch_execz .LBB60_87
; %bb.76:
	v_cmp_lt_i64_e32 vcc, 0, v[46:47]
	v_mov_b32_e32 v16, 1.0
	s_and_saveexec_b64 s[14:15], vcc
	s_cbranch_execz .LBB60_86
; %bb.77:
	v_cvt_f32_f16_e32 v48, v49
	v_cmp_ne_u64_e32 vcc, 1, v[46:47]
	s_and_saveexec_b64 s[20:21], vcc
	s_xor_b64 s[20:21], exec, s[20:21]
	s_cbranch_execz .LBB60_83
; %bb.78:
	s_mov_b64 s[22:23], 0x81
	v_cmp_gt_u64_e32 vcc, s[22:23], v[46:47]
	v_mov_b32_e32 v16, 0x7fc00000
	s_and_saveexec_b64 s[22:23], vcc
	s_cbranch_execz .LBB60_82
; %bb.79:
	s_mov_b64 s[26:27], 1
	s_mov_b64 s[24:25], 0
	v_mov_b32_e32 v50, 1.0
	v_mov_b32_e32 v16, v48
.LBB60_80:                              ; =>This Inner Loop Header: Depth=1
	s_flbit_i32_b32 s28, s27
	s_min_u32 s30, s28, 32
	s_lshl_b64 s[28:29], s[26:27], s30
	s_min_u32 s28, s28, 1
	s_or_b32 s28, s29, s28
	v_cvt_f32_u32_e32 v51, s28
	s_sub_i32 s30, 32, s30
	s_add_u32 s26, s26, 1
	s_addc_u32 s27, s27, 0
	v_ldexp_f32 v51, v51, s30
	v_cmp_eq_u64_e32 vcc, s[26:27], v[46:47]
	v_mul_f32_e32 v51, v50, v51
	s_or_b64 s[24:25], vcc, s[24:25]
	v_mov_b32_e32 v50, v16
	v_fma_f32 v16, v16, v48, -v51
	s_andn2_b64 exec, exec, s[24:25]
	s_cbranch_execnz .LBB60_80
; %bb.81:
	s_or_b64 exec, exec, s[24:25]
.LBB60_82:
	s_or_b64 exec, exec, s[22:23]
                                        ; implicit-def: $vgpr48
.LBB60_83:
	s_andn2_saveexec_b64 s[20:21], s[20:21]
; %bb.84:
	v_mov_b32_e32 v16, v48
; %bb.85:
	s_or_b64 exec, exec, s[20:21]
.LBB60_86:
	s_or_b64 exec, exec, s[14:15]
.LBB60_87:
	s_or_b64 exec, exec, s[10:11]
	v_trunc_f32_e32 v17, v17
	s_mov_b32 s10, 0x2f800000
	v_mul_f32_e64 v46, |v17|, s10
	v_floor_f32_e32 v46, v46
	s_mov_b32 s10, 0xcf800000
	v_cvt_u32_f32_e32 v47, v46
	v_fma_f32 v46, v46, s10, |v17|
	v_cvt_u32_f32_e32 v46, v46
	v_ashrrev_i32_e32 v17, 31, v17
	v_xor_b32_e32 v47, v47, v17
	v_xor_b32_e32 v46, v46, v17
	v_sub_co_u32_e32 v46, vcc, v46, v17
	v_subb_co_u32_e32 v47, vcc, v47, v17, vcc
	v_cmp_lt_i64_e32 vcc, -1, v[46:47]
	v_mov_b32_e32 v17, 0
	s_and_saveexec_b64 s[10:11], vcc
	s_cbranch_execz .LBB60_99
; %bb.88:
	v_cmp_lt_i64_e32 vcc, 0, v[46:47]
	v_mov_b32_e32 v17, 1.0
	s_and_saveexec_b64 s[14:15], vcc
	s_cbranch_execz .LBB60_98
; %bb.89:
	v_cvt_f32_f16_sdwa v48, v49 dst_sel:DWORD dst_unused:UNUSED_PAD src0_sel:WORD_1
	v_cmp_ne_u64_e32 vcc, 1, v[46:47]
	s_and_saveexec_b64 s[20:21], vcc
	s_xor_b64 s[20:21], exec, s[20:21]
	s_cbranch_execz .LBB60_95
; %bb.90:
	s_mov_b64 s[22:23], 0x81
	v_cmp_gt_u64_e32 vcc, s[22:23], v[46:47]
	v_mov_b32_e32 v17, 0x7fc00000
	s_and_saveexec_b64 s[22:23], vcc
	s_cbranch_execz .LBB60_94
; %bb.91:
	s_mov_b64 s[26:27], 1
	s_mov_b64 s[24:25], 0
	v_mov_b32_e32 v49, 1.0
	v_mov_b32_e32 v17, v48
.LBB60_92:                              ; =>This Inner Loop Header: Depth=1
	s_flbit_i32_b32 s28, s27
	s_min_u32 s30, s28, 32
	s_lshl_b64 s[28:29], s[26:27], s30
	s_min_u32 s28, s28, 1
	s_or_b32 s28, s29, s28
	v_cvt_f32_u32_e32 v50, s28
	s_sub_i32 s30, 32, s30
	s_add_u32 s26, s26, 1
	s_addc_u32 s27, s27, 0
	v_ldexp_f32 v50, v50, s30
	v_cmp_eq_u64_e32 vcc, s[26:27], v[46:47]
	v_mul_f32_e32 v50, v49, v50
	s_or_b64 s[24:25], vcc, s[24:25]
	v_mov_b32_e32 v49, v17
	v_fma_f32 v17, v17, v48, -v50
	s_andn2_b64 exec, exec, s[24:25]
	s_cbranch_execnz .LBB60_92
; %bb.93:
	s_or_b64 exec, exec, s[24:25]
.LBB60_94:
	s_or_b64 exec, exec, s[22:23]
                                        ; implicit-def: $vgpr48
.LBB60_95:
	s_andn2_saveexec_b64 s[20:21], s[20:21]
; %bb.96:
	v_mov_b32_e32 v17, v48
; %bb.97:
	s_or_b64 exec, exec, s[20:21]
.LBB60_98:
	s_or_b64 exec, exec, s[14:15]
.LBB60_99:
	s_or_b64 exec, exec, s[10:11]
	s_waitcnt vmcnt(5)
	v_trunc_f32_e32 v22, v22
	s_mov_b32 s10, 0x2f800000
	v_mul_f32_e64 v46, |v22|, s10
	v_floor_f32_e32 v46, v46
	s_mov_b32 s10, 0xcf800000
	v_cvt_u32_f32_e32 v47, v46
	v_fma_f32 v46, v46, s10, |v22|
	v_cvt_u32_f32_e32 v46, v46
	v_ashrrev_i32_e32 v22, 31, v22
	v_xor_b32_e32 v47, v47, v22
	v_xor_b32_e32 v46, v46, v22
	v_sub_co_u32_e32 v46, vcc, v46, v22
	v_subb_co_u32_e32 v47, vcc, v47, v22, vcc
	v_cmp_lt_i64_e32 vcc, -1, v[46:47]
	v_mov_b32_e32 v22, 0
	s_and_saveexec_b64 s[10:11], vcc
	s_cbranch_execz .LBB60_111
; %bb.100:
	v_cmp_lt_i64_e32 vcc, 0, v[46:47]
	v_mov_b32_e32 v22, 1.0
	s_and_saveexec_b64 s[14:15], vcc
	s_cbranch_execz .LBB60_110
; %bb.101:
	v_cvt_f32_f16_e32 v48, v42
	v_cmp_ne_u64_e32 vcc, 1, v[46:47]
                                        ; implicit-def: $vgpr22
	s_and_saveexec_b64 s[20:21], vcc
	s_xor_b64 s[20:21], exec, s[20:21]
	s_cbranch_execz .LBB60_107
; %bb.102:
	s_mov_b64 s[22:23], 0x81
	v_cmp_gt_u64_e32 vcc, s[22:23], v[46:47]
	v_mov_b32_e32 v22, 0x7fc00000
	s_and_saveexec_b64 s[22:23], vcc
	s_cbranch_execz .LBB60_106
; %bb.103:
	s_mov_b64 s[26:27], 1
	s_mov_b64 s[24:25], 0
	v_mov_b32_e32 v49, 1.0
	v_mov_b32_e32 v22, v48
.LBB60_104:                             ; =>This Inner Loop Header: Depth=1
	s_flbit_i32_b32 s28, s27
	s_min_u32 s30, s28, 32
	s_lshl_b64 s[28:29], s[26:27], s30
	s_min_u32 s28, s28, 1
	s_or_b32 s28, s29, s28
	v_cvt_f32_u32_e32 v50, s28
	s_sub_i32 s30, 32, s30
	s_add_u32 s26, s26, 1
	s_addc_u32 s27, s27, 0
	v_ldexp_f32 v50, v50, s30
	v_cmp_eq_u64_e32 vcc, s[26:27], v[46:47]
	v_mul_f32_e32 v50, v49, v50
	s_or_b64 s[24:25], vcc, s[24:25]
	v_mov_b32_e32 v49, v22
	v_fma_f32 v22, v22, v48, -v50
	s_andn2_b64 exec, exec, s[24:25]
	s_cbranch_execnz .LBB60_104
; %bb.105:
	s_or_b64 exec, exec, s[24:25]
.LBB60_106:
	s_or_b64 exec, exec, s[22:23]
                                        ; implicit-def: $vgpr48
.LBB60_107:
	s_andn2_saveexec_b64 s[20:21], s[20:21]
; %bb.108:
	v_mov_b32_e32 v22, v48
; %bb.109:
	s_or_b64 exec, exec, s[20:21]
.LBB60_110:
	s_or_b64 exec, exec, s[14:15]
.LBB60_111:
	s_or_b64 exec, exec, s[10:11]
	v_trunc_f32_e32 v23, v23
	s_mov_b32 s10, 0x2f800000
	v_mul_f32_e64 v46, |v23|, s10
	v_floor_f32_e32 v46, v46
	s_mov_b32 s10, 0xcf800000
	v_cvt_u32_f32_e32 v47, v46
	v_fma_f32 v46, v46, s10, |v23|
	v_cvt_u32_f32_e32 v46, v46
	v_ashrrev_i32_e32 v23, 31, v23
	v_xor_b32_e32 v47, v47, v23
	v_xor_b32_e32 v46, v46, v23
	v_sub_co_u32_e32 v46, vcc, v46, v23
	v_subb_co_u32_e32 v47, vcc, v47, v23, vcc
	v_cmp_lt_i64_e32 vcc, -1, v[46:47]
	v_mov_b32_e32 v23, 0
	s_and_saveexec_b64 s[10:11], vcc
	s_cbranch_execz .LBB60_123
; %bb.112:
	v_cmp_lt_i64_e32 vcc, 0, v[46:47]
	v_mov_b32_e32 v23, 1.0
	s_and_saveexec_b64 s[14:15], vcc
	s_cbranch_execz .LBB60_122
; %bb.113:
	v_cvt_f32_f16_sdwa v42, v42 dst_sel:DWORD dst_unused:UNUSED_PAD src0_sel:WORD_1
	v_cmp_ne_u64_e32 vcc, 1, v[46:47]
	s_and_saveexec_b64 s[20:21], vcc
	s_xor_b64 s[20:21], exec, s[20:21]
	s_cbranch_execz .LBB60_119
; %bb.114:
	s_mov_b64 s[22:23], 0x81
	v_cmp_gt_u64_e32 vcc, s[22:23], v[46:47]
	v_mov_b32_e32 v23, 0x7fc00000
	s_and_saveexec_b64 s[22:23], vcc
	s_cbranch_execz .LBB60_118
; %bb.115:
	s_mov_b64 s[26:27], 1
	s_mov_b64 s[24:25], 0
	v_mov_b32_e32 v48, 1.0
	v_mov_b32_e32 v23, v42
.LBB60_116:                             ; =>This Inner Loop Header: Depth=1
	s_flbit_i32_b32 s28, s27
	s_min_u32 s30, s28, 32
	s_lshl_b64 s[28:29], s[26:27], s30
	s_min_u32 s28, s28, 1
	s_or_b32 s28, s29, s28
	v_cvt_f32_u32_e32 v49, s28
	s_sub_i32 s30, 32, s30
	s_add_u32 s26, s26, 1
	s_addc_u32 s27, s27, 0
	v_ldexp_f32 v49, v49, s30
	v_cmp_eq_u64_e32 vcc, s[26:27], v[46:47]
	v_mul_f32_e32 v49, v48, v49
	s_or_b64 s[24:25], vcc, s[24:25]
	v_mov_b32_e32 v48, v23
	v_fma_f32 v23, v23, v42, -v49
	s_andn2_b64 exec, exec, s[24:25]
	s_cbranch_execnz .LBB60_116
; %bb.117:
	s_or_b64 exec, exec, s[24:25]
.LBB60_118:
	s_or_b64 exec, exec, s[22:23]
                                        ; implicit-def: $vgpr42
.LBB60_119:
	s_andn2_saveexec_b64 s[20:21], s[20:21]
; %bb.120:
	v_mov_b32_e32 v23, v42
; %bb.121:
	s_or_b64 exec, exec, s[20:21]
.LBB60_122:
	s_or_b64 exec, exec, s[14:15]
.LBB60_123:
	s_or_b64 exec, exec, s[10:11]
	v_trunc_f32_e32 v24, v24
	s_mov_b32 s10, 0x2f800000
	v_mul_f32_e64 v42, |v24|, s10
	v_floor_f32_e32 v42, v42
	s_mov_b32 s10, 0xcf800000
	v_cvt_u32_f32_e32 v46, v42
	v_fma_f32 v42, v42, s10, |v24|
	v_cvt_u32_f32_e32 v42, v42
	v_ashrrev_i32_e32 v24, 31, v24
	v_xor_b32_e32 v47, v46, v24
	v_xor_b32_e32 v42, v42, v24
	v_sub_co_u32_e32 v46, vcc, v42, v24
	v_subb_co_u32_e32 v47, vcc, v47, v24, vcc
	v_cmp_lt_i64_e32 vcc, -1, v[46:47]
	v_mov_b32_e32 v24, 0
	s_and_saveexec_b64 s[10:11], vcc
	s_cbranch_execz .LBB60_135
; %bb.124:
	v_cmp_lt_i64_e32 vcc, 0, v[46:47]
	v_mov_b32_e32 v24, 1.0
	s_and_saveexec_b64 s[14:15], vcc
	s_cbranch_execz .LBB60_134
; %bb.125:
	v_cvt_f32_f16_e32 v42, v43
	v_cmp_ne_u64_e32 vcc, 1, v[46:47]
	s_and_saveexec_b64 s[20:21], vcc
	s_xor_b64 s[20:21], exec, s[20:21]
	s_cbranch_execz .LBB60_131
; %bb.126:
	s_mov_b64 s[22:23], 0x81
	v_cmp_gt_u64_e32 vcc, s[22:23], v[46:47]
	v_mov_b32_e32 v24, 0x7fc00000
	s_and_saveexec_b64 s[22:23], vcc
	s_cbranch_execz .LBB60_130
; %bb.127:
	s_mov_b64 s[26:27], 1
	s_mov_b64 s[24:25], 0
	v_mov_b32_e32 v48, 1.0
	v_mov_b32_e32 v24, v42
.LBB60_128:                             ; =>This Inner Loop Header: Depth=1
	s_flbit_i32_b32 s28, s27
	s_min_u32 s30, s28, 32
	s_lshl_b64 s[28:29], s[26:27], s30
	s_min_u32 s28, s28, 1
	s_or_b32 s28, s29, s28
	v_cvt_f32_u32_e32 v49, s28
	s_sub_i32 s30, 32, s30
	s_add_u32 s26, s26, 1
	s_addc_u32 s27, s27, 0
	v_ldexp_f32 v49, v49, s30
	v_cmp_eq_u64_e32 vcc, s[26:27], v[46:47]
	v_mul_f32_e32 v49, v48, v49
	s_or_b64 s[24:25], vcc, s[24:25]
	v_mov_b32_e32 v48, v24
	v_fma_f32 v24, v24, v42, -v49
	s_andn2_b64 exec, exec, s[24:25]
	s_cbranch_execnz .LBB60_128
; %bb.129:
	s_or_b64 exec, exec, s[24:25]
.LBB60_130:
	s_or_b64 exec, exec, s[22:23]
                                        ; implicit-def: $vgpr42
.LBB60_131:
	s_andn2_saveexec_b64 s[20:21], s[20:21]
; %bb.132:
	v_mov_b32_e32 v24, v42
; %bb.133:
	s_or_b64 exec, exec, s[20:21]
.LBB60_134:
	s_or_b64 exec, exec, s[14:15]
.LBB60_135:
	s_or_b64 exec, exec, s[10:11]
	v_trunc_f32_e32 v25, v25
	s_mov_b32 s10, 0x2f800000
	v_mul_f32_e64 v42, |v25|, s10
	v_floor_f32_e32 v42, v42
	s_mov_b32 s10, 0xcf800000
	v_cvt_u32_f32_e32 v46, v42
	v_fma_f32 v42, v42, s10, |v25|
	v_cvt_u32_f32_e32 v42, v42
	v_ashrrev_i32_e32 v25, 31, v25
	v_xor_b32_e32 v47, v46, v25
	v_xor_b32_e32 v42, v42, v25
	v_sub_co_u32_e32 v46, vcc, v42, v25
	v_subb_co_u32_e32 v47, vcc, v47, v25, vcc
	v_cmp_lt_i64_e32 vcc, -1, v[46:47]
	v_mov_b32_e32 v25, 0
	s_and_saveexec_b64 s[10:11], vcc
	s_cbranch_execz .LBB60_147
; %bb.136:
	v_cmp_lt_i64_e32 vcc, 0, v[46:47]
	v_mov_b32_e32 v25, 1.0
	s_and_saveexec_b64 s[14:15], vcc
	s_cbranch_execz .LBB60_146
; %bb.137:
	v_cvt_f32_f16_sdwa v42, v43 dst_sel:DWORD dst_unused:UNUSED_PAD src0_sel:WORD_1
	v_cmp_ne_u64_e32 vcc, 1, v[46:47]
	s_and_saveexec_b64 s[20:21], vcc
	s_xor_b64 s[20:21], exec, s[20:21]
	s_cbranch_execz .LBB60_143
; %bb.138:
	s_mov_b64 s[22:23], 0x81
	v_cmp_gt_u64_e32 vcc, s[22:23], v[46:47]
	v_mov_b32_e32 v25, 0x7fc00000
	s_and_saveexec_b64 s[22:23], vcc
	s_cbranch_execz .LBB60_142
; %bb.139:
	s_mov_b64 s[26:27], 1
	s_mov_b64 s[24:25], 0
	v_mov_b32_e32 v43, 1.0
	v_mov_b32_e32 v25, v42
.LBB60_140:                             ; =>This Inner Loop Header: Depth=1
	s_flbit_i32_b32 s28, s27
	s_min_u32 s30, s28, 32
	s_lshl_b64 s[28:29], s[26:27], s30
	s_min_u32 s28, s28, 1
	s_or_b32 s28, s29, s28
	v_cvt_f32_u32_e32 v48, s28
	s_sub_i32 s30, 32, s30
	s_add_u32 s26, s26, 1
	s_addc_u32 s27, s27, 0
	v_ldexp_f32 v48, v48, s30
	v_cmp_eq_u64_e32 vcc, s[26:27], v[46:47]
	v_mul_f32_e32 v48, v43, v48
	s_or_b64 s[24:25], vcc, s[24:25]
	v_mov_b32_e32 v43, v25
	v_fma_f32 v25, v25, v42, -v48
	s_andn2_b64 exec, exec, s[24:25]
	s_cbranch_execnz .LBB60_140
; %bb.141:
	s_or_b64 exec, exec, s[24:25]
.LBB60_142:
	s_or_b64 exec, exec, s[22:23]
                                        ; implicit-def: $vgpr42
.LBB60_143:
	s_andn2_saveexec_b64 s[20:21], s[20:21]
; %bb.144:
	v_mov_b32_e32 v25, v42
; %bb.145:
	s_or_b64 exec, exec, s[20:21]
.LBB60_146:
	s_or_b64 exec, exec, s[14:15]
.LBB60_147:
	s_or_b64 exec, exec, s[10:11]
	s_waitcnt vmcnt(4)
	v_trunc_f32_e32 v34, v34
	s_mov_b32 s10, 0x2f800000
	v_mul_f32_e64 v42, |v34|, s10
	v_floor_f32_e32 v42, v42
	s_mov_b32 s10, 0xcf800000
	v_cvt_u32_f32_e32 v43, v42
	v_fma_f32 v42, v42, s10, |v34|
	v_cvt_u32_f32_e32 v42, v42
	v_ashrrev_i32_e32 v34, 31, v34
	v_xor_b32_e32 v43, v43, v34
	v_xor_b32_e32 v42, v42, v34
	v_sub_co_u32_e32 v42, vcc, v42, v34
	v_subb_co_u32_e32 v43, vcc, v43, v34, vcc
	v_cmp_lt_i64_e32 vcc, -1, v[42:43]
	v_mov_b32_e32 v34, 0
	s_and_saveexec_b64 s[10:11], vcc
	s_cbranch_execz .LBB60_159
; %bb.148:
	v_cmp_lt_i64_e32 vcc, 0, v[42:43]
	v_mov_b32_e32 v34, 1.0
	s_and_saveexec_b64 s[14:15], vcc
	s_cbranch_execz .LBB60_158
; %bb.149:
	v_cvt_f32_f16_e32 v46, v44
	v_cmp_ne_u64_e32 vcc, 1, v[42:43]
                                        ; implicit-def: $vgpr34
	s_and_saveexec_b64 s[20:21], vcc
	s_xor_b64 s[20:21], exec, s[20:21]
	s_cbranch_execz .LBB60_155
; %bb.150:
	s_mov_b64 s[22:23], 0x81
	v_cmp_gt_u64_e32 vcc, s[22:23], v[42:43]
	v_mov_b32_e32 v34, 0x7fc00000
	s_and_saveexec_b64 s[22:23], vcc
	s_cbranch_execz .LBB60_154
; %bb.151:
	s_mov_b64 s[26:27], 1
	s_mov_b64 s[24:25], 0
	v_mov_b32_e32 v47, 1.0
	v_mov_b32_e32 v34, v46
.LBB60_152:                             ; =>This Inner Loop Header: Depth=1
	s_flbit_i32_b32 s28, s27
	s_min_u32 s30, s28, 32
	s_lshl_b64 s[28:29], s[26:27], s30
	s_min_u32 s28, s28, 1
	s_or_b32 s28, s29, s28
	v_cvt_f32_u32_e32 v48, s28
	s_sub_i32 s30, 32, s30
	s_add_u32 s26, s26, 1
	s_addc_u32 s27, s27, 0
	v_ldexp_f32 v48, v48, s30
	v_cmp_eq_u64_e32 vcc, s[26:27], v[42:43]
	v_mul_f32_e32 v48, v47, v48
	s_or_b64 s[24:25], vcc, s[24:25]
	v_mov_b32_e32 v47, v34
	v_fma_f32 v34, v34, v46, -v48
	s_andn2_b64 exec, exec, s[24:25]
	s_cbranch_execnz .LBB60_152
; %bb.153:
	s_or_b64 exec, exec, s[24:25]
.LBB60_154:
	s_or_b64 exec, exec, s[22:23]
                                        ; implicit-def: $vgpr46
.LBB60_155:
	s_andn2_saveexec_b64 s[20:21], s[20:21]
; %bb.156:
	v_mov_b32_e32 v34, v46
; %bb.157:
	s_or_b64 exec, exec, s[20:21]
.LBB60_158:
	s_or_b64 exec, exec, s[14:15]
.LBB60_159:
	s_or_b64 exec, exec, s[10:11]
	v_trunc_f32_e32 v35, v35
	s_mov_b32 s10, 0x2f800000
	v_mul_f32_e64 v42, |v35|, s10
	v_floor_f32_e32 v42, v42
	s_mov_b32 s10, 0xcf800000
	v_cvt_u32_f32_e32 v43, v42
	v_fma_f32 v42, v42, s10, |v35|
	v_cvt_u32_f32_e32 v42, v42
	v_ashrrev_i32_e32 v35, 31, v35
	v_xor_b32_e32 v43, v43, v35
	v_xor_b32_e32 v42, v42, v35
	v_sub_co_u32_e32 v42, vcc, v42, v35
	v_subb_co_u32_e32 v43, vcc, v43, v35, vcc
	v_cmp_lt_i64_e32 vcc, -1, v[42:43]
	v_mov_b32_e32 v35, 0
	s_and_saveexec_b64 s[10:11], vcc
	s_cbranch_execz .LBB60_171
; %bb.160:
	v_cmp_lt_i64_e32 vcc, 0, v[42:43]
	v_mov_b32_e32 v35, 1.0
	s_and_saveexec_b64 s[14:15], vcc
	s_cbranch_execz .LBB60_170
; %bb.161:
	v_cvt_f32_f16_sdwa v44, v44 dst_sel:DWORD dst_unused:UNUSED_PAD src0_sel:WORD_1
	v_cmp_ne_u64_e32 vcc, 1, v[42:43]
	s_and_saveexec_b64 s[20:21], vcc
	s_xor_b64 s[20:21], exec, s[20:21]
	s_cbranch_execz .LBB60_167
; %bb.162:
	s_mov_b64 s[22:23], 0x81
	v_cmp_gt_u64_e32 vcc, s[22:23], v[42:43]
	v_mov_b32_e32 v35, 0x7fc00000
	s_and_saveexec_b64 s[22:23], vcc
	s_cbranch_execz .LBB60_166
; %bb.163:
	s_mov_b64 s[26:27], 1
	s_mov_b64 s[24:25], 0
	v_mov_b32_e32 v46, 1.0
	v_mov_b32_e32 v35, v44
.LBB60_164:                             ; =>This Inner Loop Header: Depth=1
	s_flbit_i32_b32 s28, s27
	s_min_u32 s30, s28, 32
	s_lshl_b64 s[28:29], s[26:27], s30
	s_min_u32 s28, s28, 1
	s_or_b32 s28, s29, s28
	v_cvt_f32_u32_e32 v47, s28
	s_sub_i32 s30, 32, s30
	s_add_u32 s26, s26, 1
	s_addc_u32 s27, s27, 0
	v_ldexp_f32 v47, v47, s30
	v_cmp_eq_u64_e32 vcc, s[26:27], v[42:43]
	v_mul_f32_e32 v47, v46, v47
	s_or_b64 s[24:25], vcc, s[24:25]
	v_mov_b32_e32 v46, v35
	v_fma_f32 v35, v35, v44, -v47
	s_andn2_b64 exec, exec, s[24:25]
	s_cbranch_execnz .LBB60_164
; %bb.165:
	s_or_b64 exec, exec, s[24:25]
.LBB60_166:
	s_or_b64 exec, exec, s[22:23]
                                        ; implicit-def: $vgpr44
.LBB60_167:
	s_andn2_saveexec_b64 s[20:21], s[20:21]
; %bb.168:
	v_mov_b32_e32 v35, v44
; %bb.169:
	s_or_b64 exec, exec, s[20:21]
.LBB60_170:
	s_or_b64 exec, exec, s[14:15]
.LBB60_171:
	s_or_b64 exec, exec, s[10:11]
	v_trunc_f32_e32 v36, v36
	s_mov_b32 s10, 0x2f800000
	v_mul_f32_e64 v42, |v36|, s10
	v_floor_f32_e32 v42, v42
	s_mov_b32 s10, 0xcf800000
	v_cvt_u32_f32_e32 v43, v42
	v_fma_f32 v42, v42, s10, |v36|
	v_cvt_u32_f32_e32 v42, v42
	v_ashrrev_i32_e32 v36, 31, v36
	v_xor_b32_e32 v43, v43, v36
	v_xor_b32_e32 v42, v42, v36
	v_sub_co_u32_e32 v42, vcc, v42, v36
	v_subb_co_u32_e32 v43, vcc, v43, v36, vcc
	v_cmp_lt_i64_e32 vcc, -1, v[42:43]
	v_mov_b32_e32 v36, 0
	s_and_saveexec_b64 s[10:11], vcc
	s_cbranch_execz .LBB60_183
; %bb.172:
	v_cmp_lt_i64_e32 vcc, 0, v[42:43]
	v_mov_b32_e32 v36, 1.0
	s_and_saveexec_b64 s[14:15], vcc
	s_cbranch_execz .LBB60_182
; %bb.173:
	v_cvt_f32_f16_e32 v44, v45
	v_cmp_ne_u64_e32 vcc, 1, v[42:43]
	s_and_saveexec_b64 s[20:21], vcc
	s_xor_b64 s[20:21], exec, s[20:21]
	s_cbranch_execz .LBB60_179
; %bb.174:
	s_mov_b64 s[22:23], 0x81
	v_cmp_gt_u64_e32 vcc, s[22:23], v[42:43]
	v_mov_b32_e32 v36, 0x7fc00000
	s_and_saveexec_b64 s[22:23], vcc
	s_cbranch_execz .LBB60_178
; %bb.175:
	s_mov_b64 s[26:27], 1
	s_mov_b64 s[24:25], 0
	v_mov_b32_e32 v46, 1.0
	v_mov_b32_e32 v36, v44
.LBB60_176:                             ; =>This Inner Loop Header: Depth=1
	s_flbit_i32_b32 s28, s27
	s_min_u32 s30, s28, 32
	s_lshl_b64 s[28:29], s[26:27], s30
	s_min_u32 s28, s28, 1
	s_or_b32 s28, s29, s28
	v_cvt_f32_u32_e32 v47, s28
	s_sub_i32 s30, 32, s30
	s_add_u32 s26, s26, 1
	s_addc_u32 s27, s27, 0
	v_ldexp_f32 v47, v47, s30
	v_cmp_eq_u64_e32 vcc, s[26:27], v[42:43]
	v_mul_f32_e32 v47, v46, v47
	s_or_b64 s[24:25], vcc, s[24:25]
	v_mov_b32_e32 v46, v36
	v_fma_f32 v36, v36, v44, -v47
	s_andn2_b64 exec, exec, s[24:25]
	s_cbranch_execnz .LBB60_176
; %bb.177:
	s_or_b64 exec, exec, s[24:25]
.LBB60_178:
	s_or_b64 exec, exec, s[22:23]
                                        ; implicit-def: $vgpr44
.LBB60_179:
	s_andn2_saveexec_b64 s[20:21], s[20:21]
; %bb.180:
	v_mov_b32_e32 v36, v44
; %bb.181:
	s_or_b64 exec, exec, s[20:21]
.LBB60_182:
	s_or_b64 exec, exec, s[14:15]
.LBB60_183:
	s_or_b64 exec, exec, s[10:11]
	v_trunc_f32_e32 v37, v37
	s_mov_b32 s10, 0x2f800000
	v_mul_f32_e64 v42, |v37|, s10
	v_floor_f32_e32 v42, v42
	s_mov_b32 s10, 0xcf800000
	v_cvt_u32_f32_e32 v43, v42
	v_fma_f32 v42, v42, s10, |v37|
	v_cvt_u32_f32_e32 v42, v42
	v_ashrrev_i32_e32 v37, 31, v37
	v_xor_b32_e32 v43, v43, v37
	v_xor_b32_e32 v42, v42, v37
	v_sub_co_u32_e32 v42, vcc, v42, v37
	v_subb_co_u32_e32 v43, vcc, v43, v37, vcc
	v_cmp_lt_i64_e32 vcc, -1, v[42:43]
	v_mov_b32_e32 v37, 0
	s_and_saveexec_b64 s[10:11], vcc
	s_cbranch_execz .LBB60_195
; %bb.184:
	v_cmp_lt_i64_e32 vcc, 0, v[42:43]
	v_mov_b32_e32 v37, 1.0
	s_and_saveexec_b64 s[14:15], vcc
	s_cbranch_execz .LBB60_194
; %bb.185:
	v_cvt_f32_f16_sdwa v44, v45 dst_sel:DWORD dst_unused:UNUSED_PAD src0_sel:WORD_1
	v_cmp_ne_u64_e32 vcc, 1, v[42:43]
	s_and_saveexec_b64 s[20:21], vcc
	s_xor_b64 s[20:21], exec, s[20:21]
	s_cbranch_execz .LBB60_191
; %bb.186:
	s_mov_b64 s[22:23], 0x81
	v_cmp_gt_u64_e32 vcc, s[22:23], v[42:43]
	v_mov_b32_e32 v37, 0x7fc00000
	s_and_saveexec_b64 s[22:23], vcc
	s_cbranch_execz .LBB60_190
; %bb.187:
	s_mov_b64 s[26:27], 1
	s_mov_b64 s[24:25], 0
	v_mov_b32_e32 v45, 1.0
	v_mov_b32_e32 v37, v44
.LBB60_188:                             ; =>This Inner Loop Header: Depth=1
	s_flbit_i32_b32 s28, s27
	s_min_u32 s30, s28, 32
	s_lshl_b64 s[28:29], s[26:27], s30
	s_min_u32 s28, s28, 1
	s_or_b32 s28, s29, s28
	v_cvt_f32_u32_e32 v46, s28
	s_sub_i32 s30, 32, s30
	s_add_u32 s26, s26, 1
	s_addc_u32 s27, s27, 0
	v_ldexp_f32 v46, v46, s30
	v_cmp_eq_u64_e32 vcc, s[26:27], v[42:43]
	v_mul_f32_e32 v46, v45, v46
	s_or_b64 s[24:25], vcc, s[24:25]
	v_mov_b32_e32 v45, v37
	v_fma_f32 v37, v37, v44, -v46
	s_andn2_b64 exec, exec, s[24:25]
	s_cbranch_execnz .LBB60_188
; %bb.189:
	s_or_b64 exec, exec, s[24:25]
.LBB60_190:
	s_or_b64 exec, exec, s[22:23]
                                        ; implicit-def: $vgpr44
.LBB60_191:
	s_andn2_saveexec_b64 s[20:21], s[20:21]
; %bb.192:
	v_mov_b32_e32 v37, v44
; %bb.193:
	s_or_b64 exec, exec, s[20:21]
.LBB60_194:
	s_or_b64 exec, exec, s[14:15]
.LBB60_195:
	s_or_b64 exec, exec, s[10:11]
	s_waitcnt vmcnt(2)
	v_trunc_f32_e32 v38, v38
	s_mov_b32 s10, 0x2f800000
	v_mul_f32_e64 v42, |v38|, s10
	v_floor_f32_e32 v42, v42
	s_mov_b32 s10, 0xcf800000
	v_cvt_u32_f32_e32 v43, v42
	v_fma_f32 v42, v42, s10, |v38|
	v_cvt_u32_f32_e32 v42, v42
	v_ashrrev_i32_e32 v38, 31, v38
	v_xor_b32_e32 v43, v43, v38
	v_xor_b32_e32 v42, v42, v38
	v_sub_co_u32_e32 v42, vcc, v42, v38
	v_subb_co_u32_e32 v43, vcc, v43, v38, vcc
	v_cmp_lt_i64_e32 vcc, -1, v[42:43]
	v_mov_b32_e32 v38, 0
	s_and_saveexec_b64 s[10:11], vcc
	s_cbranch_execz .LBB60_207
; %bb.196:
	v_cmp_lt_i64_e32 vcc, 0, v[42:43]
	v_mov_b32_e32 v38, 1.0
	s_and_saveexec_b64 s[14:15], vcc
	s_cbranch_execz .LBB60_206
; %bb.197:
	v_cvt_f32_f16_e32 v44, v26
	v_cmp_ne_u64_e32 vcc, 1, v[42:43]
                                        ; implicit-def: $vgpr38
	s_and_saveexec_b64 s[20:21], vcc
	s_xor_b64 s[20:21], exec, s[20:21]
	s_cbranch_execz .LBB60_203
; %bb.198:
	s_mov_b64 s[22:23], 0x81
	v_cmp_gt_u64_e32 vcc, s[22:23], v[42:43]
	v_mov_b32_e32 v38, 0x7fc00000
	s_and_saveexec_b64 s[22:23], vcc
	s_cbranch_execz .LBB60_202
; %bb.199:
	s_mov_b64 s[26:27], 1
	s_mov_b64 s[24:25], 0
	v_mov_b32_e32 v45, 1.0
	v_mov_b32_e32 v38, v44
.LBB60_200:                             ; =>This Inner Loop Header: Depth=1
	s_flbit_i32_b32 s28, s27
	s_min_u32 s30, s28, 32
	s_lshl_b64 s[28:29], s[26:27], s30
	s_min_u32 s28, s28, 1
	s_or_b32 s28, s29, s28
	v_cvt_f32_u32_e32 v46, s28
	s_sub_i32 s30, 32, s30
	s_add_u32 s26, s26, 1
	s_addc_u32 s27, s27, 0
	v_ldexp_f32 v46, v46, s30
	v_cmp_eq_u64_e32 vcc, s[26:27], v[42:43]
	v_mul_f32_e32 v46, v45, v46
	s_or_b64 s[24:25], vcc, s[24:25]
	v_mov_b32_e32 v45, v38
	v_fma_f32 v38, v38, v44, -v46
	s_andn2_b64 exec, exec, s[24:25]
	s_cbranch_execnz .LBB60_200
; %bb.201:
	s_or_b64 exec, exec, s[24:25]
.LBB60_202:
	s_or_b64 exec, exec, s[22:23]
                                        ; implicit-def: $vgpr44
.LBB60_203:
	s_andn2_saveexec_b64 s[20:21], s[20:21]
; %bb.204:
	v_mov_b32_e32 v38, v44
; %bb.205:
	s_or_b64 exec, exec, s[20:21]
.LBB60_206:
	s_or_b64 exec, exec, s[14:15]
.LBB60_207:
	s_or_b64 exec, exec, s[10:11]
	v_trunc_f32_e32 v39, v39
	s_mov_b32 s10, 0x2f800000
	v_mul_f32_e64 v42, |v39|, s10
	v_floor_f32_e32 v42, v42
	s_mov_b32 s10, 0xcf800000
	v_cvt_u32_f32_e32 v43, v42
	v_fma_f32 v42, v42, s10, |v39|
	v_cvt_u32_f32_e32 v42, v42
	v_ashrrev_i32_e32 v39, 31, v39
	v_xor_b32_e32 v43, v43, v39
	v_xor_b32_e32 v42, v42, v39
	v_sub_co_u32_e32 v42, vcc, v42, v39
	v_subb_co_u32_e32 v43, vcc, v43, v39, vcc
	v_cmp_lt_i64_e32 vcc, -1, v[42:43]
	v_mov_b32_e32 v39, 0
	s_and_saveexec_b64 s[10:11], vcc
	s_cbranch_execz .LBB60_219
; %bb.208:
	v_cmp_lt_i64_e32 vcc, 0, v[42:43]
	v_mov_b32_e32 v39, 1.0
	s_and_saveexec_b64 s[14:15], vcc
	s_cbranch_execz .LBB60_218
; %bb.209:
	v_cvt_f32_f16_sdwa v26, v26 dst_sel:DWORD dst_unused:UNUSED_PAD src0_sel:WORD_1
	v_cmp_ne_u64_e32 vcc, 1, v[42:43]
	s_and_saveexec_b64 s[20:21], vcc
	s_xor_b64 s[20:21], exec, s[20:21]
	s_cbranch_execz .LBB60_215
; %bb.210:
	s_mov_b64 s[22:23], 0x81
	v_cmp_gt_u64_e32 vcc, s[22:23], v[42:43]
	v_mov_b32_e32 v39, 0x7fc00000
	s_and_saveexec_b64 s[22:23], vcc
	s_cbranch_execz .LBB60_214
; %bb.211:
	s_mov_b64 s[26:27], 1
	s_mov_b64 s[24:25], 0
	v_mov_b32_e32 v44, 1.0
	v_mov_b32_e32 v39, v26
.LBB60_212:                             ; =>This Inner Loop Header: Depth=1
	s_flbit_i32_b32 s28, s27
	s_min_u32 s30, s28, 32
	s_lshl_b64 s[28:29], s[26:27], s30
	s_min_u32 s28, s28, 1
	s_or_b32 s28, s29, s28
	v_cvt_f32_u32_e32 v45, s28
	s_sub_i32 s30, 32, s30
	s_add_u32 s26, s26, 1
	s_addc_u32 s27, s27, 0
	v_ldexp_f32 v45, v45, s30
	v_cmp_eq_u64_e32 vcc, s[26:27], v[42:43]
	v_mul_f32_e32 v45, v44, v45
	s_or_b64 s[24:25], vcc, s[24:25]
	v_mov_b32_e32 v44, v39
	v_fma_f32 v39, v39, v26, -v45
	s_andn2_b64 exec, exec, s[24:25]
	s_cbranch_execnz .LBB60_212
; %bb.213:
	s_or_b64 exec, exec, s[24:25]
.LBB60_214:
	s_or_b64 exec, exec, s[22:23]
                                        ; implicit-def: $vgpr26
.LBB60_215:
	s_andn2_saveexec_b64 s[20:21], s[20:21]
; %bb.216:
	v_mov_b32_e32 v39, v26
; %bb.217:
	s_or_b64 exec, exec, s[20:21]
.LBB60_218:
	s_or_b64 exec, exec, s[14:15]
.LBB60_219:
	s_or_b64 exec, exec, s[10:11]
	v_trunc_f32_e32 v26, v40
	s_mov_b32 s10, 0x2f800000
	v_mul_f32_e64 v40, |v26|, s10
	v_floor_f32_e32 v40, v40
	s_mov_b32 s10, 0xcf800000
	v_cvt_u32_f32_e32 v42, v40
	v_fma_f32 v40, v40, s10, |v26|
	v_cvt_u32_f32_e32 v40, v40
	v_ashrrev_i32_e32 v26, 31, v26
	v_xor_b32_e32 v43, v42, v26
	v_xor_b32_e32 v40, v40, v26
	v_sub_co_u32_e32 v42, vcc, v40, v26
	v_subb_co_u32_e32 v43, vcc, v43, v26, vcc
	v_cmp_lt_i64_e32 vcc, -1, v[42:43]
	v_mov_b32_e32 v40, 0
	s_and_saveexec_b64 s[10:11], vcc
	s_cbranch_execz .LBB60_231
; %bb.220:
	v_cmp_lt_i64_e32 vcc, 0, v[42:43]
	v_mov_b32_e32 v40, 1.0
	s_and_saveexec_b64 s[14:15], vcc
	s_cbranch_execz .LBB60_230
; %bb.221:
	v_cvt_f32_f16_e32 v26, v27
	v_cmp_ne_u64_e32 vcc, 1, v[42:43]
	s_and_saveexec_b64 s[20:21], vcc
	s_xor_b64 s[20:21], exec, s[20:21]
	s_cbranch_execz .LBB60_227
; %bb.222:
	s_mov_b64 s[22:23], 0x81
	v_cmp_gt_u64_e32 vcc, s[22:23], v[42:43]
	v_mov_b32_e32 v40, 0x7fc00000
	s_and_saveexec_b64 s[22:23], vcc
	s_cbranch_execz .LBB60_226
; %bb.223:
	s_mov_b64 s[26:27], 1
	s_mov_b64 s[24:25], 0
	v_mov_b32_e32 v44, 1.0
	v_mov_b32_e32 v40, v26
.LBB60_224:                             ; =>This Inner Loop Header: Depth=1
	s_flbit_i32_b32 s28, s27
	s_min_u32 s30, s28, 32
	s_lshl_b64 s[28:29], s[26:27], s30
	s_min_u32 s28, s28, 1
	s_or_b32 s28, s29, s28
	v_cvt_f32_u32_e32 v45, s28
	s_sub_i32 s30, 32, s30
	s_add_u32 s26, s26, 1
	s_addc_u32 s27, s27, 0
	v_ldexp_f32 v45, v45, s30
	v_cmp_eq_u64_e32 vcc, s[26:27], v[42:43]
	v_mul_f32_e32 v45, v44, v45
	s_or_b64 s[24:25], vcc, s[24:25]
	v_mov_b32_e32 v44, v40
	v_fma_f32 v40, v40, v26, -v45
	s_andn2_b64 exec, exec, s[24:25]
	s_cbranch_execnz .LBB60_224
; %bb.225:
	s_or_b64 exec, exec, s[24:25]
.LBB60_226:
	s_or_b64 exec, exec, s[22:23]
                                        ; implicit-def: $vgpr26
.LBB60_227:
	s_andn2_saveexec_b64 s[20:21], s[20:21]
; %bb.228:
	v_mov_b32_e32 v40, v26
; %bb.229:
	s_or_b64 exec, exec, s[20:21]
.LBB60_230:
	s_or_b64 exec, exec, s[14:15]
.LBB60_231:
	s_or_b64 exec, exec, s[10:11]
	v_trunc_f32_e32 v26, v41
	s_mov_b32 s10, 0x2f800000
	v_mul_f32_e64 v41, |v26|, s10
	v_floor_f32_e32 v41, v41
	s_mov_b32 s10, 0xcf800000
	v_cvt_u32_f32_e32 v42, v41
	v_fma_f32 v41, v41, s10, |v26|
	v_cvt_u32_f32_e32 v41, v41
	v_ashrrev_i32_e32 v26, 31, v26
	v_xor_b32_e32 v43, v42, v26
	v_xor_b32_e32 v41, v41, v26
	v_sub_co_u32_e32 v42, vcc, v41, v26
	v_subb_co_u32_e32 v43, vcc, v43, v26, vcc
	v_cmp_lt_i64_e32 vcc, -1, v[42:43]
	v_mov_b32_e32 v41, 0
	s_and_saveexec_b64 s[10:11], vcc
	s_cbranch_execz .LBB60_243
; %bb.232:
	v_cmp_lt_i64_e32 vcc, 0, v[42:43]
	v_mov_b32_e32 v41, 1.0
	s_and_saveexec_b64 s[14:15], vcc
	s_cbranch_execz .LBB60_242
; %bb.233:
	v_cvt_f32_f16_sdwa v26, v27 dst_sel:DWORD dst_unused:UNUSED_PAD src0_sel:WORD_1
	v_cmp_ne_u64_e32 vcc, 1, v[42:43]
	s_and_saveexec_b64 s[20:21], vcc
	s_xor_b64 s[20:21], exec, s[20:21]
	s_cbranch_execz .LBB60_239
; %bb.234:
	s_mov_b64 s[22:23], 0x81
	v_cmp_gt_u64_e32 vcc, s[22:23], v[42:43]
	v_mov_b32_e32 v41, 0x7fc00000
	s_and_saveexec_b64 s[22:23], vcc
	s_cbranch_execz .LBB60_238
; %bb.235:
	s_mov_b64 s[26:27], 1
	s_mov_b64 s[24:25], 0
	v_mov_b32_e32 v27, 1.0
	v_mov_b32_e32 v41, v26
.LBB60_236:                             ; =>This Inner Loop Header: Depth=1
	s_flbit_i32_b32 s28, s27
	s_min_u32 s30, s28, 32
	s_lshl_b64 s[28:29], s[26:27], s30
	s_min_u32 s28, s28, 1
	s_or_b32 s28, s29, s28
	v_cvt_f32_u32_e32 v44, s28
	s_sub_i32 s30, 32, s30
	s_add_u32 s26, s26, 1
	s_addc_u32 s27, s27, 0
	v_ldexp_f32 v44, v44, s30
	v_cmp_eq_u64_e32 vcc, s[26:27], v[42:43]
	v_mul_f32_e32 v44, v27, v44
	s_or_b64 s[24:25], vcc, s[24:25]
	v_mov_b32_e32 v27, v41
	v_fma_f32 v41, v41, v26, -v44
	s_andn2_b64 exec, exec, s[24:25]
	s_cbranch_execnz .LBB60_236
; %bb.237:
	s_or_b64 exec, exec, s[24:25]
.LBB60_238:
	s_or_b64 exec, exec, s[22:23]
                                        ; implicit-def: $vgpr26
.LBB60_239:
	s_andn2_saveexec_b64 s[20:21], s[20:21]
; %bb.240:
	v_mov_b32_e32 v41, v26
; %bb.241:
	s_or_b64 exec, exec, s[20:21]
.LBB60_242:
	s_or_b64 exec, exec, s[14:15]
.LBB60_243:
	s_or_b64 exec, exec, s[10:11]
	v_trunc_f32_e32 v26, v30
	s_mov_b32 s10, 0x2f800000
	v_mul_f32_e64 v27, |v26|, s10
	v_floor_f32_e32 v27, v27
	s_mov_b32 s10, 0xcf800000
	v_cvt_u32_f32_e32 v30, v27
	v_fma_f32 v27, v27, s10, |v26|
	v_cvt_u32_f32_e32 v27, v27
	v_ashrrev_i32_e32 v42, 31, v26
	v_xor_b32_e32 v30, v30, v42
	v_xor_b32_e32 v26, v27, v42
	v_sub_co_u32_e32 v26, vcc, v26, v42
	v_subb_co_u32_e32 v27, vcc, v30, v42, vcc
	v_cmp_lt_i64_e32 vcc, -1, v[26:27]
	v_mov_b32_e32 v30, 0
	s_and_saveexec_b64 s[10:11], vcc
	s_cbranch_execz .LBB60_255
; %bb.244:
	v_cmp_lt_i64_e32 vcc, 0, v[26:27]
	v_mov_b32_e32 v30, 1.0
	s_and_saveexec_b64 s[14:15], vcc
	s_cbranch_execz .LBB60_254
; %bb.245:
	v_cvt_f32_f16_e32 v42, v28
	v_cmp_ne_u64_e32 vcc, 1, v[26:27]
                                        ; implicit-def: $vgpr30
	s_and_saveexec_b64 s[20:21], vcc
	s_xor_b64 s[20:21], exec, s[20:21]
	s_cbranch_execz .LBB60_251
; %bb.246:
	s_mov_b64 s[22:23], 0x81
	v_cmp_gt_u64_e32 vcc, s[22:23], v[26:27]
	v_mov_b32_e32 v30, 0x7fc00000
	s_and_saveexec_b64 s[22:23], vcc
	s_cbranch_execz .LBB60_250
; %bb.247:
	s_mov_b64 s[26:27], 1
	s_mov_b64 s[24:25], 0
	v_mov_b32_e32 v43, 1.0
	v_mov_b32_e32 v30, v42
.LBB60_248:                             ; =>This Inner Loop Header: Depth=1
	s_flbit_i32_b32 s28, s27
	s_min_u32 s30, s28, 32
	s_lshl_b64 s[28:29], s[26:27], s30
	s_min_u32 s28, s28, 1
	s_or_b32 s28, s29, s28
	v_cvt_f32_u32_e32 v44, s28
	s_sub_i32 s30, 32, s30
	s_add_u32 s26, s26, 1
	s_addc_u32 s27, s27, 0
	v_ldexp_f32 v44, v44, s30
	v_cmp_eq_u64_e32 vcc, s[26:27], v[26:27]
	v_mul_f32_e32 v44, v43, v44
	s_or_b64 s[24:25], vcc, s[24:25]
	v_mov_b32_e32 v43, v30
	v_fma_f32 v30, v30, v42, -v44
	s_andn2_b64 exec, exec, s[24:25]
	s_cbranch_execnz .LBB60_248
; %bb.249:
	s_or_b64 exec, exec, s[24:25]
.LBB60_250:
	s_or_b64 exec, exec, s[22:23]
                                        ; implicit-def: $vgpr42
.LBB60_251:
	s_andn2_saveexec_b64 s[20:21], s[20:21]
; %bb.252:
	v_mov_b32_e32 v30, v42
; %bb.253:
	s_or_b64 exec, exec, s[20:21]
.LBB60_254:
	s_or_b64 exec, exec, s[14:15]
.LBB60_255:
	s_or_b64 exec, exec, s[10:11]
	v_trunc_f32_e32 v26, v31
	s_mov_b32 s10, 0x2f800000
	v_mul_f32_e64 v27, |v26|, s10
	v_floor_f32_e32 v27, v27
	s_mov_b32 s10, 0xcf800000
	v_cvt_u32_f32_e32 v31, v27
	v_fma_f32 v27, v27, s10, |v26|
	v_cvt_u32_f32_e32 v27, v27
	v_ashrrev_i32_e32 v42, 31, v26
	v_xor_b32_e32 v31, v31, v42
	v_xor_b32_e32 v26, v27, v42
	v_sub_co_u32_e32 v26, vcc, v26, v42
	v_subb_co_u32_e32 v27, vcc, v31, v42, vcc
	v_cmp_lt_i64_e32 vcc, -1, v[26:27]
	v_mov_b32_e32 v31, 0
	s_and_saveexec_b64 s[10:11], vcc
	s_cbranch_execz .LBB60_267
; %bb.256:
	v_cmp_lt_i64_e32 vcc, 0, v[26:27]
	v_mov_b32_e32 v31, 1.0
	s_and_saveexec_b64 s[14:15], vcc
	s_cbranch_execz .LBB60_266
; %bb.257:
	v_cvt_f32_f16_sdwa v28, v28 dst_sel:DWORD dst_unused:UNUSED_PAD src0_sel:WORD_1
	v_cmp_ne_u64_e32 vcc, 1, v[26:27]
	s_and_saveexec_b64 s[20:21], vcc
	s_xor_b64 s[20:21], exec, s[20:21]
	s_cbranch_execz .LBB60_263
; %bb.258:
	s_mov_b64 s[22:23], 0x81
	v_cmp_gt_u64_e32 vcc, s[22:23], v[26:27]
	v_mov_b32_e32 v31, 0x7fc00000
	s_and_saveexec_b64 s[22:23], vcc
	s_cbranch_execz .LBB60_262
; %bb.259:
	s_mov_b64 s[26:27], 1
	s_mov_b64 s[24:25], 0
	v_mov_b32_e32 v42, 1.0
	v_mov_b32_e32 v31, v28
.LBB60_260:                             ; =>This Inner Loop Header: Depth=1
	s_flbit_i32_b32 s28, s27
	s_min_u32 s30, s28, 32
	s_lshl_b64 s[28:29], s[26:27], s30
	s_min_u32 s28, s28, 1
	s_or_b32 s28, s29, s28
	v_cvt_f32_u32_e32 v43, s28
	s_sub_i32 s30, 32, s30
	s_add_u32 s26, s26, 1
	s_addc_u32 s27, s27, 0
	v_ldexp_f32 v43, v43, s30
	v_cmp_eq_u64_e32 vcc, s[26:27], v[26:27]
	v_mul_f32_e32 v43, v42, v43
	s_or_b64 s[24:25], vcc, s[24:25]
	v_mov_b32_e32 v42, v31
	v_fma_f32 v31, v31, v28, -v43
	s_andn2_b64 exec, exec, s[24:25]
	s_cbranch_execnz .LBB60_260
; %bb.261:
	s_or_b64 exec, exec, s[24:25]
.LBB60_262:
	s_or_b64 exec, exec, s[22:23]
                                        ; implicit-def: $vgpr28
.LBB60_263:
	s_andn2_saveexec_b64 s[20:21], s[20:21]
; %bb.264:
	v_mov_b32_e32 v31, v28
; %bb.265:
	s_or_b64 exec, exec, s[20:21]
.LBB60_266:
	s_or_b64 exec, exec, s[14:15]
.LBB60_267:
	s_or_b64 exec, exec, s[10:11]
	v_trunc_f32_e32 v26, v32
	s_mov_b32 s10, 0x2f800000
	v_mul_f32_e64 v27, |v26|, s10
	v_floor_f32_e32 v27, v27
	s_mov_b32 s10, 0xcf800000
	v_cvt_u32_f32_e32 v28, v27
	v_fma_f32 v27, v27, s10, |v26|
	v_cvt_u32_f32_e32 v27, v27
	v_ashrrev_i32_e32 v32, 31, v26
	v_xor_b32_e32 v28, v28, v32
	v_xor_b32_e32 v26, v27, v32
	v_sub_co_u32_e32 v26, vcc, v26, v32
	v_subb_co_u32_e32 v27, vcc, v28, v32, vcc
	v_cmp_lt_i64_e32 vcc, -1, v[26:27]
	v_mov_b32_e32 v32, 0
	s_and_saveexec_b64 s[10:11], vcc
	s_cbranch_execz .LBB60_279
; %bb.268:
	v_cmp_lt_i64_e32 vcc, 0, v[26:27]
	v_mov_b32_e32 v32, 1.0
	s_and_saveexec_b64 s[14:15], vcc
	s_cbranch_execz .LBB60_278
; %bb.269:
	v_cvt_f32_f16_e32 v28, v29
	v_cmp_ne_u64_e32 vcc, 1, v[26:27]
	s_and_saveexec_b64 s[20:21], vcc
	s_xor_b64 s[20:21], exec, s[20:21]
	s_cbranch_execz .LBB60_275
; %bb.270:
	s_mov_b64 s[22:23], 0x81
	v_cmp_gt_u64_e32 vcc, s[22:23], v[26:27]
	v_mov_b32_e32 v32, 0x7fc00000
	s_and_saveexec_b64 s[22:23], vcc
	s_cbranch_execz .LBB60_274
; %bb.271:
	s_mov_b64 s[26:27], 1
	s_mov_b64 s[24:25], 0
	v_mov_b32_e32 v42, 1.0
	v_mov_b32_e32 v32, v28
.LBB60_272:                             ; =>This Inner Loop Header: Depth=1
	s_flbit_i32_b32 s28, s27
	s_min_u32 s30, s28, 32
	s_lshl_b64 s[28:29], s[26:27], s30
	s_min_u32 s28, s28, 1
	s_or_b32 s28, s29, s28
	v_cvt_f32_u32_e32 v43, s28
	s_sub_i32 s30, 32, s30
	s_add_u32 s26, s26, 1
	s_addc_u32 s27, s27, 0
	v_ldexp_f32 v43, v43, s30
	v_cmp_eq_u64_e32 vcc, s[26:27], v[26:27]
	v_mul_f32_e32 v43, v42, v43
	s_or_b64 s[24:25], vcc, s[24:25]
	v_mov_b32_e32 v42, v32
	v_fma_f32 v32, v32, v28, -v43
	s_andn2_b64 exec, exec, s[24:25]
	s_cbranch_execnz .LBB60_272
; %bb.273:
	s_or_b64 exec, exec, s[24:25]
.LBB60_274:
	s_or_b64 exec, exec, s[22:23]
                                        ; implicit-def: $vgpr28
.LBB60_275:
	s_andn2_saveexec_b64 s[20:21], s[20:21]
; %bb.276:
	v_mov_b32_e32 v32, v28
; %bb.277:
	s_or_b64 exec, exec, s[20:21]
.LBB60_278:
	s_or_b64 exec, exec, s[14:15]
.LBB60_279:
	s_or_b64 exec, exec, s[10:11]
	v_trunc_f32_e32 v26, v33
	s_mov_b32 s10, 0x2f800000
	v_mul_f32_e64 v27, |v26|, s10
	v_floor_f32_e32 v27, v27
	s_mov_b32 s10, 0xcf800000
	v_cvt_u32_f32_e32 v28, v27
	v_fma_f32 v27, v27, s10, |v26|
	v_cvt_u32_f32_e32 v27, v27
	v_ashrrev_i32_e32 v33, 31, v26
	v_xor_b32_e32 v28, v28, v33
	v_xor_b32_e32 v26, v27, v33
	v_sub_co_u32_e32 v26, vcc, v26, v33
	v_subb_co_u32_e32 v27, vcc, v28, v33, vcc
	v_cmp_lt_i64_e32 vcc, -1, v[26:27]
	v_mov_b32_e32 v33, 0
	s_and_saveexec_b64 s[10:11], vcc
	s_cbranch_execz .LBB60_291
; %bb.280:
	v_cmp_lt_i64_e32 vcc, 0, v[26:27]
	v_mov_b32_e32 v33, 1.0
	s_and_saveexec_b64 s[14:15], vcc
	s_cbranch_execz .LBB60_290
; %bb.281:
	v_cvt_f32_f16_sdwa v28, v29 dst_sel:DWORD dst_unused:UNUSED_PAD src0_sel:WORD_1
	v_cmp_ne_u64_e32 vcc, 1, v[26:27]
	s_and_saveexec_b64 s[20:21], vcc
	s_xor_b64 s[20:21], exec, s[20:21]
	s_cbranch_execz .LBB60_287
; %bb.282:
	s_mov_b64 s[22:23], 0x81
	v_cmp_gt_u64_e32 vcc, s[22:23], v[26:27]
	v_mov_b32_e32 v33, 0x7fc00000
	s_and_saveexec_b64 s[22:23], vcc
	s_cbranch_execz .LBB60_286
; %bb.283:
	s_mov_b64 s[26:27], 1
	s_mov_b64 s[24:25], 0
	v_mov_b32_e32 v29, 1.0
	v_mov_b32_e32 v33, v28
.LBB60_284:                             ; =>This Inner Loop Header: Depth=1
	s_flbit_i32_b32 s28, s27
	s_min_u32 s30, s28, 32
	s_lshl_b64 s[28:29], s[26:27], s30
	s_min_u32 s28, s28, 1
	s_or_b32 s28, s29, s28
	v_cvt_f32_u32_e32 v42, s28
	s_sub_i32 s30, 32, s30
	s_add_u32 s26, s26, 1
	s_addc_u32 s27, s27, 0
	v_ldexp_f32 v42, v42, s30
	v_cmp_eq_u64_e32 vcc, s[26:27], v[26:27]
	v_mul_f32_e32 v42, v29, v42
	s_or_b64 s[24:25], vcc, s[24:25]
	v_mov_b32_e32 v29, v33
	v_fma_f32 v33, v33, v28, -v42
	s_andn2_b64 exec, exec, s[24:25]
	s_cbranch_execnz .LBB60_284
; %bb.285:
	s_or_b64 exec, exec, s[24:25]
.LBB60_286:
	s_or_b64 exec, exec, s[22:23]
                                        ; implicit-def: $vgpr28
.LBB60_287:
	s_andn2_saveexec_b64 s[20:21], s[20:21]
; %bb.288:
	v_mov_b32_e32 v33, v28
; %bb.289:
	s_or_b64 exec, exec, s[20:21]
.LBB60_290:
	s_or_b64 exec, exec, s[14:15]
.LBB60_291:
	s_or_b64 exec, exec, s[10:11]
	s_waitcnt vmcnt(1)
	v_trunc_f32_e32 v18, v18
	s_mov_b32 s10, 0x2f800000
	v_mul_f32_e64 v26, |v18|, s10
	v_floor_f32_e32 v26, v26
	s_mov_b32 s10, 0xcf800000
	v_cvt_u32_f32_e32 v27, v26
	v_fma_f32 v26, v26, s10, |v18|
	v_cvt_u32_f32_e32 v26, v26
	v_ashrrev_i32_e32 v18, 31, v18
	v_xor_b32_e32 v27, v27, v18
	v_xor_b32_e32 v26, v26, v18
	v_sub_co_u32_e32 v26, vcc, v26, v18
	v_subb_co_u32_e32 v27, vcc, v27, v18, vcc
	v_cmp_lt_i64_e32 vcc, -1, v[26:27]
	v_mov_b32_e32 v18, 0
	s_and_saveexec_b64 s[10:11], vcc
	s_cbranch_execz .LBB60_303
; %bb.292:
	v_cmp_lt_i64_e32 vcc, 0, v[26:27]
	v_mov_b32_e32 v18, 1.0
	s_and_saveexec_b64 s[14:15], vcc
	s_cbranch_execz .LBB60_302
; %bb.293:
	v_cvt_f32_f16_e32 v28, v6
	v_cmp_ne_u64_e32 vcc, 1, v[26:27]
                                        ; implicit-def: $vgpr18
	s_and_saveexec_b64 s[20:21], vcc
	s_xor_b64 s[20:21], exec, s[20:21]
	s_cbranch_execz .LBB60_299
; %bb.294:
	s_mov_b64 s[22:23], 0x81
	v_cmp_gt_u64_e32 vcc, s[22:23], v[26:27]
	v_mov_b32_e32 v18, 0x7fc00000
	s_and_saveexec_b64 s[22:23], vcc
	s_cbranch_execz .LBB60_298
; %bb.295:
	s_mov_b64 s[26:27], 1
	s_mov_b64 s[24:25], 0
	v_mov_b32_e32 v29, 1.0
	v_mov_b32_e32 v18, v28
.LBB60_296:                             ; =>This Inner Loop Header: Depth=1
	s_flbit_i32_b32 s28, s27
	s_min_u32 s30, s28, 32
	s_lshl_b64 s[28:29], s[26:27], s30
	s_min_u32 s28, s28, 1
	s_or_b32 s28, s29, s28
	v_cvt_f32_u32_e32 v42, s28
	s_sub_i32 s30, 32, s30
	s_add_u32 s26, s26, 1
	s_addc_u32 s27, s27, 0
	v_ldexp_f32 v42, v42, s30
	v_cmp_eq_u64_e32 vcc, s[26:27], v[26:27]
	v_mul_f32_e32 v42, v29, v42
	s_or_b64 s[24:25], vcc, s[24:25]
	v_mov_b32_e32 v29, v18
	v_fma_f32 v18, v18, v28, -v42
	s_andn2_b64 exec, exec, s[24:25]
	s_cbranch_execnz .LBB60_296
; %bb.297:
	s_or_b64 exec, exec, s[24:25]
.LBB60_298:
	s_or_b64 exec, exec, s[22:23]
                                        ; implicit-def: $vgpr28
.LBB60_299:
	s_andn2_saveexec_b64 s[20:21], s[20:21]
; %bb.300:
	v_mov_b32_e32 v18, v28
; %bb.301:
	s_or_b64 exec, exec, s[20:21]
.LBB60_302:
	s_or_b64 exec, exec, s[14:15]
.LBB60_303:
	s_or_b64 exec, exec, s[10:11]
	v_trunc_f32_e32 v19, v19
	s_mov_b32 s10, 0x2f800000
	v_mul_f32_e64 v26, |v19|, s10
	v_floor_f32_e32 v26, v26
	s_mov_b32 s10, 0xcf800000
	v_cvt_u32_f32_e32 v27, v26
	v_fma_f32 v26, v26, s10, |v19|
	v_cvt_u32_f32_e32 v26, v26
	v_ashrrev_i32_e32 v19, 31, v19
	v_xor_b32_e32 v27, v27, v19
	v_xor_b32_e32 v26, v26, v19
	v_sub_co_u32_e32 v26, vcc, v26, v19
	v_subb_co_u32_e32 v27, vcc, v27, v19, vcc
	v_cmp_lt_i64_e32 vcc, -1, v[26:27]
	v_mov_b32_e32 v19, 0
	s_and_saveexec_b64 s[10:11], vcc
	s_cbranch_execz .LBB60_315
; %bb.304:
	v_cmp_lt_i64_e32 vcc, 0, v[26:27]
	v_mov_b32_e32 v19, 1.0
	s_and_saveexec_b64 s[14:15], vcc
	s_cbranch_execz .LBB60_314
; %bb.305:
	v_cvt_f32_f16_sdwa v6, v6 dst_sel:DWORD dst_unused:UNUSED_PAD src0_sel:WORD_1
	v_cmp_ne_u64_e32 vcc, 1, v[26:27]
	s_and_saveexec_b64 s[20:21], vcc
	s_xor_b64 s[20:21], exec, s[20:21]
	s_cbranch_execz .LBB60_311
; %bb.306:
	s_mov_b64 s[22:23], 0x81
	v_cmp_gt_u64_e32 vcc, s[22:23], v[26:27]
	v_mov_b32_e32 v19, 0x7fc00000
	s_and_saveexec_b64 s[22:23], vcc
	s_cbranch_execz .LBB60_310
; %bb.307:
	s_mov_b64 s[26:27], 1
	s_mov_b64 s[24:25], 0
	v_mov_b32_e32 v28, 1.0
	v_mov_b32_e32 v19, v6
.LBB60_308:                             ; =>This Inner Loop Header: Depth=1
	s_flbit_i32_b32 s28, s27
	s_min_u32 s30, s28, 32
	s_lshl_b64 s[28:29], s[26:27], s30
	s_min_u32 s28, s28, 1
	s_or_b32 s28, s29, s28
	v_cvt_f32_u32_e32 v29, s28
	s_sub_i32 s30, 32, s30
	s_add_u32 s26, s26, 1
	s_addc_u32 s27, s27, 0
	v_ldexp_f32 v29, v29, s30
	v_cmp_eq_u64_e32 vcc, s[26:27], v[26:27]
	v_mul_f32_e32 v29, v28, v29
	s_or_b64 s[24:25], vcc, s[24:25]
	v_mov_b32_e32 v28, v19
	v_fma_f32 v19, v19, v6, -v29
	s_andn2_b64 exec, exec, s[24:25]
	s_cbranch_execnz .LBB60_308
; %bb.309:
	s_or_b64 exec, exec, s[24:25]
.LBB60_310:
	s_or_b64 exec, exec, s[22:23]
                                        ; implicit-def: $vgpr6
.LBB60_311:
	s_andn2_saveexec_b64 s[20:21], s[20:21]
; %bb.312:
	v_mov_b32_e32 v19, v6
; %bb.313:
	s_or_b64 exec, exec, s[20:21]
.LBB60_314:
	s_or_b64 exec, exec, s[14:15]
.LBB60_315:
	s_or_b64 exec, exec, s[10:11]
	v_trunc_f32_e32 v6, v20
	s_mov_b32 s10, 0x2f800000
	v_mul_f32_e64 v20, |v6|, s10
	v_floor_f32_e32 v20, v20
	s_mov_b32 s10, 0xcf800000
	v_cvt_u32_f32_e32 v26, v20
	v_fma_f32 v20, v20, s10, |v6|
	v_cvt_u32_f32_e32 v20, v20
	v_ashrrev_i32_e32 v6, 31, v6
	v_xor_b32_e32 v27, v26, v6
	v_xor_b32_e32 v20, v20, v6
	v_sub_co_u32_e32 v26, vcc, v20, v6
	v_subb_co_u32_e32 v27, vcc, v27, v6, vcc
	v_cmp_lt_i64_e32 vcc, -1, v[26:27]
	v_mov_b32_e32 v20, 0
	s_and_saveexec_b64 s[10:11], vcc
	s_cbranch_execz .LBB60_327
; %bb.316:
	v_cmp_lt_i64_e32 vcc, 0, v[26:27]
	v_mov_b32_e32 v20, 1.0
	s_and_saveexec_b64 s[14:15], vcc
	s_cbranch_execz .LBB60_326
; %bb.317:
	v_cvt_f32_f16_e32 v6, v7
	v_cmp_ne_u64_e32 vcc, 1, v[26:27]
	s_and_saveexec_b64 s[20:21], vcc
	s_xor_b64 s[20:21], exec, s[20:21]
	s_cbranch_execz .LBB60_323
; %bb.318:
	s_mov_b64 s[22:23], 0x81
	v_cmp_gt_u64_e32 vcc, s[22:23], v[26:27]
	v_mov_b32_e32 v20, 0x7fc00000
	s_and_saveexec_b64 s[22:23], vcc
	s_cbranch_execz .LBB60_322
; %bb.319:
	s_mov_b64 s[26:27], 1
	s_mov_b64 s[24:25], 0
	v_mov_b32_e32 v28, 1.0
	v_mov_b32_e32 v20, v6
.LBB60_320:                             ; =>This Inner Loop Header: Depth=1
	s_flbit_i32_b32 s28, s27
	s_min_u32 s30, s28, 32
	s_lshl_b64 s[28:29], s[26:27], s30
	s_min_u32 s28, s28, 1
	s_or_b32 s28, s29, s28
	v_cvt_f32_u32_e32 v29, s28
	s_sub_i32 s30, 32, s30
	s_add_u32 s26, s26, 1
	s_addc_u32 s27, s27, 0
	v_ldexp_f32 v29, v29, s30
	v_cmp_eq_u64_e32 vcc, s[26:27], v[26:27]
	v_mul_f32_e32 v29, v28, v29
	s_or_b64 s[24:25], vcc, s[24:25]
	v_mov_b32_e32 v28, v20
	v_fma_f32 v20, v20, v6, -v29
	s_andn2_b64 exec, exec, s[24:25]
	s_cbranch_execnz .LBB60_320
; %bb.321:
	s_or_b64 exec, exec, s[24:25]
.LBB60_322:
	s_or_b64 exec, exec, s[22:23]
                                        ; implicit-def: $vgpr6
.LBB60_323:
	s_andn2_saveexec_b64 s[20:21], s[20:21]
; %bb.324:
	v_mov_b32_e32 v20, v6
; %bb.325:
	s_or_b64 exec, exec, s[20:21]
.LBB60_326:
	s_or_b64 exec, exec, s[14:15]
.LBB60_327:
	s_or_b64 exec, exec, s[10:11]
	v_trunc_f32_e32 v6, v21
	s_mov_b32 s10, 0x2f800000
	v_mul_f32_e64 v21, |v6|, s10
	v_floor_f32_e32 v21, v21
	s_mov_b32 s10, 0xcf800000
	v_cvt_u32_f32_e32 v26, v21
	v_fma_f32 v21, v21, s10, |v6|
	v_cvt_u32_f32_e32 v21, v21
	v_ashrrev_i32_e32 v6, 31, v6
	v_xor_b32_e32 v27, v26, v6
	v_xor_b32_e32 v21, v21, v6
	v_sub_co_u32_e32 v26, vcc, v21, v6
	v_subb_co_u32_e32 v27, vcc, v27, v6, vcc
	v_cmp_lt_i64_e32 vcc, -1, v[26:27]
	v_mov_b32_e32 v21, 0
	s_and_saveexec_b64 s[10:11], vcc
	s_cbranch_execz .LBB60_339
; %bb.328:
	v_cmp_lt_i64_e32 vcc, 0, v[26:27]
	v_mov_b32_e32 v21, 1.0
	s_and_saveexec_b64 s[14:15], vcc
	s_cbranch_execz .LBB60_338
; %bb.329:
	v_cvt_f32_f16_sdwa v6, v7 dst_sel:DWORD dst_unused:UNUSED_PAD src0_sel:WORD_1
	v_cmp_ne_u64_e32 vcc, 1, v[26:27]
	s_and_saveexec_b64 s[20:21], vcc
	s_xor_b64 s[20:21], exec, s[20:21]
	s_cbranch_execz .LBB60_335
; %bb.330:
	s_mov_b64 s[22:23], 0x81
	v_cmp_gt_u64_e32 vcc, s[22:23], v[26:27]
	v_mov_b32_e32 v21, 0x7fc00000
	s_and_saveexec_b64 s[22:23], vcc
	s_cbranch_execz .LBB60_334
; %bb.331:
	s_mov_b64 s[26:27], 1
	s_mov_b64 s[24:25], 0
	v_mov_b32_e32 v7, 1.0
	v_mov_b32_e32 v21, v6
.LBB60_332:                             ; =>This Inner Loop Header: Depth=1
	s_flbit_i32_b32 s28, s27
	s_min_u32 s30, s28, 32
	s_lshl_b64 s[28:29], s[26:27], s30
	s_min_u32 s28, s28, 1
	s_or_b32 s28, s29, s28
	v_cvt_f32_u32_e32 v28, s28
	s_sub_i32 s30, 32, s30
	s_add_u32 s26, s26, 1
	s_addc_u32 s27, s27, 0
	v_ldexp_f32 v28, v28, s30
	v_cmp_eq_u64_e32 vcc, s[26:27], v[26:27]
	v_mul_f32_e32 v28, v7, v28
	s_or_b64 s[24:25], vcc, s[24:25]
	v_mov_b32_e32 v7, v21
	v_fma_f32 v21, v21, v6, -v28
	s_andn2_b64 exec, exec, s[24:25]
	s_cbranch_execnz .LBB60_332
; %bb.333:
	s_or_b64 exec, exec, s[24:25]
.LBB60_334:
	s_or_b64 exec, exec, s[22:23]
                                        ; implicit-def: $vgpr6
.LBB60_335:
	s_andn2_saveexec_b64 s[20:21], s[20:21]
; %bb.336:
	v_mov_b32_e32 v21, v6
; %bb.337:
	s_or_b64 exec, exec, s[20:21]
.LBB60_338:
	s_or_b64 exec, exec, s[14:15]
.LBB60_339:
	s_or_b64 exec, exec, s[10:11]
	s_waitcnt vmcnt(0)
	v_trunc_f32_e32 v6, v10
	s_mov_b32 s10, 0x2f800000
	v_mul_f32_e64 v7, |v6|, s10
	v_floor_f32_e32 v7, v7
	s_mov_b32 s10, 0xcf800000
	v_cvt_u32_f32_e32 v10, v7
	v_fma_f32 v7, v7, s10, |v6|
	v_cvt_u32_f32_e32 v7, v7
	v_ashrrev_i32_e32 v26, 31, v6
	v_xor_b32_e32 v10, v10, v26
	v_xor_b32_e32 v6, v7, v26
	v_sub_co_u32_e32 v6, vcc, v6, v26
	v_subb_co_u32_e32 v7, vcc, v10, v26, vcc
	v_cmp_lt_i64_e32 vcc, -1, v[6:7]
	v_mov_b32_e32 v10, 0
	s_and_saveexec_b64 s[10:11], vcc
	s_cbranch_execz .LBB60_351
; %bb.340:
	v_cmp_lt_i64_e32 vcc, 0, v[6:7]
	v_mov_b32_e32 v10, 1.0
	s_and_saveexec_b64 s[14:15], vcc
	s_cbranch_execz .LBB60_350
; %bb.341:
	v_cvt_f32_f16_e32 v26, v8
	v_cmp_ne_u64_e32 vcc, 1, v[6:7]
                                        ; implicit-def: $vgpr10
	s_and_saveexec_b64 s[20:21], vcc
	s_xor_b64 s[20:21], exec, s[20:21]
	s_cbranch_execz .LBB60_347
; %bb.342:
	s_mov_b64 s[22:23], 0x81
	v_cmp_gt_u64_e32 vcc, s[22:23], v[6:7]
	v_mov_b32_e32 v10, 0x7fc00000
	s_and_saveexec_b64 s[22:23], vcc
	s_cbranch_execz .LBB60_346
; %bb.343:
	s_mov_b64 s[26:27], 1
	s_mov_b64 s[24:25], 0
	v_mov_b32_e32 v27, 1.0
	v_mov_b32_e32 v10, v26
.LBB60_344:                             ; =>This Inner Loop Header: Depth=1
	s_flbit_i32_b32 s28, s27
	s_min_u32 s30, s28, 32
	s_lshl_b64 s[28:29], s[26:27], s30
	s_min_u32 s28, s28, 1
	s_or_b32 s28, s29, s28
	v_cvt_f32_u32_e32 v28, s28
	s_sub_i32 s30, 32, s30
	s_add_u32 s26, s26, 1
	s_addc_u32 s27, s27, 0
	v_ldexp_f32 v28, v28, s30
	v_cmp_eq_u64_e32 vcc, s[26:27], v[6:7]
	v_mul_f32_e32 v28, v27, v28
	s_or_b64 s[24:25], vcc, s[24:25]
	v_mov_b32_e32 v27, v10
	v_fma_f32 v10, v10, v26, -v28
	s_andn2_b64 exec, exec, s[24:25]
	s_cbranch_execnz .LBB60_344
; %bb.345:
	s_or_b64 exec, exec, s[24:25]
.LBB60_346:
	s_or_b64 exec, exec, s[22:23]
                                        ; implicit-def: $vgpr26
.LBB60_347:
	s_andn2_saveexec_b64 s[20:21], s[20:21]
; %bb.348:
	v_mov_b32_e32 v10, v26
; %bb.349:
	s_or_b64 exec, exec, s[20:21]
.LBB60_350:
	s_or_b64 exec, exec, s[14:15]
.LBB60_351:
	s_or_b64 exec, exec, s[10:11]
	v_trunc_f32_e32 v6, v11
	s_mov_b32 s10, 0x2f800000
	v_mul_f32_e64 v7, |v6|, s10
	v_floor_f32_e32 v7, v7
	s_mov_b32 s10, 0xcf800000
	v_cvt_u32_f32_e32 v11, v7
	v_fma_f32 v7, v7, s10, |v6|
	v_cvt_u32_f32_e32 v7, v7
	v_ashrrev_i32_e32 v26, 31, v6
	v_xor_b32_e32 v11, v11, v26
	v_xor_b32_e32 v6, v7, v26
	v_sub_co_u32_e32 v6, vcc, v6, v26
	v_subb_co_u32_e32 v7, vcc, v11, v26, vcc
	v_cmp_lt_i64_e32 vcc, -1, v[6:7]
	v_mov_b32_e32 v11, 0
	s_and_saveexec_b64 s[10:11], vcc
	s_cbranch_execz .LBB60_363
; %bb.352:
	v_cmp_lt_i64_e32 vcc, 0, v[6:7]
	v_mov_b32_e32 v11, 1.0
	s_and_saveexec_b64 s[14:15], vcc
	s_cbranch_execz .LBB60_362
; %bb.353:
	v_cvt_f32_f16_sdwa v8, v8 dst_sel:DWORD dst_unused:UNUSED_PAD src0_sel:WORD_1
	v_cmp_ne_u64_e32 vcc, 1, v[6:7]
	s_and_saveexec_b64 s[20:21], vcc
	s_xor_b64 s[20:21], exec, s[20:21]
	s_cbranch_execz .LBB60_359
; %bb.354:
	s_mov_b64 s[22:23], 0x81
	v_cmp_gt_u64_e32 vcc, s[22:23], v[6:7]
	v_mov_b32_e32 v11, 0x7fc00000
	s_and_saveexec_b64 s[22:23], vcc
	s_cbranch_execz .LBB60_358
; %bb.355:
	s_mov_b64 s[26:27], 1
	s_mov_b64 s[24:25], 0
	v_mov_b32_e32 v26, 1.0
	v_mov_b32_e32 v11, v8
.LBB60_356:                             ; =>This Inner Loop Header: Depth=1
	s_flbit_i32_b32 s28, s27
	s_min_u32 s30, s28, 32
	s_lshl_b64 s[28:29], s[26:27], s30
	s_min_u32 s28, s28, 1
	s_or_b32 s28, s29, s28
	v_cvt_f32_u32_e32 v27, s28
	s_sub_i32 s30, 32, s30
	s_add_u32 s26, s26, 1
	s_addc_u32 s27, s27, 0
	v_ldexp_f32 v27, v27, s30
	v_cmp_eq_u64_e32 vcc, s[26:27], v[6:7]
	v_mul_f32_e32 v27, v26, v27
	s_or_b64 s[24:25], vcc, s[24:25]
	v_mov_b32_e32 v26, v11
	v_fma_f32 v11, v11, v8, -v27
	s_andn2_b64 exec, exec, s[24:25]
	s_cbranch_execnz .LBB60_356
; %bb.357:
	s_or_b64 exec, exec, s[24:25]
.LBB60_358:
	s_or_b64 exec, exec, s[22:23]
                                        ; implicit-def: $vgpr8
.LBB60_359:
	s_andn2_saveexec_b64 s[20:21], s[20:21]
; %bb.360:
	v_mov_b32_e32 v11, v8
; %bb.361:
	s_or_b64 exec, exec, s[20:21]
.LBB60_362:
	s_or_b64 exec, exec, s[14:15]
.LBB60_363:
	s_or_b64 exec, exec, s[10:11]
	v_trunc_f32_e32 v6, v12
	s_mov_b32 s10, 0x2f800000
	v_mul_f32_e64 v7, |v6|, s10
	v_floor_f32_e32 v7, v7
	s_mov_b32 s10, 0xcf800000
	v_cvt_u32_f32_e32 v8, v7
	v_fma_f32 v7, v7, s10, |v6|
	v_cvt_u32_f32_e32 v7, v7
	v_ashrrev_i32_e32 v12, 31, v6
	v_xor_b32_e32 v8, v8, v12
	v_xor_b32_e32 v6, v7, v12
	v_sub_co_u32_e32 v6, vcc, v6, v12
	v_subb_co_u32_e32 v7, vcc, v8, v12, vcc
	v_cmp_lt_i64_e32 vcc, -1, v[6:7]
	v_mov_b32_e32 v12, 0
	s_and_saveexec_b64 s[10:11], vcc
	s_cbranch_execz .LBB60_375
; %bb.364:
	v_cmp_lt_i64_e32 vcc, 0, v[6:7]
	v_mov_b32_e32 v12, 1.0
	s_and_saveexec_b64 s[14:15], vcc
	s_cbranch_execz .LBB60_374
; %bb.365:
	v_cvt_f32_f16_e32 v8, v9
	v_cmp_ne_u64_e32 vcc, 1, v[6:7]
	s_and_saveexec_b64 s[20:21], vcc
	s_xor_b64 s[20:21], exec, s[20:21]
	s_cbranch_execz .LBB60_371
; %bb.366:
	s_mov_b64 s[22:23], 0x81
	v_cmp_gt_u64_e32 vcc, s[22:23], v[6:7]
	v_mov_b32_e32 v12, 0x7fc00000
	s_and_saveexec_b64 s[22:23], vcc
	s_cbranch_execz .LBB60_370
; %bb.367:
	s_mov_b64 s[26:27], 1
	s_mov_b64 s[24:25], 0
	v_mov_b32_e32 v26, 1.0
	v_mov_b32_e32 v12, v8
.LBB60_368:                             ; =>This Inner Loop Header: Depth=1
	s_flbit_i32_b32 s28, s27
	s_min_u32 s30, s28, 32
	s_lshl_b64 s[28:29], s[26:27], s30
	s_min_u32 s28, s28, 1
	s_or_b32 s28, s29, s28
	v_cvt_f32_u32_e32 v27, s28
	s_sub_i32 s30, 32, s30
	s_add_u32 s26, s26, 1
	s_addc_u32 s27, s27, 0
	v_ldexp_f32 v27, v27, s30
	v_cmp_eq_u64_e32 vcc, s[26:27], v[6:7]
	v_mul_f32_e32 v27, v26, v27
	s_or_b64 s[24:25], vcc, s[24:25]
	v_mov_b32_e32 v26, v12
	v_fma_f32 v12, v12, v8, -v27
	s_andn2_b64 exec, exec, s[24:25]
	s_cbranch_execnz .LBB60_368
; %bb.369:
	s_or_b64 exec, exec, s[24:25]
.LBB60_370:
	s_or_b64 exec, exec, s[22:23]
                                        ; implicit-def: $vgpr8
.LBB60_371:
	s_andn2_saveexec_b64 s[20:21], s[20:21]
; %bb.372:
	v_mov_b32_e32 v12, v8
; %bb.373:
	s_or_b64 exec, exec, s[20:21]
.LBB60_374:
	s_or_b64 exec, exec, s[14:15]
.LBB60_375:
	s_or_b64 exec, exec, s[10:11]
	v_trunc_f32_e32 v6, v13
	s_mov_b32 s10, 0x2f800000
	v_mul_f32_e64 v7, |v6|, s10
	v_floor_f32_e32 v7, v7
	s_mov_b32 s10, 0xcf800000
	v_cvt_u32_f32_e32 v8, v7
	v_fma_f32 v7, v7, s10, |v6|
	v_cvt_u32_f32_e32 v7, v7
	v_ashrrev_i32_e32 v13, 31, v6
	v_xor_b32_e32 v8, v8, v13
	v_xor_b32_e32 v6, v7, v13
	v_sub_co_u32_e32 v6, vcc, v6, v13
	v_subb_co_u32_e32 v7, vcc, v8, v13, vcc
	v_cmp_lt_i64_e32 vcc, -1, v[6:7]
	v_mov_b32_e32 v13, 0
	s_and_saveexec_b64 s[10:11], vcc
	s_cbranch_execz .LBB60_387
; %bb.376:
	v_cmp_lt_i64_e32 vcc, 0, v[6:7]
	v_mov_b32_e32 v13, 1.0
	s_and_saveexec_b64 s[14:15], vcc
	s_cbranch_execz .LBB60_386
; %bb.377:
	v_cvt_f32_f16_sdwa v8, v9 dst_sel:DWORD dst_unused:UNUSED_PAD src0_sel:WORD_1
	v_cmp_ne_u64_e32 vcc, 1, v[6:7]
	s_and_saveexec_b64 s[20:21], vcc
	s_xor_b64 s[20:21], exec, s[20:21]
	s_cbranch_execz .LBB60_383
; %bb.378:
	s_mov_b64 s[22:23], 0x81
	v_cmp_gt_u64_e32 vcc, s[22:23], v[6:7]
	v_mov_b32_e32 v13, 0x7fc00000
	s_and_saveexec_b64 s[22:23], vcc
	s_cbranch_execz .LBB60_382
; %bb.379:
	s_mov_b64 s[26:27], 1
	s_mov_b64 s[24:25], 0
	v_mov_b32_e32 v9, 1.0
	v_mov_b32_e32 v13, v8
.LBB60_380:                             ; =>This Inner Loop Header: Depth=1
	s_flbit_i32_b32 s28, s27
	s_min_u32 s30, s28, 32
	s_lshl_b64 s[28:29], s[26:27], s30
	s_min_u32 s28, s28, 1
	s_or_b32 s28, s29, s28
	v_cvt_f32_u32_e32 v26, s28
	s_sub_i32 s30, 32, s30
	s_add_u32 s26, s26, 1
	s_addc_u32 s27, s27, 0
	v_ldexp_f32 v26, v26, s30
	v_cmp_eq_u64_e32 vcc, s[26:27], v[6:7]
	v_mul_f32_e32 v26, v9, v26
	s_or_b64 s[24:25], vcc, s[24:25]
	v_mov_b32_e32 v9, v13
	v_fma_f32 v13, v13, v8, -v26
	s_andn2_b64 exec, exec, s[24:25]
	s_cbranch_execnz .LBB60_380
; %bb.381:
	s_or_b64 exec, exec, s[24:25]
.LBB60_382:
	s_or_b64 exec, exec, s[22:23]
                                        ; implicit-def: $vgpr8
.LBB60_383:
	s_andn2_saveexec_b64 s[20:21], s[20:21]
; %bb.384:
	v_mov_b32_e32 v13, v8
; %bb.385:
	s_or_b64 exec, exec, s[20:21]
.LBB60_386:
	s_or_b64 exec, exec, s[14:15]
.LBB60_387:
	s_or_b64 exec, exec, s[10:11]
	s_add_u32 s8, s16, s8
	s_addc_u32 s9, s17, s9
	v_mov_b32_e32 v6, s9
	v_add_co_u32_e32 v7, vcc, s8, v52
	v_addc_co_u32_e32 v6, vcc, 0, v6, vcc
	global_store_dwordx4 v52, v[2:5], s[8:9]
	global_store_dwordx4 v52, v[14:17], s[8:9] offset:16
	v_add_co_u32_e32 v2, vcc, 0x4000, v7
	v_addc_co_u32_e32 v3, vcc, 0, v6, vcc
	global_store_dwordx4 v[2:3], v[22:25], off
	global_store_dwordx4 v[2:3], v[34:37], off offset:16
	global_store_dwordx4 v1, v[38:41], s[8:9]
	global_store_dwordx4 v1, v[30:33], s[8:9] offset:16
	v_add_co_u32_e32 v2, vcc, 0xc000, v7
	v_addc_co_u32_e32 v3, vcc, 0, v6, vcc
	global_store_dwordx4 v[2:3], v[18:21], off
	global_store_dwordx4 v[2:3], v[10:13], off offset:16
	s_branch .LBB60_2
.LBB60_388:
	s_load_dword s10, s[4:5], 0x24
	s_load_dwordx4 s[20:23], s[4:5], 0x28
	s_add_u32 s8, s4, 56
	s_addc_u32 s9, s5, 0
	v_mov_b32_e32 v31, v0
	s_waitcnt lgkmcnt(0)
	v_lshrrev_b16_e64 v8, 8, s10
	v_mov_b32_e32 v0, s16
	v_mov_b32_e32 v1, s17
	;; [unrolled: 1-line block ×12, first 2 shown]
	s_getpc_b64 s[4:5]
	s_add_u32 s4, s4, _ZN2at6native25elementwise_kernel_helperILb1ENS0_13BinaryFunctorIfffZZZNS0_12_GLOBAL__N_133hermite_polynomial_he_kernel_cudaERNS_18TensorIteratorBaseEENKUlvE_clEvENKUlvE0_clEvEUlffE_EENS0_6memory8policies11unroll_baseILi512ESt5arrayIPcLm3EE23TrivialOffsetCalculatorILi2EjESG_ILi1EjENSA_12LoadWithCastILi2EEENSA_13StoreWithCastILi1EEELi32ELi1EEEEEvT0_T1_@rel32@lo+4
	s_addc_u32 s5, s5, _ZN2at6native25elementwise_kernel_helperILb1ENS0_13BinaryFunctorIfffZZZNS0_12_GLOBAL__N_133hermite_polynomial_he_kernel_cudaERNS_18TensorIteratorBaseEENKUlvE_clEvENKUlvE0_clEvEUlffE_EENS0_6memory8policies11unroll_baseILi512ESt5arrayIPcLm3EE23TrivialOffsetCalculatorILi2EjESG_ILi1EjENSA_12LoadWithCastILi2EEENSA_13StoreWithCastILi1EEELi32ELi1EEEEEvT0_T1_@rel32@hi+12
	s_swappc_b64 s[30:31], s[4:5]
	s_endpgm
	.section	.rodata,"a",@progbits
	.p2align	6, 0x0
	.amdhsa_kernel _ZN2at6native39vectorized_templated_elementwise_kernelILi8ENS0_13BinaryFunctorIfffZZZNS0_12_GLOBAL__N_133hermite_polynomial_he_kernel_cudaERNS_18TensorIteratorBaseEENKUlvE_clEvENKUlvE0_clEvEUlffE_EESt5arrayIPcLm3EE23TrivialOffsetCalculatorILi2EjESD_ILi1EjENS0_6memory12LoadWithCastILi2EEENSG_13StoreWithCastILi1EEEfJN3c104HalfEfEEEviT0_T1_T2_T3_T4_T5_
		.amdhsa_group_segment_fixed_size 0
		.amdhsa_private_segment_fixed_size 288
		.amdhsa_kernarg_size 312
		.amdhsa_user_sgpr_count 8
		.amdhsa_user_sgpr_private_segment_buffer 1
		.amdhsa_user_sgpr_dispatch_ptr 0
		.amdhsa_user_sgpr_queue_ptr 0
		.amdhsa_user_sgpr_kernarg_segment_ptr 1
		.amdhsa_user_sgpr_dispatch_id 0
		.amdhsa_user_sgpr_flat_scratch_init 1
		.amdhsa_user_sgpr_kernarg_preload_length 0
		.amdhsa_user_sgpr_kernarg_preload_offset 0
		.amdhsa_user_sgpr_private_segment_size 0
		.amdhsa_uses_dynamic_stack 0
		.amdhsa_system_sgpr_private_segment_wavefront_offset 1
		.amdhsa_system_sgpr_workgroup_id_x 1
		.amdhsa_system_sgpr_workgroup_id_y 0
		.amdhsa_system_sgpr_workgroup_id_z 0
		.amdhsa_system_sgpr_workgroup_info 0
		.amdhsa_system_vgpr_workitem_id 0
		.amdhsa_next_free_vgpr 120
		.amdhsa_next_free_sgpr 98
		.amdhsa_accum_offset 120
		.amdhsa_reserve_vcc 1
		.amdhsa_reserve_flat_scratch 1
		.amdhsa_float_round_mode_32 0
		.amdhsa_float_round_mode_16_64 0
		.amdhsa_float_denorm_mode_32 3
		.amdhsa_float_denorm_mode_16_64 3
		.amdhsa_dx10_clamp 1
		.amdhsa_ieee_mode 1
		.amdhsa_fp16_overflow 0
		.amdhsa_tg_split 0
		.amdhsa_exception_fp_ieee_invalid_op 0
		.amdhsa_exception_fp_denorm_src 0
		.amdhsa_exception_fp_ieee_div_zero 0
		.amdhsa_exception_fp_ieee_overflow 0
		.amdhsa_exception_fp_ieee_underflow 0
		.amdhsa_exception_fp_ieee_inexact 0
		.amdhsa_exception_int_div_zero 0
	.end_amdhsa_kernel
	.section	.text._ZN2at6native39vectorized_templated_elementwise_kernelILi8ENS0_13BinaryFunctorIfffZZZNS0_12_GLOBAL__N_133hermite_polynomial_he_kernel_cudaERNS_18TensorIteratorBaseEENKUlvE_clEvENKUlvE0_clEvEUlffE_EESt5arrayIPcLm3EE23TrivialOffsetCalculatorILi2EjESD_ILi1EjENS0_6memory12LoadWithCastILi2EEENSG_13StoreWithCastILi1EEEfJN3c104HalfEfEEEviT0_T1_T2_T3_T4_T5_,"axG",@progbits,_ZN2at6native39vectorized_templated_elementwise_kernelILi8ENS0_13BinaryFunctorIfffZZZNS0_12_GLOBAL__N_133hermite_polynomial_he_kernel_cudaERNS_18TensorIteratorBaseEENKUlvE_clEvENKUlvE0_clEvEUlffE_EESt5arrayIPcLm3EE23TrivialOffsetCalculatorILi2EjESD_ILi1EjENS0_6memory12LoadWithCastILi2EEENSG_13StoreWithCastILi1EEEfJN3c104HalfEfEEEviT0_T1_T2_T3_T4_T5_,comdat
.Lfunc_end60:
	.size	_ZN2at6native39vectorized_templated_elementwise_kernelILi8ENS0_13BinaryFunctorIfffZZZNS0_12_GLOBAL__N_133hermite_polynomial_he_kernel_cudaERNS_18TensorIteratorBaseEENKUlvE_clEvENKUlvE0_clEvEUlffE_EESt5arrayIPcLm3EE23TrivialOffsetCalculatorILi2EjESD_ILi1EjENS0_6memory12LoadWithCastILi2EEENSG_13StoreWithCastILi1EEEfJN3c104HalfEfEEEviT0_T1_T2_T3_T4_T5_, .Lfunc_end60-_ZN2at6native39vectorized_templated_elementwise_kernelILi8ENS0_13BinaryFunctorIfffZZZNS0_12_GLOBAL__N_133hermite_polynomial_he_kernel_cudaERNS_18TensorIteratorBaseEENKUlvE_clEvENKUlvE0_clEvEUlffE_EESt5arrayIPcLm3EE23TrivialOffsetCalculatorILi2EjESD_ILi1EjENS0_6memory12LoadWithCastILi2EEENSG_13StoreWithCastILi1EEEfJN3c104HalfEfEEEviT0_T1_T2_T3_T4_T5_
                                        ; -- End function
	.section	.AMDGPU.csdata,"",@progbits
; Kernel info:
; codeLenInByte = 9216
; NumSgprs: 104
; NumVgprs: 120
; NumAgprs: 0
; TotalNumVgprs: 120
; ScratchSize: 288
; MemoryBound: 0
; FloatMode: 240
; IeeeMode: 1
; LDSByteSize: 0 bytes/workgroup (compile time only)
; SGPRBlocks: 12
; VGPRBlocks: 14
; NumSGPRsForWavesPerEU: 104
; NumVGPRsForWavesPerEU: 120
; AccumOffset: 120
; Occupancy: 4
; WaveLimiterHint : 0
; COMPUTE_PGM_RSRC2:SCRATCH_EN: 1
; COMPUTE_PGM_RSRC2:USER_SGPR: 8
; COMPUTE_PGM_RSRC2:TRAP_HANDLER: 0
; COMPUTE_PGM_RSRC2:TGID_X_EN: 1
; COMPUTE_PGM_RSRC2:TGID_Y_EN: 0
; COMPUTE_PGM_RSRC2:TGID_Z_EN: 0
; COMPUTE_PGM_RSRC2:TIDIG_COMP_CNT: 0
; COMPUTE_PGM_RSRC3_GFX90A:ACCUM_OFFSET: 29
; COMPUTE_PGM_RSRC3_GFX90A:TG_SPLIT: 0
	.section	.text._ZN2at6native39vectorized_templated_elementwise_kernelILi4ENS0_13BinaryFunctorIfffZZZNS0_12_GLOBAL__N_133hermite_polynomial_he_kernel_cudaERNS_18TensorIteratorBaseEENKUlvE_clEvENKUlvE0_clEvEUlffE_EESt5arrayIPcLm3EE23TrivialOffsetCalculatorILi2EjESD_ILi1EjENS0_6memory12LoadWithCastILi2EEENSG_13StoreWithCastILi1EEEfJN3c104HalfEfEEEviT0_T1_T2_T3_T4_T5_,"axG",@progbits,_ZN2at6native39vectorized_templated_elementwise_kernelILi4ENS0_13BinaryFunctorIfffZZZNS0_12_GLOBAL__N_133hermite_polynomial_he_kernel_cudaERNS_18TensorIteratorBaseEENKUlvE_clEvENKUlvE0_clEvEUlffE_EESt5arrayIPcLm3EE23TrivialOffsetCalculatorILi2EjESD_ILi1EjENS0_6memory12LoadWithCastILi2EEENSG_13StoreWithCastILi1EEEfJN3c104HalfEfEEEviT0_T1_T2_T3_T4_T5_,comdat
	.globl	_ZN2at6native39vectorized_templated_elementwise_kernelILi4ENS0_13BinaryFunctorIfffZZZNS0_12_GLOBAL__N_133hermite_polynomial_he_kernel_cudaERNS_18TensorIteratorBaseEENKUlvE_clEvENKUlvE0_clEvEUlffE_EESt5arrayIPcLm3EE23TrivialOffsetCalculatorILi2EjESD_ILi1EjENS0_6memory12LoadWithCastILi2EEENSG_13StoreWithCastILi1EEEfJN3c104HalfEfEEEviT0_T1_T2_T3_T4_T5_ ; -- Begin function _ZN2at6native39vectorized_templated_elementwise_kernelILi4ENS0_13BinaryFunctorIfffZZZNS0_12_GLOBAL__N_133hermite_polynomial_he_kernel_cudaERNS_18TensorIteratorBaseEENKUlvE_clEvENKUlvE0_clEvEUlffE_EESt5arrayIPcLm3EE23TrivialOffsetCalculatorILi2EjESD_ILi1EjENS0_6memory12LoadWithCastILi2EEENSG_13StoreWithCastILi1EEEfJN3c104HalfEfEEEviT0_T1_T2_T3_T4_T5_
	.p2align	8
	.type	_ZN2at6native39vectorized_templated_elementwise_kernelILi4ENS0_13BinaryFunctorIfffZZZNS0_12_GLOBAL__N_133hermite_polynomial_he_kernel_cudaERNS_18TensorIteratorBaseEENKUlvE_clEvENKUlvE0_clEvEUlffE_EESt5arrayIPcLm3EE23TrivialOffsetCalculatorILi2EjESD_ILi1EjENS0_6memory12LoadWithCastILi2EEENSG_13StoreWithCastILi1EEEfJN3c104HalfEfEEEviT0_T1_T2_T3_T4_T5_,@function
_ZN2at6native39vectorized_templated_elementwise_kernelILi4ENS0_13BinaryFunctorIfffZZZNS0_12_GLOBAL__N_133hermite_polynomial_he_kernel_cudaERNS_18TensorIteratorBaseEENKUlvE_clEvENKUlvE0_clEvEUlffE_EESt5arrayIPcLm3EE23TrivialOffsetCalculatorILi2EjESD_ILi1EjENS0_6memory12LoadWithCastILi2EEENSG_13StoreWithCastILi1EEEfJN3c104HalfEfEEEviT0_T1_T2_T3_T4_T5_: ; @_ZN2at6native39vectorized_templated_elementwise_kernelILi4ENS0_13BinaryFunctorIfffZZZNS0_12_GLOBAL__N_133hermite_polynomial_he_kernel_cudaERNS_18TensorIteratorBaseEENKUlvE_clEvENKUlvE0_clEvEUlffE_EESt5arrayIPcLm3EE23TrivialOffsetCalculatorILi2EjESD_ILi1EjENS0_6memory12LoadWithCastILi2EEENSG_13StoreWithCastILi1EEEfJN3c104HalfEfEEEviT0_T1_T2_T3_T4_T5_
; %bb.0:
	s_add_u32 flat_scratch_lo, s6, s9
	s_addc_u32 flat_scratch_hi, s7, 0
	s_add_u32 s0, s0, s9
	s_mov_b32 s12, s8
	s_load_dword s8, s[4:5], 0x38
	s_load_dwordx2 s[6:7], s[4:5], 0x18
	s_load_dword s9, s[4:5], 0x0
	s_load_dwordx4 s[16:19], s[4:5], 0x8
	s_addc_u32 s1, s1, 0
	s_not_b32 s10, s12
	s_waitcnt lgkmcnt(0)
	s_add_i32 s8, s8, s10
	s_lshl_b32 s8, s8, 14
	s_sub_i32 s13, s9, s8
	s_cmpk_gt_i32 s13, 0x3fff
	s_mov_b64 s[10:11], -1
	s_mov_b32 s32, 0
	s_cbranch_scc1 .LBB61_3
; %bb.1:
	s_and_b64 vcc, exec, s[10:11]
	s_cbranch_vccnz .LBB61_388
.LBB61_2:
	s_endpgm
.LBB61_3:
	s_ashr_i32 s9, s8, 31
	s_lshl_b64 s[10:11], s[8:9], 1
	s_add_u32 s10, s18, s10
	s_addc_u32 s11, s19, s11
	v_lshlrev_b32_e32 v1, 3, v0
	v_mov_b32_e32 v2, s11
	v_add_co_u32_e32 v6, vcc, s10, v1
	v_addc_co_u32_e32 v7, vcc, 0, v2, vcc
	v_add_co_u32_e32 v2, vcc, 0x1000, v6
	v_addc_co_u32_e32 v3, vcc, 0, v7, vcc
	v_add_co_u32_e32 v4, vcc, 0x3000, v6
	v_or_b32_e32 v8, 0x400, v0
	v_addc_co_u32_e32 v5, vcc, 0, v7, vcc
	v_lshlrev_b32_e32 v9, 3, v8
	global_load_dwordx2 v[48:49], v1, s[10:11]
	global_load_dwordx2 v[46:47], v[2:3], off
	global_load_dwordx2 v[44:45], v9, s[10:11]
	global_load_dwordx2 v[42:43], v[4:5], off
	v_add_co_u32_e32 v2, vcc, 0x5000, v6
	v_or_b32_e32 v1, 0x800, v0
	v_addc_co_u32_e32 v3, vcc, 0, v7, vcc
	v_lshlrev_b32_e32 v9, 3, v1
	v_or_b32_e32 v14, 0xc00, v0
	v_add_co_u32_e32 v4, vcc, 0x7000, v6
	s_lshl_b64 s[8:9], s[8:9], 2
	v_lshlrev_b32_e32 v10, 3, v14
	v_addc_co_u32_e32 v5, vcc, 0, v7, vcc
	global_load_dwordx2 v[40:41], v9, s[10:11]
	global_load_dwordx2 v[38:39], v[2:3], off
	global_load_dwordx2 v[36:37], v10, s[10:11]
	global_load_dwordx2 v[34:35], v[4:5], off
	s_add_u32 s10, s6, s8
	s_addc_u32 s11, s7, s9
	v_lshlrev_b32_e32 v54, 4, v0
	v_mov_b32_e32 v2, s11
	v_add_co_u32_e32 v9, vcc, s10, v54
	v_addc_co_u32_e32 v15, vcc, 0, v2, vcc
	v_add_co_u32_e32 v6, vcc, 0x2000, v9
	v_addc_co_u32_e32 v7, vcc, 0, v15, vcc
	global_load_dwordx4 v[2:5], v54, s[10:11]
	global_load_dwordx4 v[10:13], v[6:7], off
	v_add_co_u32_e32 v6, vcc, 0x6000, v9
	v_lshlrev_b32_e32 v53, 4, v8
	v_addc_co_u32_e32 v7, vcc, 0, v15, vcc
	global_load_dwordx4 v[18:21], v53, s[10:11]
	global_load_dwordx4 v[26:29], v[6:7], off
	v_add_co_u32_e32 v6, vcc, 0xa000, v9
	v_addc_co_u32_e32 v7, vcc, 0, v15, vcc
	v_lshlrev_b32_e32 v52, 4, v1
	v_lshlrev_b32_e32 v1, 4, v14
	v_add_co_u32_e32 v50, vcc, 0xe000, v9
	global_load_dwordx4 v[30:33], v52, s[10:11]
	global_load_dwordx4 v[22:25], v[6:7], off
	v_addc_co_u32_e32 v51, vcc, 0, v15, vcc
	global_load_dwordx4 v[14:17], v1, s[10:11]
	global_load_dwordx4 v[6:9], v[50:51], off
	s_mov_b32 s10, 0x2f800000
	s_mov_b32 s11, 0xcf800000
	s_waitcnt vmcnt(7)
	v_trunc_f32_e32 v2, v2
	v_mul_f32_e64 v50, |v2|, s10
	v_floor_f32_e32 v50, v50
	v_fma_f32 v51, v50, s11, |v2|
	v_cvt_u32_f32_e32 v50, v50
	v_cvt_u32_f32_e32 v51, v51
	v_ashrrev_i32_e32 v2, 31, v2
	v_xor_b32_e32 v55, v50, v2
	v_xor_b32_e32 v50, v51, v2
	v_sub_co_u32_e32 v50, vcc, v50, v2
	v_subb_co_u32_e32 v51, vcc, v55, v2, vcc
	v_cmp_lt_i64_e32 vcc, -1, v[50:51]
	v_mov_b32_e32 v2, 0
	s_and_saveexec_b64 s[10:11], vcc
	s_cbranch_execz .LBB61_15
; %bb.4:
	v_cmp_lt_i64_e32 vcc, 0, v[50:51]
	v_mov_b32_e32 v2, 1.0
	s_and_saveexec_b64 s[14:15], vcc
	s_cbranch_execz .LBB61_14
; %bb.5:
	v_cvt_f32_f16_e32 v55, v48
	v_cmp_ne_u64_e32 vcc, 1, v[50:51]
                                        ; implicit-def: $vgpr2
	s_and_saveexec_b64 s[20:21], vcc
	s_xor_b64 s[20:21], exec, s[20:21]
	s_cbranch_execz .LBB61_11
; %bb.6:
	s_mov_b64 s[22:23], 0x81
	v_cmp_gt_u64_e32 vcc, s[22:23], v[50:51]
	v_mov_b32_e32 v2, 0x7fc00000
	s_and_saveexec_b64 s[22:23], vcc
	s_cbranch_execz .LBB61_10
; %bb.7:
	s_mov_b64 s[26:27], 1
	s_mov_b64 s[24:25], 0
	v_mov_b32_e32 v56, 1.0
	v_mov_b32_e32 v2, v55
.LBB61_8:                               ; =>This Inner Loop Header: Depth=1
	s_flbit_i32_b32 s28, s27
	s_min_u32 s30, s28, 32
	s_lshl_b64 s[28:29], s[26:27], s30
	s_min_u32 s28, s28, 1
	s_or_b32 s28, s29, s28
	v_cvt_f32_u32_e32 v57, s28
	s_sub_i32 s30, 32, s30
	s_add_u32 s26, s26, 1
	s_addc_u32 s27, s27, 0
	v_ldexp_f32 v57, v57, s30
	v_cmp_eq_u64_e32 vcc, s[26:27], v[50:51]
	v_mul_f32_e32 v57, v56, v57
	s_or_b64 s[24:25], vcc, s[24:25]
	v_mov_b32_e32 v56, v2
	v_fma_f32 v2, v2, v55, -v57
	s_andn2_b64 exec, exec, s[24:25]
	s_cbranch_execnz .LBB61_8
; %bb.9:
	s_or_b64 exec, exec, s[24:25]
.LBB61_10:
	s_or_b64 exec, exec, s[22:23]
                                        ; implicit-def: $vgpr55
.LBB61_11:
	s_andn2_saveexec_b64 s[20:21], s[20:21]
; %bb.12:
	v_mov_b32_e32 v2, v55
; %bb.13:
	s_or_b64 exec, exec, s[20:21]
.LBB61_14:
	s_or_b64 exec, exec, s[14:15]
.LBB61_15:
	s_or_b64 exec, exec, s[10:11]
	v_trunc_f32_e32 v3, v3
	s_mov_b32 s10, 0x2f800000
	v_mul_f32_e64 v50, |v3|, s10
	v_floor_f32_e32 v50, v50
	s_mov_b32 s10, 0xcf800000
	v_cvt_u32_f32_e32 v51, v50
	v_fma_f32 v50, v50, s10, |v3|
	v_cvt_u32_f32_e32 v50, v50
	v_ashrrev_i32_e32 v3, 31, v3
	v_xor_b32_e32 v51, v51, v3
	v_xor_b32_e32 v50, v50, v3
	v_sub_co_u32_e32 v50, vcc, v50, v3
	v_subb_co_u32_e32 v51, vcc, v51, v3, vcc
	v_cmp_lt_i64_e32 vcc, -1, v[50:51]
	v_mov_b32_e32 v3, 0
	s_and_saveexec_b64 s[10:11], vcc
	s_cbranch_execz .LBB61_27
; %bb.16:
	v_cmp_lt_i64_e32 vcc, 0, v[50:51]
	v_mov_b32_e32 v3, 1.0
	s_and_saveexec_b64 s[14:15], vcc
	s_cbranch_execz .LBB61_26
; %bb.17:
	v_cvt_f32_f16_sdwa v48, v48 dst_sel:DWORD dst_unused:UNUSED_PAD src0_sel:WORD_1
	v_cmp_ne_u64_e32 vcc, 1, v[50:51]
	s_and_saveexec_b64 s[20:21], vcc
	s_xor_b64 s[20:21], exec, s[20:21]
	s_cbranch_execz .LBB61_23
; %bb.18:
	s_mov_b64 s[22:23], 0x81
	v_cmp_gt_u64_e32 vcc, s[22:23], v[50:51]
	v_mov_b32_e32 v3, 0x7fc00000
	s_and_saveexec_b64 s[22:23], vcc
	s_cbranch_execz .LBB61_22
; %bb.19:
	s_mov_b64 s[26:27], 1
	s_mov_b64 s[24:25], 0
	v_mov_b32_e32 v55, 1.0
	v_mov_b32_e32 v3, v48
.LBB61_20:                              ; =>This Inner Loop Header: Depth=1
	s_flbit_i32_b32 s28, s27
	s_min_u32 s30, s28, 32
	s_lshl_b64 s[28:29], s[26:27], s30
	s_min_u32 s28, s28, 1
	s_or_b32 s28, s29, s28
	v_cvt_f32_u32_e32 v56, s28
	s_sub_i32 s30, 32, s30
	s_add_u32 s26, s26, 1
	s_addc_u32 s27, s27, 0
	v_ldexp_f32 v56, v56, s30
	v_cmp_eq_u64_e32 vcc, s[26:27], v[50:51]
	v_mul_f32_e32 v56, v55, v56
	s_or_b64 s[24:25], vcc, s[24:25]
	v_mov_b32_e32 v55, v3
	v_fma_f32 v3, v3, v48, -v56
	s_andn2_b64 exec, exec, s[24:25]
	s_cbranch_execnz .LBB61_20
; %bb.21:
	s_or_b64 exec, exec, s[24:25]
.LBB61_22:
	s_or_b64 exec, exec, s[22:23]
                                        ; implicit-def: $vgpr48
.LBB61_23:
	s_andn2_saveexec_b64 s[20:21], s[20:21]
; %bb.24:
	v_mov_b32_e32 v3, v48
; %bb.25:
	s_or_b64 exec, exec, s[20:21]
.LBB61_26:
	s_or_b64 exec, exec, s[14:15]
.LBB61_27:
	s_or_b64 exec, exec, s[10:11]
	v_trunc_f32_e32 v4, v4
	s_mov_b32 s10, 0x2f800000
	v_mul_f32_e64 v48, |v4|, s10
	v_floor_f32_e32 v48, v48
	s_mov_b32 s10, 0xcf800000
	v_cvt_u32_f32_e32 v50, v48
	v_fma_f32 v48, v48, s10, |v4|
	v_cvt_u32_f32_e32 v48, v48
	v_ashrrev_i32_e32 v4, 31, v4
	v_xor_b32_e32 v51, v50, v4
	v_xor_b32_e32 v48, v48, v4
	v_sub_co_u32_e32 v50, vcc, v48, v4
	v_subb_co_u32_e32 v51, vcc, v51, v4, vcc
	v_cmp_lt_i64_e32 vcc, -1, v[50:51]
	v_mov_b32_e32 v4, 0
	s_and_saveexec_b64 s[10:11], vcc
	s_cbranch_execz .LBB61_39
; %bb.28:
	v_cmp_lt_i64_e32 vcc, 0, v[50:51]
	v_mov_b32_e32 v4, 1.0
	s_and_saveexec_b64 s[14:15], vcc
	s_cbranch_execz .LBB61_38
; %bb.29:
	v_cvt_f32_f16_e32 v48, v49
	v_cmp_ne_u64_e32 vcc, 1, v[50:51]
	s_and_saveexec_b64 s[20:21], vcc
	s_xor_b64 s[20:21], exec, s[20:21]
	s_cbranch_execz .LBB61_35
; %bb.30:
	s_mov_b64 s[22:23], 0x81
	v_cmp_gt_u64_e32 vcc, s[22:23], v[50:51]
	v_mov_b32_e32 v4, 0x7fc00000
	s_and_saveexec_b64 s[22:23], vcc
	s_cbranch_execz .LBB61_34
; %bb.31:
	s_mov_b64 s[26:27], 1
	s_mov_b64 s[24:25], 0
	v_mov_b32_e32 v55, 1.0
	v_mov_b32_e32 v4, v48
.LBB61_32:                              ; =>This Inner Loop Header: Depth=1
	s_flbit_i32_b32 s28, s27
	s_min_u32 s30, s28, 32
	s_lshl_b64 s[28:29], s[26:27], s30
	s_min_u32 s28, s28, 1
	s_or_b32 s28, s29, s28
	v_cvt_f32_u32_e32 v56, s28
	s_sub_i32 s30, 32, s30
	s_add_u32 s26, s26, 1
	s_addc_u32 s27, s27, 0
	v_ldexp_f32 v56, v56, s30
	v_cmp_eq_u64_e32 vcc, s[26:27], v[50:51]
	v_mul_f32_e32 v56, v55, v56
	s_or_b64 s[24:25], vcc, s[24:25]
	v_mov_b32_e32 v55, v4
	v_fma_f32 v4, v4, v48, -v56
	s_andn2_b64 exec, exec, s[24:25]
	s_cbranch_execnz .LBB61_32
; %bb.33:
	s_or_b64 exec, exec, s[24:25]
.LBB61_34:
	s_or_b64 exec, exec, s[22:23]
                                        ; implicit-def: $vgpr48
.LBB61_35:
	s_andn2_saveexec_b64 s[20:21], s[20:21]
; %bb.36:
	v_mov_b32_e32 v4, v48
; %bb.37:
	s_or_b64 exec, exec, s[20:21]
.LBB61_38:
	s_or_b64 exec, exec, s[14:15]
.LBB61_39:
	s_or_b64 exec, exec, s[10:11]
	v_trunc_f32_e32 v5, v5
	s_mov_b32 s10, 0x2f800000
	v_mul_f32_e64 v48, |v5|, s10
	v_floor_f32_e32 v48, v48
	s_mov_b32 s10, 0xcf800000
	v_cvt_u32_f32_e32 v50, v48
	v_fma_f32 v48, v48, s10, |v5|
	v_cvt_u32_f32_e32 v48, v48
	v_ashrrev_i32_e32 v5, 31, v5
	v_xor_b32_e32 v51, v50, v5
	v_xor_b32_e32 v48, v48, v5
	v_sub_co_u32_e32 v50, vcc, v48, v5
	v_subb_co_u32_e32 v51, vcc, v51, v5, vcc
	v_cmp_lt_i64_e32 vcc, -1, v[50:51]
	v_mov_b32_e32 v5, 0
	s_and_saveexec_b64 s[10:11], vcc
	s_cbranch_execz .LBB61_51
; %bb.40:
	v_cmp_lt_i64_e32 vcc, 0, v[50:51]
	v_mov_b32_e32 v5, 1.0
	s_and_saveexec_b64 s[14:15], vcc
	s_cbranch_execz .LBB61_50
; %bb.41:
	v_cvt_f32_f16_sdwa v48, v49 dst_sel:DWORD dst_unused:UNUSED_PAD src0_sel:WORD_1
	v_cmp_ne_u64_e32 vcc, 1, v[50:51]
	s_and_saveexec_b64 s[20:21], vcc
	s_xor_b64 s[20:21], exec, s[20:21]
	s_cbranch_execz .LBB61_47
; %bb.42:
	s_mov_b64 s[22:23], 0x81
	v_cmp_gt_u64_e32 vcc, s[22:23], v[50:51]
	v_mov_b32_e32 v5, 0x7fc00000
	s_and_saveexec_b64 s[22:23], vcc
	s_cbranch_execz .LBB61_46
; %bb.43:
	s_mov_b64 s[26:27], 1
	s_mov_b64 s[24:25], 0
	v_mov_b32_e32 v49, 1.0
	v_mov_b32_e32 v5, v48
.LBB61_44:                              ; =>This Inner Loop Header: Depth=1
	s_flbit_i32_b32 s28, s27
	s_min_u32 s30, s28, 32
	s_lshl_b64 s[28:29], s[26:27], s30
	s_min_u32 s28, s28, 1
	s_or_b32 s28, s29, s28
	v_cvt_f32_u32_e32 v55, s28
	s_sub_i32 s30, 32, s30
	s_add_u32 s26, s26, 1
	s_addc_u32 s27, s27, 0
	v_ldexp_f32 v55, v55, s30
	v_cmp_eq_u64_e32 vcc, s[26:27], v[50:51]
	v_mul_f32_e32 v55, v49, v55
	s_or_b64 s[24:25], vcc, s[24:25]
	v_mov_b32_e32 v49, v5
	v_fma_f32 v5, v5, v48, -v55
	s_andn2_b64 exec, exec, s[24:25]
	s_cbranch_execnz .LBB61_44
; %bb.45:
	s_or_b64 exec, exec, s[24:25]
.LBB61_46:
	s_or_b64 exec, exec, s[22:23]
                                        ; implicit-def: $vgpr48
.LBB61_47:
	s_andn2_saveexec_b64 s[20:21], s[20:21]
; %bb.48:
	v_mov_b32_e32 v5, v48
; %bb.49:
	s_or_b64 exec, exec, s[20:21]
.LBB61_50:
	s_or_b64 exec, exec, s[14:15]
.LBB61_51:
	s_or_b64 exec, exec, s[10:11]
	s_waitcnt vmcnt(6)
	v_trunc_f32_e32 v10, v10
	s_mov_b32 s10, 0x2f800000
	v_mul_f32_e64 v48, |v10|, s10
	v_floor_f32_e32 v48, v48
	s_mov_b32 s10, 0xcf800000
	v_cvt_u32_f32_e32 v49, v48
	v_fma_f32 v48, v48, s10, |v10|
	v_cvt_u32_f32_e32 v48, v48
	v_ashrrev_i32_e32 v10, 31, v10
	v_xor_b32_e32 v49, v49, v10
	v_xor_b32_e32 v48, v48, v10
	v_sub_co_u32_e32 v48, vcc, v48, v10
	v_subb_co_u32_e32 v49, vcc, v49, v10, vcc
	v_cmp_lt_i64_e32 vcc, -1, v[48:49]
	v_mov_b32_e32 v10, 0
	s_and_saveexec_b64 s[10:11], vcc
	s_cbranch_execz .LBB61_63
; %bb.52:
	v_cmp_lt_i64_e32 vcc, 0, v[48:49]
	v_mov_b32_e32 v10, 1.0
	s_and_saveexec_b64 s[14:15], vcc
	s_cbranch_execz .LBB61_62
; %bb.53:
	v_cvt_f32_f16_e32 v50, v46
	v_cmp_ne_u64_e32 vcc, 1, v[48:49]
                                        ; implicit-def: $vgpr10
	s_and_saveexec_b64 s[20:21], vcc
	s_xor_b64 s[20:21], exec, s[20:21]
	s_cbranch_execz .LBB61_59
; %bb.54:
	s_mov_b64 s[22:23], 0x81
	v_cmp_gt_u64_e32 vcc, s[22:23], v[48:49]
	v_mov_b32_e32 v10, 0x7fc00000
	s_and_saveexec_b64 s[22:23], vcc
	s_cbranch_execz .LBB61_58
; %bb.55:
	s_mov_b64 s[26:27], 1
	s_mov_b64 s[24:25], 0
	v_mov_b32_e32 v51, 1.0
	v_mov_b32_e32 v10, v50
.LBB61_56:                              ; =>This Inner Loop Header: Depth=1
	s_flbit_i32_b32 s28, s27
	s_min_u32 s30, s28, 32
	s_lshl_b64 s[28:29], s[26:27], s30
	s_min_u32 s28, s28, 1
	s_or_b32 s28, s29, s28
	v_cvt_f32_u32_e32 v55, s28
	s_sub_i32 s30, 32, s30
	s_add_u32 s26, s26, 1
	s_addc_u32 s27, s27, 0
	v_ldexp_f32 v55, v55, s30
	v_cmp_eq_u64_e32 vcc, s[26:27], v[48:49]
	v_mul_f32_e32 v55, v51, v55
	s_or_b64 s[24:25], vcc, s[24:25]
	v_mov_b32_e32 v51, v10
	v_fma_f32 v10, v10, v50, -v55
	s_andn2_b64 exec, exec, s[24:25]
	s_cbranch_execnz .LBB61_56
; %bb.57:
	s_or_b64 exec, exec, s[24:25]
.LBB61_58:
	s_or_b64 exec, exec, s[22:23]
                                        ; implicit-def: $vgpr50
.LBB61_59:
	s_andn2_saveexec_b64 s[20:21], s[20:21]
; %bb.60:
	v_mov_b32_e32 v10, v50
; %bb.61:
	s_or_b64 exec, exec, s[20:21]
.LBB61_62:
	s_or_b64 exec, exec, s[14:15]
.LBB61_63:
	s_or_b64 exec, exec, s[10:11]
	v_trunc_f32_e32 v11, v11
	s_mov_b32 s10, 0x2f800000
	v_mul_f32_e64 v48, |v11|, s10
	v_floor_f32_e32 v48, v48
	s_mov_b32 s10, 0xcf800000
	v_cvt_u32_f32_e32 v49, v48
	v_fma_f32 v48, v48, s10, |v11|
	v_cvt_u32_f32_e32 v48, v48
	v_ashrrev_i32_e32 v11, 31, v11
	v_xor_b32_e32 v49, v49, v11
	v_xor_b32_e32 v48, v48, v11
	v_sub_co_u32_e32 v48, vcc, v48, v11
	v_subb_co_u32_e32 v49, vcc, v49, v11, vcc
	v_cmp_lt_i64_e32 vcc, -1, v[48:49]
	v_mov_b32_e32 v11, 0
	s_and_saveexec_b64 s[10:11], vcc
	s_cbranch_execz .LBB61_75
; %bb.64:
	v_cmp_lt_i64_e32 vcc, 0, v[48:49]
	v_mov_b32_e32 v11, 1.0
	s_and_saveexec_b64 s[14:15], vcc
	s_cbranch_execz .LBB61_74
; %bb.65:
	v_cvt_f32_f16_sdwa v46, v46 dst_sel:DWORD dst_unused:UNUSED_PAD src0_sel:WORD_1
	v_cmp_ne_u64_e32 vcc, 1, v[48:49]
	s_and_saveexec_b64 s[20:21], vcc
	s_xor_b64 s[20:21], exec, s[20:21]
	s_cbranch_execz .LBB61_71
; %bb.66:
	s_mov_b64 s[22:23], 0x81
	v_cmp_gt_u64_e32 vcc, s[22:23], v[48:49]
	v_mov_b32_e32 v11, 0x7fc00000
	s_and_saveexec_b64 s[22:23], vcc
	s_cbranch_execz .LBB61_70
; %bb.67:
	s_mov_b64 s[26:27], 1
	s_mov_b64 s[24:25], 0
	v_mov_b32_e32 v50, 1.0
	v_mov_b32_e32 v11, v46
.LBB61_68:                              ; =>This Inner Loop Header: Depth=1
	s_flbit_i32_b32 s28, s27
	s_min_u32 s30, s28, 32
	s_lshl_b64 s[28:29], s[26:27], s30
	s_min_u32 s28, s28, 1
	s_or_b32 s28, s29, s28
	v_cvt_f32_u32_e32 v51, s28
	s_sub_i32 s30, 32, s30
	s_add_u32 s26, s26, 1
	s_addc_u32 s27, s27, 0
	v_ldexp_f32 v51, v51, s30
	v_cmp_eq_u64_e32 vcc, s[26:27], v[48:49]
	v_mul_f32_e32 v51, v50, v51
	s_or_b64 s[24:25], vcc, s[24:25]
	v_mov_b32_e32 v50, v11
	v_fma_f32 v11, v11, v46, -v51
	s_andn2_b64 exec, exec, s[24:25]
	s_cbranch_execnz .LBB61_68
; %bb.69:
	s_or_b64 exec, exec, s[24:25]
.LBB61_70:
	s_or_b64 exec, exec, s[22:23]
                                        ; implicit-def: $vgpr46
.LBB61_71:
	s_andn2_saveexec_b64 s[20:21], s[20:21]
; %bb.72:
	v_mov_b32_e32 v11, v46
; %bb.73:
	s_or_b64 exec, exec, s[20:21]
.LBB61_74:
	s_or_b64 exec, exec, s[14:15]
.LBB61_75:
	s_or_b64 exec, exec, s[10:11]
	v_trunc_f32_e32 v12, v12
	s_mov_b32 s10, 0x2f800000
	v_mul_f32_e64 v46, |v12|, s10
	v_floor_f32_e32 v46, v46
	s_mov_b32 s10, 0xcf800000
	v_cvt_u32_f32_e32 v48, v46
	v_fma_f32 v46, v46, s10, |v12|
	v_cvt_u32_f32_e32 v46, v46
	v_ashrrev_i32_e32 v12, 31, v12
	v_xor_b32_e32 v49, v48, v12
	v_xor_b32_e32 v46, v46, v12
	v_sub_co_u32_e32 v48, vcc, v46, v12
	v_subb_co_u32_e32 v49, vcc, v49, v12, vcc
	v_cmp_lt_i64_e32 vcc, -1, v[48:49]
	v_mov_b32_e32 v12, 0
	s_and_saveexec_b64 s[10:11], vcc
	s_cbranch_execz .LBB61_87
; %bb.76:
	v_cmp_lt_i64_e32 vcc, 0, v[48:49]
	v_mov_b32_e32 v12, 1.0
	s_and_saveexec_b64 s[14:15], vcc
	s_cbranch_execz .LBB61_86
; %bb.77:
	v_cvt_f32_f16_e32 v46, v47
	v_cmp_ne_u64_e32 vcc, 1, v[48:49]
	s_and_saveexec_b64 s[20:21], vcc
	s_xor_b64 s[20:21], exec, s[20:21]
	s_cbranch_execz .LBB61_83
; %bb.78:
	s_mov_b64 s[22:23], 0x81
	v_cmp_gt_u64_e32 vcc, s[22:23], v[48:49]
	v_mov_b32_e32 v12, 0x7fc00000
	s_and_saveexec_b64 s[22:23], vcc
	s_cbranch_execz .LBB61_82
; %bb.79:
	s_mov_b64 s[26:27], 1
	s_mov_b64 s[24:25], 0
	v_mov_b32_e32 v50, 1.0
	v_mov_b32_e32 v12, v46
.LBB61_80:                              ; =>This Inner Loop Header: Depth=1
	s_flbit_i32_b32 s28, s27
	s_min_u32 s30, s28, 32
	s_lshl_b64 s[28:29], s[26:27], s30
	s_min_u32 s28, s28, 1
	s_or_b32 s28, s29, s28
	v_cvt_f32_u32_e32 v51, s28
	s_sub_i32 s30, 32, s30
	s_add_u32 s26, s26, 1
	s_addc_u32 s27, s27, 0
	v_ldexp_f32 v51, v51, s30
	v_cmp_eq_u64_e32 vcc, s[26:27], v[48:49]
	v_mul_f32_e32 v51, v50, v51
	s_or_b64 s[24:25], vcc, s[24:25]
	v_mov_b32_e32 v50, v12
	v_fma_f32 v12, v12, v46, -v51
	s_andn2_b64 exec, exec, s[24:25]
	s_cbranch_execnz .LBB61_80
; %bb.81:
	s_or_b64 exec, exec, s[24:25]
.LBB61_82:
	s_or_b64 exec, exec, s[22:23]
                                        ; implicit-def: $vgpr46
.LBB61_83:
	s_andn2_saveexec_b64 s[20:21], s[20:21]
; %bb.84:
	v_mov_b32_e32 v12, v46
; %bb.85:
	s_or_b64 exec, exec, s[20:21]
.LBB61_86:
	s_or_b64 exec, exec, s[14:15]
.LBB61_87:
	s_or_b64 exec, exec, s[10:11]
	v_trunc_f32_e32 v13, v13
	s_mov_b32 s10, 0x2f800000
	v_mul_f32_e64 v46, |v13|, s10
	v_floor_f32_e32 v46, v46
	s_mov_b32 s10, 0xcf800000
	v_cvt_u32_f32_e32 v48, v46
	v_fma_f32 v46, v46, s10, |v13|
	v_cvt_u32_f32_e32 v46, v46
	v_ashrrev_i32_e32 v13, 31, v13
	v_xor_b32_e32 v49, v48, v13
	v_xor_b32_e32 v46, v46, v13
	v_sub_co_u32_e32 v48, vcc, v46, v13
	v_subb_co_u32_e32 v49, vcc, v49, v13, vcc
	v_cmp_lt_i64_e32 vcc, -1, v[48:49]
	v_mov_b32_e32 v13, 0
	s_and_saveexec_b64 s[10:11], vcc
	s_cbranch_execz .LBB61_99
; %bb.88:
	v_cmp_lt_i64_e32 vcc, 0, v[48:49]
	v_mov_b32_e32 v13, 1.0
	s_and_saveexec_b64 s[14:15], vcc
	s_cbranch_execz .LBB61_98
; %bb.89:
	v_cvt_f32_f16_sdwa v46, v47 dst_sel:DWORD dst_unused:UNUSED_PAD src0_sel:WORD_1
	v_cmp_ne_u64_e32 vcc, 1, v[48:49]
	s_and_saveexec_b64 s[20:21], vcc
	s_xor_b64 s[20:21], exec, s[20:21]
	s_cbranch_execz .LBB61_95
; %bb.90:
	s_mov_b64 s[22:23], 0x81
	v_cmp_gt_u64_e32 vcc, s[22:23], v[48:49]
	v_mov_b32_e32 v13, 0x7fc00000
	s_and_saveexec_b64 s[22:23], vcc
	s_cbranch_execz .LBB61_94
; %bb.91:
	s_mov_b64 s[26:27], 1
	s_mov_b64 s[24:25], 0
	v_mov_b32_e32 v47, 1.0
	v_mov_b32_e32 v13, v46
.LBB61_92:                              ; =>This Inner Loop Header: Depth=1
	s_flbit_i32_b32 s28, s27
	s_min_u32 s30, s28, 32
	s_lshl_b64 s[28:29], s[26:27], s30
	s_min_u32 s28, s28, 1
	s_or_b32 s28, s29, s28
	v_cvt_f32_u32_e32 v50, s28
	s_sub_i32 s30, 32, s30
	s_add_u32 s26, s26, 1
	s_addc_u32 s27, s27, 0
	v_ldexp_f32 v50, v50, s30
	v_cmp_eq_u64_e32 vcc, s[26:27], v[48:49]
	v_mul_f32_e32 v50, v47, v50
	s_or_b64 s[24:25], vcc, s[24:25]
	v_mov_b32_e32 v47, v13
	v_fma_f32 v13, v13, v46, -v50
	s_andn2_b64 exec, exec, s[24:25]
	s_cbranch_execnz .LBB61_92
; %bb.93:
	s_or_b64 exec, exec, s[24:25]
.LBB61_94:
	s_or_b64 exec, exec, s[22:23]
                                        ; implicit-def: $vgpr46
.LBB61_95:
	s_andn2_saveexec_b64 s[20:21], s[20:21]
; %bb.96:
	v_mov_b32_e32 v13, v46
; %bb.97:
	s_or_b64 exec, exec, s[20:21]
.LBB61_98:
	s_or_b64 exec, exec, s[14:15]
.LBB61_99:
	s_or_b64 exec, exec, s[10:11]
	s_waitcnt vmcnt(5)
	v_trunc_f32_e32 v18, v18
	s_mov_b32 s10, 0x2f800000
	v_mul_f32_e64 v46, |v18|, s10
	v_floor_f32_e32 v46, v46
	s_mov_b32 s10, 0xcf800000
	v_cvt_u32_f32_e32 v47, v46
	v_fma_f32 v46, v46, s10, |v18|
	v_cvt_u32_f32_e32 v46, v46
	v_ashrrev_i32_e32 v18, 31, v18
	v_xor_b32_e32 v47, v47, v18
	v_xor_b32_e32 v46, v46, v18
	v_sub_co_u32_e32 v46, vcc, v46, v18
	v_subb_co_u32_e32 v47, vcc, v47, v18, vcc
	v_cmp_lt_i64_e32 vcc, -1, v[46:47]
	v_mov_b32_e32 v18, 0
	s_and_saveexec_b64 s[10:11], vcc
	s_cbranch_execz .LBB61_111
; %bb.100:
	v_cmp_lt_i64_e32 vcc, 0, v[46:47]
	v_mov_b32_e32 v18, 1.0
	s_and_saveexec_b64 s[14:15], vcc
	s_cbranch_execz .LBB61_110
; %bb.101:
	v_cvt_f32_f16_e32 v48, v44
	v_cmp_ne_u64_e32 vcc, 1, v[46:47]
                                        ; implicit-def: $vgpr18
	s_and_saveexec_b64 s[20:21], vcc
	s_xor_b64 s[20:21], exec, s[20:21]
	s_cbranch_execz .LBB61_107
; %bb.102:
	s_mov_b64 s[22:23], 0x81
	v_cmp_gt_u64_e32 vcc, s[22:23], v[46:47]
	v_mov_b32_e32 v18, 0x7fc00000
	s_and_saveexec_b64 s[22:23], vcc
	s_cbranch_execz .LBB61_106
; %bb.103:
	s_mov_b64 s[26:27], 1
	s_mov_b64 s[24:25], 0
	v_mov_b32_e32 v49, 1.0
	v_mov_b32_e32 v18, v48
.LBB61_104:                             ; =>This Inner Loop Header: Depth=1
	s_flbit_i32_b32 s28, s27
	s_min_u32 s30, s28, 32
	s_lshl_b64 s[28:29], s[26:27], s30
	s_min_u32 s28, s28, 1
	s_or_b32 s28, s29, s28
	v_cvt_f32_u32_e32 v50, s28
	s_sub_i32 s30, 32, s30
	s_add_u32 s26, s26, 1
	s_addc_u32 s27, s27, 0
	v_ldexp_f32 v50, v50, s30
	v_cmp_eq_u64_e32 vcc, s[26:27], v[46:47]
	v_mul_f32_e32 v50, v49, v50
	s_or_b64 s[24:25], vcc, s[24:25]
	v_mov_b32_e32 v49, v18
	v_fma_f32 v18, v18, v48, -v50
	s_andn2_b64 exec, exec, s[24:25]
	s_cbranch_execnz .LBB61_104
; %bb.105:
	s_or_b64 exec, exec, s[24:25]
.LBB61_106:
	s_or_b64 exec, exec, s[22:23]
                                        ; implicit-def: $vgpr48
.LBB61_107:
	s_andn2_saveexec_b64 s[20:21], s[20:21]
; %bb.108:
	v_mov_b32_e32 v18, v48
; %bb.109:
	s_or_b64 exec, exec, s[20:21]
.LBB61_110:
	s_or_b64 exec, exec, s[14:15]
.LBB61_111:
	s_or_b64 exec, exec, s[10:11]
	v_trunc_f32_e32 v19, v19
	s_mov_b32 s10, 0x2f800000
	v_mul_f32_e64 v46, |v19|, s10
	v_floor_f32_e32 v46, v46
	s_mov_b32 s10, 0xcf800000
	v_cvt_u32_f32_e32 v47, v46
	v_fma_f32 v46, v46, s10, |v19|
	v_cvt_u32_f32_e32 v46, v46
	v_ashrrev_i32_e32 v19, 31, v19
	v_xor_b32_e32 v47, v47, v19
	v_xor_b32_e32 v46, v46, v19
	v_sub_co_u32_e32 v46, vcc, v46, v19
	v_subb_co_u32_e32 v47, vcc, v47, v19, vcc
	v_cmp_lt_i64_e32 vcc, -1, v[46:47]
	v_mov_b32_e32 v19, 0
	s_and_saveexec_b64 s[10:11], vcc
	s_cbranch_execz .LBB61_123
; %bb.112:
	v_cmp_lt_i64_e32 vcc, 0, v[46:47]
	v_mov_b32_e32 v19, 1.0
	s_and_saveexec_b64 s[14:15], vcc
	s_cbranch_execz .LBB61_122
; %bb.113:
	v_cvt_f32_f16_sdwa v44, v44 dst_sel:DWORD dst_unused:UNUSED_PAD src0_sel:WORD_1
	v_cmp_ne_u64_e32 vcc, 1, v[46:47]
	s_and_saveexec_b64 s[20:21], vcc
	s_xor_b64 s[20:21], exec, s[20:21]
	s_cbranch_execz .LBB61_119
; %bb.114:
	s_mov_b64 s[22:23], 0x81
	v_cmp_gt_u64_e32 vcc, s[22:23], v[46:47]
	v_mov_b32_e32 v19, 0x7fc00000
	s_and_saveexec_b64 s[22:23], vcc
	s_cbranch_execz .LBB61_118
; %bb.115:
	s_mov_b64 s[26:27], 1
	s_mov_b64 s[24:25], 0
	v_mov_b32_e32 v48, 1.0
	v_mov_b32_e32 v19, v44
.LBB61_116:                             ; =>This Inner Loop Header: Depth=1
	s_flbit_i32_b32 s28, s27
	s_min_u32 s30, s28, 32
	s_lshl_b64 s[28:29], s[26:27], s30
	s_min_u32 s28, s28, 1
	s_or_b32 s28, s29, s28
	v_cvt_f32_u32_e32 v49, s28
	s_sub_i32 s30, 32, s30
	s_add_u32 s26, s26, 1
	s_addc_u32 s27, s27, 0
	v_ldexp_f32 v49, v49, s30
	v_cmp_eq_u64_e32 vcc, s[26:27], v[46:47]
	v_mul_f32_e32 v49, v48, v49
	s_or_b64 s[24:25], vcc, s[24:25]
	v_mov_b32_e32 v48, v19
	v_fma_f32 v19, v19, v44, -v49
	s_andn2_b64 exec, exec, s[24:25]
	s_cbranch_execnz .LBB61_116
; %bb.117:
	s_or_b64 exec, exec, s[24:25]
.LBB61_118:
	s_or_b64 exec, exec, s[22:23]
                                        ; implicit-def: $vgpr44
.LBB61_119:
	s_andn2_saveexec_b64 s[20:21], s[20:21]
; %bb.120:
	v_mov_b32_e32 v19, v44
; %bb.121:
	s_or_b64 exec, exec, s[20:21]
.LBB61_122:
	s_or_b64 exec, exec, s[14:15]
.LBB61_123:
	s_or_b64 exec, exec, s[10:11]
	v_trunc_f32_e32 v20, v20
	s_mov_b32 s10, 0x2f800000
	v_mul_f32_e64 v44, |v20|, s10
	v_floor_f32_e32 v44, v44
	s_mov_b32 s10, 0xcf800000
	v_cvt_u32_f32_e32 v46, v44
	v_fma_f32 v44, v44, s10, |v20|
	v_cvt_u32_f32_e32 v44, v44
	v_ashrrev_i32_e32 v20, 31, v20
	v_xor_b32_e32 v47, v46, v20
	v_xor_b32_e32 v44, v44, v20
	v_sub_co_u32_e32 v46, vcc, v44, v20
	v_subb_co_u32_e32 v47, vcc, v47, v20, vcc
	v_cmp_lt_i64_e32 vcc, -1, v[46:47]
	v_mov_b32_e32 v20, 0
	s_and_saveexec_b64 s[10:11], vcc
	s_cbranch_execz .LBB61_135
; %bb.124:
	v_cmp_lt_i64_e32 vcc, 0, v[46:47]
	v_mov_b32_e32 v20, 1.0
	s_and_saveexec_b64 s[14:15], vcc
	s_cbranch_execz .LBB61_134
; %bb.125:
	v_cvt_f32_f16_e32 v44, v45
	v_cmp_ne_u64_e32 vcc, 1, v[46:47]
	s_and_saveexec_b64 s[20:21], vcc
	s_xor_b64 s[20:21], exec, s[20:21]
	s_cbranch_execz .LBB61_131
; %bb.126:
	s_mov_b64 s[22:23], 0x81
	v_cmp_gt_u64_e32 vcc, s[22:23], v[46:47]
	v_mov_b32_e32 v20, 0x7fc00000
	s_and_saveexec_b64 s[22:23], vcc
	s_cbranch_execz .LBB61_130
; %bb.127:
	s_mov_b64 s[26:27], 1
	s_mov_b64 s[24:25], 0
	v_mov_b32_e32 v48, 1.0
	v_mov_b32_e32 v20, v44
.LBB61_128:                             ; =>This Inner Loop Header: Depth=1
	s_flbit_i32_b32 s28, s27
	s_min_u32 s30, s28, 32
	s_lshl_b64 s[28:29], s[26:27], s30
	s_min_u32 s28, s28, 1
	s_or_b32 s28, s29, s28
	v_cvt_f32_u32_e32 v49, s28
	s_sub_i32 s30, 32, s30
	s_add_u32 s26, s26, 1
	s_addc_u32 s27, s27, 0
	v_ldexp_f32 v49, v49, s30
	v_cmp_eq_u64_e32 vcc, s[26:27], v[46:47]
	v_mul_f32_e32 v49, v48, v49
	s_or_b64 s[24:25], vcc, s[24:25]
	v_mov_b32_e32 v48, v20
	v_fma_f32 v20, v20, v44, -v49
	s_andn2_b64 exec, exec, s[24:25]
	s_cbranch_execnz .LBB61_128
; %bb.129:
	s_or_b64 exec, exec, s[24:25]
.LBB61_130:
	s_or_b64 exec, exec, s[22:23]
                                        ; implicit-def: $vgpr44
.LBB61_131:
	s_andn2_saveexec_b64 s[20:21], s[20:21]
; %bb.132:
	v_mov_b32_e32 v20, v44
; %bb.133:
	s_or_b64 exec, exec, s[20:21]
.LBB61_134:
	s_or_b64 exec, exec, s[14:15]
.LBB61_135:
	s_or_b64 exec, exec, s[10:11]
	v_trunc_f32_e32 v21, v21
	s_mov_b32 s10, 0x2f800000
	v_mul_f32_e64 v44, |v21|, s10
	v_floor_f32_e32 v44, v44
	s_mov_b32 s10, 0xcf800000
	v_cvt_u32_f32_e32 v46, v44
	v_fma_f32 v44, v44, s10, |v21|
	v_cvt_u32_f32_e32 v44, v44
	v_ashrrev_i32_e32 v21, 31, v21
	v_xor_b32_e32 v47, v46, v21
	v_xor_b32_e32 v44, v44, v21
	v_sub_co_u32_e32 v46, vcc, v44, v21
	v_subb_co_u32_e32 v47, vcc, v47, v21, vcc
	v_cmp_lt_i64_e32 vcc, -1, v[46:47]
	v_mov_b32_e32 v21, 0
	s_and_saveexec_b64 s[10:11], vcc
	s_cbranch_execz .LBB61_147
; %bb.136:
	v_cmp_lt_i64_e32 vcc, 0, v[46:47]
	v_mov_b32_e32 v21, 1.0
	s_and_saveexec_b64 s[14:15], vcc
	s_cbranch_execz .LBB61_146
; %bb.137:
	v_cvt_f32_f16_sdwa v44, v45 dst_sel:DWORD dst_unused:UNUSED_PAD src0_sel:WORD_1
	v_cmp_ne_u64_e32 vcc, 1, v[46:47]
	s_and_saveexec_b64 s[20:21], vcc
	s_xor_b64 s[20:21], exec, s[20:21]
	s_cbranch_execz .LBB61_143
; %bb.138:
	s_mov_b64 s[22:23], 0x81
	v_cmp_gt_u64_e32 vcc, s[22:23], v[46:47]
	v_mov_b32_e32 v21, 0x7fc00000
	s_and_saveexec_b64 s[22:23], vcc
	s_cbranch_execz .LBB61_142
; %bb.139:
	s_mov_b64 s[26:27], 1
	s_mov_b64 s[24:25], 0
	v_mov_b32_e32 v45, 1.0
	v_mov_b32_e32 v21, v44
.LBB61_140:                             ; =>This Inner Loop Header: Depth=1
	s_flbit_i32_b32 s28, s27
	s_min_u32 s30, s28, 32
	s_lshl_b64 s[28:29], s[26:27], s30
	s_min_u32 s28, s28, 1
	s_or_b32 s28, s29, s28
	v_cvt_f32_u32_e32 v48, s28
	s_sub_i32 s30, 32, s30
	s_add_u32 s26, s26, 1
	s_addc_u32 s27, s27, 0
	v_ldexp_f32 v48, v48, s30
	v_cmp_eq_u64_e32 vcc, s[26:27], v[46:47]
	v_mul_f32_e32 v48, v45, v48
	s_or_b64 s[24:25], vcc, s[24:25]
	v_mov_b32_e32 v45, v21
	v_fma_f32 v21, v21, v44, -v48
	s_andn2_b64 exec, exec, s[24:25]
	s_cbranch_execnz .LBB61_140
; %bb.141:
	s_or_b64 exec, exec, s[24:25]
.LBB61_142:
	s_or_b64 exec, exec, s[22:23]
                                        ; implicit-def: $vgpr44
.LBB61_143:
	s_andn2_saveexec_b64 s[20:21], s[20:21]
; %bb.144:
	v_mov_b32_e32 v21, v44
; %bb.145:
	s_or_b64 exec, exec, s[20:21]
.LBB61_146:
	s_or_b64 exec, exec, s[14:15]
.LBB61_147:
	s_or_b64 exec, exec, s[10:11]
	s_waitcnt vmcnt(4)
	v_trunc_f32_e32 v26, v26
	s_mov_b32 s10, 0x2f800000
	v_mul_f32_e64 v44, |v26|, s10
	v_floor_f32_e32 v44, v44
	s_mov_b32 s10, 0xcf800000
	v_cvt_u32_f32_e32 v45, v44
	v_fma_f32 v44, v44, s10, |v26|
	v_cvt_u32_f32_e32 v44, v44
	v_ashrrev_i32_e32 v26, 31, v26
	v_xor_b32_e32 v45, v45, v26
	v_xor_b32_e32 v44, v44, v26
	v_sub_co_u32_e32 v44, vcc, v44, v26
	v_subb_co_u32_e32 v45, vcc, v45, v26, vcc
	v_cmp_lt_i64_e32 vcc, -1, v[44:45]
	v_mov_b32_e32 v26, 0
	s_and_saveexec_b64 s[10:11], vcc
	s_cbranch_execz .LBB61_159
; %bb.148:
	v_cmp_lt_i64_e32 vcc, 0, v[44:45]
	v_mov_b32_e32 v26, 1.0
	s_and_saveexec_b64 s[14:15], vcc
	s_cbranch_execz .LBB61_158
; %bb.149:
	v_cvt_f32_f16_e32 v46, v42
	v_cmp_ne_u64_e32 vcc, 1, v[44:45]
                                        ; implicit-def: $vgpr26
	s_and_saveexec_b64 s[20:21], vcc
	s_xor_b64 s[20:21], exec, s[20:21]
	s_cbranch_execz .LBB61_155
; %bb.150:
	s_mov_b64 s[22:23], 0x81
	v_cmp_gt_u64_e32 vcc, s[22:23], v[44:45]
	v_mov_b32_e32 v26, 0x7fc00000
	s_and_saveexec_b64 s[22:23], vcc
	s_cbranch_execz .LBB61_154
; %bb.151:
	s_mov_b64 s[26:27], 1
	s_mov_b64 s[24:25], 0
	v_mov_b32_e32 v47, 1.0
	v_mov_b32_e32 v26, v46
.LBB61_152:                             ; =>This Inner Loop Header: Depth=1
	s_flbit_i32_b32 s28, s27
	s_min_u32 s30, s28, 32
	s_lshl_b64 s[28:29], s[26:27], s30
	s_min_u32 s28, s28, 1
	s_or_b32 s28, s29, s28
	v_cvt_f32_u32_e32 v48, s28
	s_sub_i32 s30, 32, s30
	s_add_u32 s26, s26, 1
	s_addc_u32 s27, s27, 0
	v_ldexp_f32 v48, v48, s30
	v_cmp_eq_u64_e32 vcc, s[26:27], v[44:45]
	v_mul_f32_e32 v48, v47, v48
	s_or_b64 s[24:25], vcc, s[24:25]
	v_mov_b32_e32 v47, v26
	v_fma_f32 v26, v26, v46, -v48
	s_andn2_b64 exec, exec, s[24:25]
	s_cbranch_execnz .LBB61_152
; %bb.153:
	s_or_b64 exec, exec, s[24:25]
.LBB61_154:
	s_or_b64 exec, exec, s[22:23]
                                        ; implicit-def: $vgpr46
.LBB61_155:
	s_andn2_saveexec_b64 s[20:21], s[20:21]
; %bb.156:
	v_mov_b32_e32 v26, v46
; %bb.157:
	s_or_b64 exec, exec, s[20:21]
.LBB61_158:
	s_or_b64 exec, exec, s[14:15]
.LBB61_159:
	s_or_b64 exec, exec, s[10:11]
	v_trunc_f32_e32 v27, v27
	s_mov_b32 s10, 0x2f800000
	v_mul_f32_e64 v44, |v27|, s10
	v_floor_f32_e32 v44, v44
	s_mov_b32 s10, 0xcf800000
	v_cvt_u32_f32_e32 v45, v44
	v_fma_f32 v44, v44, s10, |v27|
	v_cvt_u32_f32_e32 v44, v44
	v_ashrrev_i32_e32 v27, 31, v27
	v_xor_b32_e32 v45, v45, v27
	v_xor_b32_e32 v44, v44, v27
	v_sub_co_u32_e32 v44, vcc, v44, v27
	v_subb_co_u32_e32 v45, vcc, v45, v27, vcc
	v_cmp_lt_i64_e32 vcc, -1, v[44:45]
	v_mov_b32_e32 v27, 0
	s_and_saveexec_b64 s[10:11], vcc
	s_cbranch_execz .LBB61_171
; %bb.160:
	v_cmp_lt_i64_e32 vcc, 0, v[44:45]
	v_mov_b32_e32 v27, 1.0
	s_and_saveexec_b64 s[14:15], vcc
	s_cbranch_execz .LBB61_170
; %bb.161:
	v_cvt_f32_f16_sdwa v42, v42 dst_sel:DWORD dst_unused:UNUSED_PAD src0_sel:WORD_1
	v_cmp_ne_u64_e32 vcc, 1, v[44:45]
	s_and_saveexec_b64 s[20:21], vcc
	s_xor_b64 s[20:21], exec, s[20:21]
	s_cbranch_execz .LBB61_167
; %bb.162:
	s_mov_b64 s[22:23], 0x81
	v_cmp_gt_u64_e32 vcc, s[22:23], v[44:45]
	v_mov_b32_e32 v27, 0x7fc00000
	s_and_saveexec_b64 s[22:23], vcc
	s_cbranch_execz .LBB61_166
; %bb.163:
	s_mov_b64 s[26:27], 1
	s_mov_b64 s[24:25], 0
	v_mov_b32_e32 v46, 1.0
	v_mov_b32_e32 v27, v42
.LBB61_164:                             ; =>This Inner Loop Header: Depth=1
	s_flbit_i32_b32 s28, s27
	s_min_u32 s30, s28, 32
	s_lshl_b64 s[28:29], s[26:27], s30
	s_min_u32 s28, s28, 1
	s_or_b32 s28, s29, s28
	v_cvt_f32_u32_e32 v47, s28
	s_sub_i32 s30, 32, s30
	s_add_u32 s26, s26, 1
	s_addc_u32 s27, s27, 0
	v_ldexp_f32 v47, v47, s30
	v_cmp_eq_u64_e32 vcc, s[26:27], v[44:45]
	v_mul_f32_e32 v47, v46, v47
	s_or_b64 s[24:25], vcc, s[24:25]
	v_mov_b32_e32 v46, v27
	v_fma_f32 v27, v27, v42, -v47
	s_andn2_b64 exec, exec, s[24:25]
	s_cbranch_execnz .LBB61_164
; %bb.165:
	s_or_b64 exec, exec, s[24:25]
.LBB61_166:
	s_or_b64 exec, exec, s[22:23]
                                        ; implicit-def: $vgpr42
.LBB61_167:
	s_andn2_saveexec_b64 s[20:21], s[20:21]
; %bb.168:
	v_mov_b32_e32 v27, v42
; %bb.169:
	s_or_b64 exec, exec, s[20:21]
.LBB61_170:
	s_or_b64 exec, exec, s[14:15]
.LBB61_171:
	s_or_b64 exec, exec, s[10:11]
	v_trunc_f32_e32 v28, v28
	s_mov_b32 s10, 0x2f800000
	v_mul_f32_e64 v42, |v28|, s10
	v_floor_f32_e32 v42, v42
	s_mov_b32 s10, 0xcf800000
	v_cvt_u32_f32_e32 v44, v42
	v_fma_f32 v42, v42, s10, |v28|
	v_cvt_u32_f32_e32 v42, v42
	v_ashrrev_i32_e32 v28, 31, v28
	v_xor_b32_e32 v45, v44, v28
	v_xor_b32_e32 v42, v42, v28
	v_sub_co_u32_e32 v44, vcc, v42, v28
	v_subb_co_u32_e32 v45, vcc, v45, v28, vcc
	v_cmp_lt_i64_e32 vcc, -1, v[44:45]
	v_mov_b32_e32 v28, 0
	s_and_saveexec_b64 s[10:11], vcc
	s_cbranch_execz .LBB61_183
; %bb.172:
	v_cmp_lt_i64_e32 vcc, 0, v[44:45]
	v_mov_b32_e32 v28, 1.0
	s_and_saveexec_b64 s[14:15], vcc
	s_cbranch_execz .LBB61_182
; %bb.173:
	v_cvt_f32_f16_e32 v42, v43
	v_cmp_ne_u64_e32 vcc, 1, v[44:45]
	s_and_saveexec_b64 s[20:21], vcc
	s_xor_b64 s[20:21], exec, s[20:21]
	s_cbranch_execz .LBB61_179
; %bb.174:
	s_mov_b64 s[22:23], 0x81
	v_cmp_gt_u64_e32 vcc, s[22:23], v[44:45]
	v_mov_b32_e32 v28, 0x7fc00000
	s_and_saveexec_b64 s[22:23], vcc
	s_cbranch_execz .LBB61_178
; %bb.175:
	s_mov_b64 s[26:27], 1
	s_mov_b64 s[24:25], 0
	v_mov_b32_e32 v46, 1.0
	v_mov_b32_e32 v28, v42
.LBB61_176:                             ; =>This Inner Loop Header: Depth=1
	s_flbit_i32_b32 s28, s27
	s_min_u32 s30, s28, 32
	s_lshl_b64 s[28:29], s[26:27], s30
	s_min_u32 s28, s28, 1
	s_or_b32 s28, s29, s28
	v_cvt_f32_u32_e32 v47, s28
	s_sub_i32 s30, 32, s30
	s_add_u32 s26, s26, 1
	s_addc_u32 s27, s27, 0
	v_ldexp_f32 v47, v47, s30
	v_cmp_eq_u64_e32 vcc, s[26:27], v[44:45]
	v_mul_f32_e32 v47, v46, v47
	s_or_b64 s[24:25], vcc, s[24:25]
	v_mov_b32_e32 v46, v28
	v_fma_f32 v28, v28, v42, -v47
	s_andn2_b64 exec, exec, s[24:25]
	s_cbranch_execnz .LBB61_176
; %bb.177:
	s_or_b64 exec, exec, s[24:25]
.LBB61_178:
	s_or_b64 exec, exec, s[22:23]
                                        ; implicit-def: $vgpr42
.LBB61_179:
	s_andn2_saveexec_b64 s[20:21], s[20:21]
; %bb.180:
	v_mov_b32_e32 v28, v42
; %bb.181:
	s_or_b64 exec, exec, s[20:21]
.LBB61_182:
	s_or_b64 exec, exec, s[14:15]
.LBB61_183:
	s_or_b64 exec, exec, s[10:11]
	v_trunc_f32_e32 v29, v29
	s_mov_b32 s10, 0x2f800000
	v_mul_f32_e64 v42, |v29|, s10
	v_floor_f32_e32 v42, v42
	s_mov_b32 s10, 0xcf800000
	v_cvt_u32_f32_e32 v44, v42
	v_fma_f32 v42, v42, s10, |v29|
	v_cvt_u32_f32_e32 v42, v42
	v_ashrrev_i32_e32 v29, 31, v29
	v_xor_b32_e32 v45, v44, v29
	v_xor_b32_e32 v42, v42, v29
	v_sub_co_u32_e32 v44, vcc, v42, v29
	v_subb_co_u32_e32 v45, vcc, v45, v29, vcc
	v_cmp_lt_i64_e32 vcc, -1, v[44:45]
	v_mov_b32_e32 v29, 0
	s_and_saveexec_b64 s[10:11], vcc
	s_cbranch_execz .LBB61_195
; %bb.184:
	v_cmp_lt_i64_e32 vcc, 0, v[44:45]
	v_mov_b32_e32 v29, 1.0
	s_and_saveexec_b64 s[14:15], vcc
	s_cbranch_execz .LBB61_194
; %bb.185:
	v_cvt_f32_f16_sdwa v42, v43 dst_sel:DWORD dst_unused:UNUSED_PAD src0_sel:WORD_1
	v_cmp_ne_u64_e32 vcc, 1, v[44:45]
	s_and_saveexec_b64 s[20:21], vcc
	s_xor_b64 s[20:21], exec, s[20:21]
	s_cbranch_execz .LBB61_191
; %bb.186:
	s_mov_b64 s[22:23], 0x81
	v_cmp_gt_u64_e32 vcc, s[22:23], v[44:45]
	v_mov_b32_e32 v29, 0x7fc00000
	s_and_saveexec_b64 s[22:23], vcc
	s_cbranch_execz .LBB61_190
; %bb.187:
	s_mov_b64 s[26:27], 1
	s_mov_b64 s[24:25], 0
	v_mov_b32_e32 v43, 1.0
	v_mov_b32_e32 v29, v42
.LBB61_188:                             ; =>This Inner Loop Header: Depth=1
	s_flbit_i32_b32 s28, s27
	s_min_u32 s30, s28, 32
	s_lshl_b64 s[28:29], s[26:27], s30
	s_min_u32 s28, s28, 1
	s_or_b32 s28, s29, s28
	v_cvt_f32_u32_e32 v46, s28
	s_sub_i32 s30, 32, s30
	s_add_u32 s26, s26, 1
	s_addc_u32 s27, s27, 0
	v_ldexp_f32 v46, v46, s30
	v_cmp_eq_u64_e32 vcc, s[26:27], v[44:45]
	v_mul_f32_e32 v46, v43, v46
	s_or_b64 s[24:25], vcc, s[24:25]
	v_mov_b32_e32 v43, v29
	v_fma_f32 v29, v29, v42, -v46
	s_andn2_b64 exec, exec, s[24:25]
	s_cbranch_execnz .LBB61_188
; %bb.189:
	s_or_b64 exec, exec, s[24:25]
.LBB61_190:
	s_or_b64 exec, exec, s[22:23]
                                        ; implicit-def: $vgpr42
.LBB61_191:
	s_andn2_saveexec_b64 s[20:21], s[20:21]
; %bb.192:
	v_mov_b32_e32 v29, v42
; %bb.193:
	s_or_b64 exec, exec, s[20:21]
.LBB61_194:
	s_or_b64 exec, exec, s[14:15]
.LBB61_195:
	s_or_b64 exec, exec, s[10:11]
	s_waitcnt vmcnt(3)
	v_trunc_f32_e32 v30, v30
	s_mov_b32 s10, 0x2f800000
	v_mul_f32_e64 v42, |v30|, s10
	v_floor_f32_e32 v42, v42
	s_mov_b32 s10, 0xcf800000
	v_cvt_u32_f32_e32 v43, v42
	v_fma_f32 v42, v42, s10, |v30|
	v_cvt_u32_f32_e32 v42, v42
	v_ashrrev_i32_e32 v30, 31, v30
	v_xor_b32_e32 v43, v43, v30
	v_xor_b32_e32 v42, v42, v30
	v_sub_co_u32_e32 v42, vcc, v42, v30
	v_subb_co_u32_e32 v43, vcc, v43, v30, vcc
	v_cmp_lt_i64_e32 vcc, -1, v[42:43]
	v_mov_b32_e32 v30, 0
	s_and_saveexec_b64 s[10:11], vcc
	s_cbranch_execz .LBB61_207
; %bb.196:
	v_cmp_lt_i64_e32 vcc, 0, v[42:43]
	v_mov_b32_e32 v30, 1.0
	s_and_saveexec_b64 s[14:15], vcc
	s_cbranch_execz .LBB61_206
; %bb.197:
	v_cvt_f32_f16_e32 v44, v40
	v_cmp_ne_u64_e32 vcc, 1, v[42:43]
                                        ; implicit-def: $vgpr30
	s_and_saveexec_b64 s[20:21], vcc
	s_xor_b64 s[20:21], exec, s[20:21]
	s_cbranch_execz .LBB61_203
; %bb.198:
	s_mov_b64 s[22:23], 0x81
	v_cmp_gt_u64_e32 vcc, s[22:23], v[42:43]
	v_mov_b32_e32 v30, 0x7fc00000
	s_and_saveexec_b64 s[22:23], vcc
	s_cbranch_execz .LBB61_202
; %bb.199:
	s_mov_b64 s[26:27], 1
	s_mov_b64 s[24:25], 0
	v_mov_b32_e32 v45, 1.0
	v_mov_b32_e32 v30, v44
.LBB61_200:                             ; =>This Inner Loop Header: Depth=1
	s_flbit_i32_b32 s28, s27
	s_min_u32 s30, s28, 32
	s_lshl_b64 s[28:29], s[26:27], s30
	s_min_u32 s28, s28, 1
	s_or_b32 s28, s29, s28
	v_cvt_f32_u32_e32 v46, s28
	s_sub_i32 s30, 32, s30
	s_add_u32 s26, s26, 1
	s_addc_u32 s27, s27, 0
	v_ldexp_f32 v46, v46, s30
	v_cmp_eq_u64_e32 vcc, s[26:27], v[42:43]
	v_mul_f32_e32 v46, v45, v46
	s_or_b64 s[24:25], vcc, s[24:25]
	v_mov_b32_e32 v45, v30
	v_fma_f32 v30, v30, v44, -v46
	s_andn2_b64 exec, exec, s[24:25]
	s_cbranch_execnz .LBB61_200
; %bb.201:
	s_or_b64 exec, exec, s[24:25]
.LBB61_202:
	s_or_b64 exec, exec, s[22:23]
                                        ; implicit-def: $vgpr44
.LBB61_203:
	s_andn2_saveexec_b64 s[20:21], s[20:21]
; %bb.204:
	v_mov_b32_e32 v30, v44
; %bb.205:
	s_or_b64 exec, exec, s[20:21]
.LBB61_206:
	s_or_b64 exec, exec, s[14:15]
.LBB61_207:
	s_or_b64 exec, exec, s[10:11]
	v_trunc_f32_e32 v31, v31
	s_mov_b32 s10, 0x2f800000
	v_mul_f32_e64 v42, |v31|, s10
	v_floor_f32_e32 v42, v42
	s_mov_b32 s10, 0xcf800000
	v_cvt_u32_f32_e32 v43, v42
	v_fma_f32 v42, v42, s10, |v31|
	v_cvt_u32_f32_e32 v42, v42
	v_ashrrev_i32_e32 v31, 31, v31
	v_xor_b32_e32 v43, v43, v31
	v_xor_b32_e32 v42, v42, v31
	v_sub_co_u32_e32 v42, vcc, v42, v31
	v_subb_co_u32_e32 v43, vcc, v43, v31, vcc
	v_cmp_lt_i64_e32 vcc, -1, v[42:43]
	v_mov_b32_e32 v31, 0
	s_and_saveexec_b64 s[10:11], vcc
	s_cbranch_execz .LBB61_219
; %bb.208:
	v_cmp_lt_i64_e32 vcc, 0, v[42:43]
	v_mov_b32_e32 v31, 1.0
	s_and_saveexec_b64 s[14:15], vcc
	s_cbranch_execz .LBB61_218
; %bb.209:
	v_cvt_f32_f16_sdwa v40, v40 dst_sel:DWORD dst_unused:UNUSED_PAD src0_sel:WORD_1
	v_cmp_ne_u64_e32 vcc, 1, v[42:43]
	s_and_saveexec_b64 s[20:21], vcc
	s_xor_b64 s[20:21], exec, s[20:21]
	s_cbranch_execz .LBB61_215
; %bb.210:
	s_mov_b64 s[22:23], 0x81
	v_cmp_gt_u64_e32 vcc, s[22:23], v[42:43]
	v_mov_b32_e32 v31, 0x7fc00000
	s_and_saveexec_b64 s[22:23], vcc
	s_cbranch_execz .LBB61_214
; %bb.211:
	s_mov_b64 s[26:27], 1
	s_mov_b64 s[24:25], 0
	v_mov_b32_e32 v44, 1.0
	v_mov_b32_e32 v31, v40
.LBB61_212:                             ; =>This Inner Loop Header: Depth=1
	s_flbit_i32_b32 s28, s27
	s_min_u32 s30, s28, 32
	s_lshl_b64 s[28:29], s[26:27], s30
	s_min_u32 s28, s28, 1
	s_or_b32 s28, s29, s28
	v_cvt_f32_u32_e32 v45, s28
	s_sub_i32 s30, 32, s30
	s_add_u32 s26, s26, 1
	s_addc_u32 s27, s27, 0
	v_ldexp_f32 v45, v45, s30
	v_cmp_eq_u64_e32 vcc, s[26:27], v[42:43]
	v_mul_f32_e32 v45, v44, v45
	s_or_b64 s[24:25], vcc, s[24:25]
	v_mov_b32_e32 v44, v31
	v_fma_f32 v31, v31, v40, -v45
	s_andn2_b64 exec, exec, s[24:25]
	s_cbranch_execnz .LBB61_212
; %bb.213:
	s_or_b64 exec, exec, s[24:25]
.LBB61_214:
	s_or_b64 exec, exec, s[22:23]
                                        ; implicit-def: $vgpr40
.LBB61_215:
	s_andn2_saveexec_b64 s[20:21], s[20:21]
; %bb.216:
	v_mov_b32_e32 v31, v40
; %bb.217:
	s_or_b64 exec, exec, s[20:21]
.LBB61_218:
	s_or_b64 exec, exec, s[14:15]
.LBB61_219:
	s_or_b64 exec, exec, s[10:11]
	v_trunc_f32_e32 v32, v32
	s_mov_b32 s10, 0x2f800000
	v_mul_f32_e64 v40, |v32|, s10
	v_floor_f32_e32 v40, v40
	s_mov_b32 s10, 0xcf800000
	v_cvt_u32_f32_e32 v42, v40
	v_fma_f32 v40, v40, s10, |v32|
	v_cvt_u32_f32_e32 v40, v40
	v_ashrrev_i32_e32 v32, 31, v32
	v_xor_b32_e32 v43, v42, v32
	v_xor_b32_e32 v40, v40, v32
	v_sub_co_u32_e32 v42, vcc, v40, v32
	v_subb_co_u32_e32 v43, vcc, v43, v32, vcc
	v_cmp_lt_i64_e32 vcc, -1, v[42:43]
	v_mov_b32_e32 v32, 0
	s_and_saveexec_b64 s[10:11], vcc
	s_cbranch_execz .LBB61_231
; %bb.220:
	v_cmp_lt_i64_e32 vcc, 0, v[42:43]
	v_mov_b32_e32 v32, 1.0
	s_and_saveexec_b64 s[14:15], vcc
	s_cbranch_execz .LBB61_230
; %bb.221:
	v_cvt_f32_f16_e32 v40, v41
	v_cmp_ne_u64_e32 vcc, 1, v[42:43]
	s_and_saveexec_b64 s[20:21], vcc
	s_xor_b64 s[20:21], exec, s[20:21]
	s_cbranch_execz .LBB61_227
; %bb.222:
	s_mov_b64 s[22:23], 0x81
	v_cmp_gt_u64_e32 vcc, s[22:23], v[42:43]
	v_mov_b32_e32 v32, 0x7fc00000
	s_and_saveexec_b64 s[22:23], vcc
	s_cbranch_execz .LBB61_226
; %bb.223:
	s_mov_b64 s[26:27], 1
	s_mov_b64 s[24:25], 0
	v_mov_b32_e32 v44, 1.0
	v_mov_b32_e32 v32, v40
.LBB61_224:                             ; =>This Inner Loop Header: Depth=1
	s_flbit_i32_b32 s28, s27
	s_min_u32 s30, s28, 32
	s_lshl_b64 s[28:29], s[26:27], s30
	s_min_u32 s28, s28, 1
	s_or_b32 s28, s29, s28
	v_cvt_f32_u32_e32 v45, s28
	s_sub_i32 s30, 32, s30
	s_add_u32 s26, s26, 1
	s_addc_u32 s27, s27, 0
	v_ldexp_f32 v45, v45, s30
	v_cmp_eq_u64_e32 vcc, s[26:27], v[42:43]
	v_mul_f32_e32 v45, v44, v45
	s_or_b64 s[24:25], vcc, s[24:25]
	v_mov_b32_e32 v44, v32
	v_fma_f32 v32, v32, v40, -v45
	s_andn2_b64 exec, exec, s[24:25]
	s_cbranch_execnz .LBB61_224
; %bb.225:
	s_or_b64 exec, exec, s[24:25]
.LBB61_226:
	s_or_b64 exec, exec, s[22:23]
                                        ; implicit-def: $vgpr40
.LBB61_227:
	s_andn2_saveexec_b64 s[20:21], s[20:21]
; %bb.228:
	v_mov_b32_e32 v32, v40
; %bb.229:
	s_or_b64 exec, exec, s[20:21]
.LBB61_230:
	s_or_b64 exec, exec, s[14:15]
.LBB61_231:
	s_or_b64 exec, exec, s[10:11]
	v_trunc_f32_e32 v33, v33
	s_mov_b32 s10, 0x2f800000
	v_mul_f32_e64 v40, |v33|, s10
	v_floor_f32_e32 v40, v40
	s_mov_b32 s10, 0xcf800000
	v_cvt_u32_f32_e32 v42, v40
	v_fma_f32 v40, v40, s10, |v33|
	v_cvt_u32_f32_e32 v40, v40
	v_ashrrev_i32_e32 v33, 31, v33
	v_xor_b32_e32 v43, v42, v33
	v_xor_b32_e32 v40, v40, v33
	v_sub_co_u32_e32 v42, vcc, v40, v33
	v_subb_co_u32_e32 v43, vcc, v43, v33, vcc
	v_cmp_lt_i64_e32 vcc, -1, v[42:43]
	v_mov_b32_e32 v33, 0
	s_and_saveexec_b64 s[10:11], vcc
	s_cbranch_execz .LBB61_243
; %bb.232:
	v_cmp_lt_i64_e32 vcc, 0, v[42:43]
	v_mov_b32_e32 v33, 1.0
	s_and_saveexec_b64 s[14:15], vcc
	s_cbranch_execz .LBB61_242
; %bb.233:
	v_cvt_f32_f16_sdwa v40, v41 dst_sel:DWORD dst_unused:UNUSED_PAD src0_sel:WORD_1
	v_cmp_ne_u64_e32 vcc, 1, v[42:43]
	s_and_saveexec_b64 s[20:21], vcc
	s_xor_b64 s[20:21], exec, s[20:21]
	s_cbranch_execz .LBB61_239
; %bb.234:
	s_mov_b64 s[22:23], 0x81
	v_cmp_gt_u64_e32 vcc, s[22:23], v[42:43]
	v_mov_b32_e32 v33, 0x7fc00000
	s_and_saveexec_b64 s[22:23], vcc
	s_cbranch_execz .LBB61_238
; %bb.235:
	s_mov_b64 s[26:27], 1
	s_mov_b64 s[24:25], 0
	v_mov_b32_e32 v41, 1.0
	v_mov_b32_e32 v33, v40
.LBB61_236:                             ; =>This Inner Loop Header: Depth=1
	s_flbit_i32_b32 s28, s27
	s_min_u32 s30, s28, 32
	s_lshl_b64 s[28:29], s[26:27], s30
	s_min_u32 s28, s28, 1
	s_or_b32 s28, s29, s28
	v_cvt_f32_u32_e32 v44, s28
	s_sub_i32 s30, 32, s30
	s_add_u32 s26, s26, 1
	s_addc_u32 s27, s27, 0
	v_ldexp_f32 v44, v44, s30
	v_cmp_eq_u64_e32 vcc, s[26:27], v[42:43]
	v_mul_f32_e32 v44, v41, v44
	s_or_b64 s[24:25], vcc, s[24:25]
	v_mov_b32_e32 v41, v33
	v_fma_f32 v33, v33, v40, -v44
	s_andn2_b64 exec, exec, s[24:25]
	s_cbranch_execnz .LBB61_236
; %bb.237:
	s_or_b64 exec, exec, s[24:25]
.LBB61_238:
	s_or_b64 exec, exec, s[22:23]
                                        ; implicit-def: $vgpr40
.LBB61_239:
	s_andn2_saveexec_b64 s[20:21], s[20:21]
; %bb.240:
	v_mov_b32_e32 v33, v40
; %bb.241:
	s_or_b64 exec, exec, s[20:21]
.LBB61_242:
	s_or_b64 exec, exec, s[14:15]
.LBB61_243:
	s_or_b64 exec, exec, s[10:11]
	s_waitcnt vmcnt(2)
	v_trunc_f32_e32 v22, v22
	s_mov_b32 s10, 0x2f800000
	v_mul_f32_e64 v40, |v22|, s10
	v_floor_f32_e32 v40, v40
	s_mov_b32 s10, 0xcf800000
	v_cvt_u32_f32_e32 v41, v40
	v_fma_f32 v40, v40, s10, |v22|
	v_cvt_u32_f32_e32 v40, v40
	v_ashrrev_i32_e32 v22, 31, v22
	v_xor_b32_e32 v41, v41, v22
	v_xor_b32_e32 v40, v40, v22
	v_sub_co_u32_e32 v40, vcc, v40, v22
	v_subb_co_u32_e32 v41, vcc, v41, v22, vcc
	v_cmp_lt_i64_e32 vcc, -1, v[40:41]
	v_mov_b32_e32 v22, 0
	s_and_saveexec_b64 s[10:11], vcc
	s_cbranch_execz .LBB61_255
; %bb.244:
	v_cmp_lt_i64_e32 vcc, 0, v[40:41]
	v_mov_b32_e32 v22, 1.0
	s_and_saveexec_b64 s[14:15], vcc
	s_cbranch_execz .LBB61_254
; %bb.245:
	v_cvt_f32_f16_e32 v42, v38
	v_cmp_ne_u64_e32 vcc, 1, v[40:41]
                                        ; implicit-def: $vgpr22
	s_and_saveexec_b64 s[20:21], vcc
	s_xor_b64 s[20:21], exec, s[20:21]
	s_cbranch_execz .LBB61_251
; %bb.246:
	s_mov_b64 s[22:23], 0x81
	v_cmp_gt_u64_e32 vcc, s[22:23], v[40:41]
	v_mov_b32_e32 v22, 0x7fc00000
	s_and_saveexec_b64 s[22:23], vcc
	s_cbranch_execz .LBB61_250
; %bb.247:
	s_mov_b64 s[26:27], 1
	s_mov_b64 s[24:25], 0
	v_mov_b32_e32 v43, 1.0
	v_mov_b32_e32 v22, v42
.LBB61_248:                             ; =>This Inner Loop Header: Depth=1
	s_flbit_i32_b32 s28, s27
	s_min_u32 s30, s28, 32
	s_lshl_b64 s[28:29], s[26:27], s30
	s_min_u32 s28, s28, 1
	s_or_b32 s28, s29, s28
	v_cvt_f32_u32_e32 v44, s28
	s_sub_i32 s30, 32, s30
	s_add_u32 s26, s26, 1
	s_addc_u32 s27, s27, 0
	v_ldexp_f32 v44, v44, s30
	v_cmp_eq_u64_e32 vcc, s[26:27], v[40:41]
	v_mul_f32_e32 v44, v43, v44
	s_or_b64 s[24:25], vcc, s[24:25]
	v_mov_b32_e32 v43, v22
	v_fma_f32 v22, v22, v42, -v44
	s_andn2_b64 exec, exec, s[24:25]
	s_cbranch_execnz .LBB61_248
; %bb.249:
	s_or_b64 exec, exec, s[24:25]
.LBB61_250:
	s_or_b64 exec, exec, s[22:23]
                                        ; implicit-def: $vgpr42
.LBB61_251:
	s_andn2_saveexec_b64 s[20:21], s[20:21]
; %bb.252:
	v_mov_b32_e32 v22, v42
; %bb.253:
	s_or_b64 exec, exec, s[20:21]
.LBB61_254:
	s_or_b64 exec, exec, s[14:15]
.LBB61_255:
	s_or_b64 exec, exec, s[10:11]
	v_trunc_f32_e32 v23, v23
	s_mov_b32 s10, 0x2f800000
	v_mul_f32_e64 v40, |v23|, s10
	v_floor_f32_e32 v40, v40
	s_mov_b32 s10, 0xcf800000
	v_cvt_u32_f32_e32 v41, v40
	v_fma_f32 v40, v40, s10, |v23|
	v_cvt_u32_f32_e32 v40, v40
	v_ashrrev_i32_e32 v23, 31, v23
	v_xor_b32_e32 v41, v41, v23
	v_xor_b32_e32 v40, v40, v23
	v_sub_co_u32_e32 v40, vcc, v40, v23
	v_subb_co_u32_e32 v41, vcc, v41, v23, vcc
	v_cmp_lt_i64_e32 vcc, -1, v[40:41]
	v_mov_b32_e32 v23, 0
	s_and_saveexec_b64 s[10:11], vcc
	s_cbranch_execz .LBB61_267
; %bb.256:
	v_cmp_lt_i64_e32 vcc, 0, v[40:41]
	v_mov_b32_e32 v23, 1.0
	s_and_saveexec_b64 s[14:15], vcc
	s_cbranch_execz .LBB61_266
; %bb.257:
	v_cvt_f32_f16_sdwa v38, v38 dst_sel:DWORD dst_unused:UNUSED_PAD src0_sel:WORD_1
	v_cmp_ne_u64_e32 vcc, 1, v[40:41]
	s_and_saveexec_b64 s[20:21], vcc
	s_xor_b64 s[20:21], exec, s[20:21]
	s_cbranch_execz .LBB61_263
; %bb.258:
	s_mov_b64 s[22:23], 0x81
	v_cmp_gt_u64_e32 vcc, s[22:23], v[40:41]
	v_mov_b32_e32 v23, 0x7fc00000
	s_and_saveexec_b64 s[22:23], vcc
	s_cbranch_execz .LBB61_262
; %bb.259:
	s_mov_b64 s[26:27], 1
	s_mov_b64 s[24:25], 0
	v_mov_b32_e32 v42, 1.0
	v_mov_b32_e32 v23, v38
.LBB61_260:                             ; =>This Inner Loop Header: Depth=1
	s_flbit_i32_b32 s28, s27
	s_min_u32 s30, s28, 32
	s_lshl_b64 s[28:29], s[26:27], s30
	s_min_u32 s28, s28, 1
	s_or_b32 s28, s29, s28
	v_cvt_f32_u32_e32 v43, s28
	s_sub_i32 s30, 32, s30
	s_add_u32 s26, s26, 1
	s_addc_u32 s27, s27, 0
	v_ldexp_f32 v43, v43, s30
	v_cmp_eq_u64_e32 vcc, s[26:27], v[40:41]
	v_mul_f32_e32 v43, v42, v43
	s_or_b64 s[24:25], vcc, s[24:25]
	v_mov_b32_e32 v42, v23
	v_fma_f32 v23, v23, v38, -v43
	s_andn2_b64 exec, exec, s[24:25]
	s_cbranch_execnz .LBB61_260
; %bb.261:
	s_or_b64 exec, exec, s[24:25]
.LBB61_262:
	s_or_b64 exec, exec, s[22:23]
                                        ; implicit-def: $vgpr38
.LBB61_263:
	s_andn2_saveexec_b64 s[20:21], s[20:21]
; %bb.264:
	v_mov_b32_e32 v23, v38
; %bb.265:
	s_or_b64 exec, exec, s[20:21]
.LBB61_266:
	s_or_b64 exec, exec, s[14:15]
.LBB61_267:
	s_or_b64 exec, exec, s[10:11]
	v_trunc_f32_e32 v24, v24
	s_mov_b32 s10, 0x2f800000
	v_mul_f32_e64 v38, |v24|, s10
	v_floor_f32_e32 v38, v38
	s_mov_b32 s10, 0xcf800000
	v_cvt_u32_f32_e32 v40, v38
	v_fma_f32 v38, v38, s10, |v24|
	v_cvt_u32_f32_e32 v38, v38
	v_ashrrev_i32_e32 v24, 31, v24
	v_xor_b32_e32 v41, v40, v24
	v_xor_b32_e32 v38, v38, v24
	v_sub_co_u32_e32 v40, vcc, v38, v24
	v_subb_co_u32_e32 v41, vcc, v41, v24, vcc
	v_cmp_lt_i64_e32 vcc, -1, v[40:41]
	v_mov_b32_e32 v24, 0
	s_and_saveexec_b64 s[10:11], vcc
	s_cbranch_execz .LBB61_279
; %bb.268:
	v_cmp_lt_i64_e32 vcc, 0, v[40:41]
	v_mov_b32_e32 v24, 1.0
	s_and_saveexec_b64 s[14:15], vcc
	s_cbranch_execz .LBB61_278
; %bb.269:
	v_cvt_f32_f16_e32 v38, v39
	v_cmp_ne_u64_e32 vcc, 1, v[40:41]
	s_and_saveexec_b64 s[20:21], vcc
	s_xor_b64 s[20:21], exec, s[20:21]
	s_cbranch_execz .LBB61_275
; %bb.270:
	s_mov_b64 s[22:23], 0x81
	v_cmp_gt_u64_e32 vcc, s[22:23], v[40:41]
	v_mov_b32_e32 v24, 0x7fc00000
	s_and_saveexec_b64 s[22:23], vcc
	s_cbranch_execz .LBB61_274
; %bb.271:
	s_mov_b64 s[26:27], 1
	s_mov_b64 s[24:25], 0
	v_mov_b32_e32 v42, 1.0
	v_mov_b32_e32 v24, v38
.LBB61_272:                             ; =>This Inner Loop Header: Depth=1
	s_flbit_i32_b32 s28, s27
	s_min_u32 s30, s28, 32
	s_lshl_b64 s[28:29], s[26:27], s30
	s_min_u32 s28, s28, 1
	s_or_b32 s28, s29, s28
	v_cvt_f32_u32_e32 v43, s28
	s_sub_i32 s30, 32, s30
	s_add_u32 s26, s26, 1
	s_addc_u32 s27, s27, 0
	v_ldexp_f32 v43, v43, s30
	v_cmp_eq_u64_e32 vcc, s[26:27], v[40:41]
	v_mul_f32_e32 v43, v42, v43
	s_or_b64 s[24:25], vcc, s[24:25]
	v_mov_b32_e32 v42, v24
	v_fma_f32 v24, v24, v38, -v43
	s_andn2_b64 exec, exec, s[24:25]
	s_cbranch_execnz .LBB61_272
; %bb.273:
	s_or_b64 exec, exec, s[24:25]
.LBB61_274:
	s_or_b64 exec, exec, s[22:23]
                                        ; implicit-def: $vgpr38
.LBB61_275:
	s_andn2_saveexec_b64 s[20:21], s[20:21]
; %bb.276:
	v_mov_b32_e32 v24, v38
; %bb.277:
	s_or_b64 exec, exec, s[20:21]
.LBB61_278:
	s_or_b64 exec, exec, s[14:15]
.LBB61_279:
	s_or_b64 exec, exec, s[10:11]
	v_trunc_f32_e32 v25, v25
	s_mov_b32 s10, 0x2f800000
	v_mul_f32_e64 v38, |v25|, s10
	v_floor_f32_e32 v38, v38
	s_mov_b32 s10, 0xcf800000
	v_cvt_u32_f32_e32 v40, v38
	v_fma_f32 v38, v38, s10, |v25|
	v_cvt_u32_f32_e32 v38, v38
	v_ashrrev_i32_e32 v25, 31, v25
	v_xor_b32_e32 v41, v40, v25
	v_xor_b32_e32 v38, v38, v25
	v_sub_co_u32_e32 v40, vcc, v38, v25
	v_subb_co_u32_e32 v41, vcc, v41, v25, vcc
	v_cmp_lt_i64_e32 vcc, -1, v[40:41]
	v_mov_b32_e32 v25, 0
	s_and_saveexec_b64 s[10:11], vcc
	s_cbranch_execz .LBB61_291
; %bb.280:
	v_cmp_lt_i64_e32 vcc, 0, v[40:41]
	v_mov_b32_e32 v25, 1.0
	s_and_saveexec_b64 s[14:15], vcc
	s_cbranch_execz .LBB61_290
; %bb.281:
	v_cvt_f32_f16_sdwa v38, v39 dst_sel:DWORD dst_unused:UNUSED_PAD src0_sel:WORD_1
	v_cmp_ne_u64_e32 vcc, 1, v[40:41]
	s_and_saveexec_b64 s[20:21], vcc
	s_xor_b64 s[20:21], exec, s[20:21]
	s_cbranch_execz .LBB61_287
; %bb.282:
	s_mov_b64 s[22:23], 0x81
	v_cmp_gt_u64_e32 vcc, s[22:23], v[40:41]
	v_mov_b32_e32 v25, 0x7fc00000
	s_and_saveexec_b64 s[22:23], vcc
	s_cbranch_execz .LBB61_286
; %bb.283:
	s_mov_b64 s[26:27], 1
	s_mov_b64 s[24:25], 0
	v_mov_b32_e32 v39, 1.0
	v_mov_b32_e32 v25, v38
.LBB61_284:                             ; =>This Inner Loop Header: Depth=1
	s_flbit_i32_b32 s28, s27
	s_min_u32 s30, s28, 32
	s_lshl_b64 s[28:29], s[26:27], s30
	s_min_u32 s28, s28, 1
	s_or_b32 s28, s29, s28
	v_cvt_f32_u32_e32 v42, s28
	s_sub_i32 s30, 32, s30
	s_add_u32 s26, s26, 1
	s_addc_u32 s27, s27, 0
	v_ldexp_f32 v42, v42, s30
	v_cmp_eq_u64_e32 vcc, s[26:27], v[40:41]
	v_mul_f32_e32 v42, v39, v42
	s_or_b64 s[24:25], vcc, s[24:25]
	v_mov_b32_e32 v39, v25
	v_fma_f32 v25, v25, v38, -v42
	s_andn2_b64 exec, exec, s[24:25]
	s_cbranch_execnz .LBB61_284
; %bb.285:
	s_or_b64 exec, exec, s[24:25]
.LBB61_286:
	s_or_b64 exec, exec, s[22:23]
                                        ; implicit-def: $vgpr38
.LBB61_287:
	s_andn2_saveexec_b64 s[20:21], s[20:21]
; %bb.288:
	v_mov_b32_e32 v25, v38
; %bb.289:
	s_or_b64 exec, exec, s[20:21]
.LBB61_290:
	s_or_b64 exec, exec, s[14:15]
.LBB61_291:
	s_or_b64 exec, exec, s[10:11]
	s_waitcnt vmcnt(1)
	v_trunc_f32_e32 v14, v14
	s_mov_b32 s10, 0x2f800000
	v_mul_f32_e64 v38, |v14|, s10
	v_floor_f32_e32 v38, v38
	s_mov_b32 s10, 0xcf800000
	v_cvt_u32_f32_e32 v39, v38
	v_fma_f32 v38, v38, s10, |v14|
	v_cvt_u32_f32_e32 v38, v38
	v_ashrrev_i32_e32 v14, 31, v14
	v_xor_b32_e32 v39, v39, v14
	v_xor_b32_e32 v38, v38, v14
	v_sub_co_u32_e32 v38, vcc, v38, v14
	v_subb_co_u32_e32 v39, vcc, v39, v14, vcc
	v_cmp_lt_i64_e32 vcc, -1, v[38:39]
	v_mov_b32_e32 v14, 0
	s_and_saveexec_b64 s[10:11], vcc
	s_cbranch_execz .LBB61_303
; %bb.292:
	v_cmp_lt_i64_e32 vcc, 0, v[38:39]
	v_mov_b32_e32 v14, 1.0
	s_and_saveexec_b64 s[14:15], vcc
	s_cbranch_execz .LBB61_302
; %bb.293:
	v_cvt_f32_f16_e32 v40, v36
	v_cmp_ne_u64_e32 vcc, 1, v[38:39]
                                        ; implicit-def: $vgpr14
	s_and_saveexec_b64 s[20:21], vcc
	s_xor_b64 s[20:21], exec, s[20:21]
	s_cbranch_execz .LBB61_299
; %bb.294:
	s_mov_b64 s[22:23], 0x81
	v_cmp_gt_u64_e32 vcc, s[22:23], v[38:39]
	v_mov_b32_e32 v14, 0x7fc00000
	s_and_saveexec_b64 s[22:23], vcc
	s_cbranch_execz .LBB61_298
; %bb.295:
	s_mov_b64 s[26:27], 1
	s_mov_b64 s[24:25], 0
	v_mov_b32_e32 v41, 1.0
	v_mov_b32_e32 v14, v40
.LBB61_296:                             ; =>This Inner Loop Header: Depth=1
	s_flbit_i32_b32 s28, s27
	s_min_u32 s30, s28, 32
	s_lshl_b64 s[28:29], s[26:27], s30
	s_min_u32 s28, s28, 1
	s_or_b32 s28, s29, s28
	v_cvt_f32_u32_e32 v42, s28
	s_sub_i32 s30, 32, s30
	s_add_u32 s26, s26, 1
	s_addc_u32 s27, s27, 0
	v_ldexp_f32 v42, v42, s30
	v_cmp_eq_u64_e32 vcc, s[26:27], v[38:39]
	v_mul_f32_e32 v42, v41, v42
	s_or_b64 s[24:25], vcc, s[24:25]
	v_mov_b32_e32 v41, v14
	v_fma_f32 v14, v14, v40, -v42
	s_andn2_b64 exec, exec, s[24:25]
	s_cbranch_execnz .LBB61_296
; %bb.297:
	s_or_b64 exec, exec, s[24:25]
.LBB61_298:
	s_or_b64 exec, exec, s[22:23]
                                        ; implicit-def: $vgpr40
.LBB61_299:
	s_andn2_saveexec_b64 s[20:21], s[20:21]
; %bb.300:
	v_mov_b32_e32 v14, v40
; %bb.301:
	s_or_b64 exec, exec, s[20:21]
.LBB61_302:
	s_or_b64 exec, exec, s[14:15]
.LBB61_303:
	s_or_b64 exec, exec, s[10:11]
	v_trunc_f32_e32 v15, v15
	s_mov_b32 s10, 0x2f800000
	v_mul_f32_e64 v38, |v15|, s10
	v_floor_f32_e32 v38, v38
	s_mov_b32 s10, 0xcf800000
	v_cvt_u32_f32_e32 v39, v38
	v_fma_f32 v38, v38, s10, |v15|
	v_cvt_u32_f32_e32 v38, v38
	v_ashrrev_i32_e32 v15, 31, v15
	v_xor_b32_e32 v39, v39, v15
	v_xor_b32_e32 v38, v38, v15
	v_sub_co_u32_e32 v38, vcc, v38, v15
	v_subb_co_u32_e32 v39, vcc, v39, v15, vcc
	v_cmp_lt_i64_e32 vcc, -1, v[38:39]
	v_mov_b32_e32 v15, 0
	s_and_saveexec_b64 s[10:11], vcc
	s_cbranch_execz .LBB61_315
; %bb.304:
	v_cmp_lt_i64_e32 vcc, 0, v[38:39]
	v_mov_b32_e32 v15, 1.0
	s_and_saveexec_b64 s[14:15], vcc
	s_cbranch_execz .LBB61_314
; %bb.305:
	v_cvt_f32_f16_sdwa v36, v36 dst_sel:DWORD dst_unused:UNUSED_PAD src0_sel:WORD_1
	v_cmp_ne_u64_e32 vcc, 1, v[38:39]
	s_and_saveexec_b64 s[20:21], vcc
	s_xor_b64 s[20:21], exec, s[20:21]
	s_cbranch_execz .LBB61_311
; %bb.306:
	s_mov_b64 s[22:23], 0x81
	v_cmp_gt_u64_e32 vcc, s[22:23], v[38:39]
	v_mov_b32_e32 v15, 0x7fc00000
	s_and_saveexec_b64 s[22:23], vcc
	s_cbranch_execz .LBB61_310
; %bb.307:
	s_mov_b64 s[26:27], 1
	s_mov_b64 s[24:25], 0
	v_mov_b32_e32 v40, 1.0
	v_mov_b32_e32 v15, v36
.LBB61_308:                             ; =>This Inner Loop Header: Depth=1
	s_flbit_i32_b32 s28, s27
	s_min_u32 s30, s28, 32
	s_lshl_b64 s[28:29], s[26:27], s30
	s_min_u32 s28, s28, 1
	s_or_b32 s28, s29, s28
	v_cvt_f32_u32_e32 v41, s28
	s_sub_i32 s30, 32, s30
	s_add_u32 s26, s26, 1
	s_addc_u32 s27, s27, 0
	v_ldexp_f32 v41, v41, s30
	v_cmp_eq_u64_e32 vcc, s[26:27], v[38:39]
	v_mul_f32_e32 v41, v40, v41
	s_or_b64 s[24:25], vcc, s[24:25]
	v_mov_b32_e32 v40, v15
	v_fma_f32 v15, v15, v36, -v41
	s_andn2_b64 exec, exec, s[24:25]
	s_cbranch_execnz .LBB61_308
; %bb.309:
	s_or_b64 exec, exec, s[24:25]
.LBB61_310:
	s_or_b64 exec, exec, s[22:23]
                                        ; implicit-def: $vgpr36
.LBB61_311:
	s_andn2_saveexec_b64 s[20:21], s[20:21]
; %bb.312:
	v_mov_b32_e32 v15, v36
; %bb.313:
	s_or_b64 exec, exec, s[20:21]
.LBB61_314:
	s_or_b64 exec, exec, s[14:15]
.LBB61_315:
	s_or_b64 exec, exec, s[10:11]
	v_trunc_f32_e32 v16, v16
	s_mov_b32 s10, 0x2f800000
	v_mul_f32_e64 v36, |v16|, s10
	v_floor_f32_e32 v36, v36
	s_mov_b32 s10, 0xcf800000
	v_cvt_u32_f32_e32 v38, v36
	v_fma_f32 v36, v36, s10, |v16|
	v_cvt_u32_f32_e32 v36, v36
	v_ashrrev_i32_e32 v16, 31, v16
	v_xor_b32_e32 v39, v38, v16
	v_xor_b32_e32 v36, v36, v16
	v_sub_co_u32_e32 v38, vcc, v36, v16
	v_subb_co_u32_e32 v39, vcc, v39, v16, vcc
	v_cmp_lt_i64_e32 vcc, -1, v[38:39]
	v_mov_b32_e32 v16, 0
	s_and_saveexec_b64 s[10:11], vcc
	s_cbranch_execz .LBB61_327
; %bb.316:
	v_cmp_lt_i64_e32 vcc, 0, v[38:39]
	v_mov_b32_e32 v16, 1.0
	s_and_saveexec_b64 s[14:15], vcc
	s_cbranch_execz .LBB61_326
; %bb.317:
	v_cvt_f32_f16_e32 v36, v37
	v_cmp_ne_u64_e32 vcc, 1, v[38:39]
	s_and_saveexec_b64 s[20:21], vcc
	s_xor_b64 s[20:21], exec, s[20:21]
	s_cbranch_execz .LBB61_323
; %bb.318:
	s_mov_b64 s[22:23], 0x81
	v_cmp_gt_u64_e32 vcc, s[22:23], v[38:39]
	v_mov_b32_e32 v16, 0x7fc00000
	s_and_saveexec_b64 s[22:23], vcc
	s_cbranch_execz .LBB61_322
; %bb.319:
	s_mov_b64 s[26:27], 1
	s_mov_b64 s[24:25], 0
	v_mov_b32_e32 v40, 1.0
	v_mov_b32_e32 v16, v36
.LBB61_320:                             ; =>This Inner Loop Header: Depth=1
	s_flbit_i32_b32 s28, s27
	s_min_u32 s30, s28, 32
	s_lshl_b64 s[28:29], s[26:27], s30
	s_min_u32 s28, s28, 1
	s_or_b32 s28, s29, s28
	v_cvt_f32_u32_e32 v41, s28
	s_sub_i32 s30, 32, s30
	s_add_u32 s26, s26, 1
	s_addc_u32 s27, s27, 0
	v_ldexp_f32 v41, v41, s30
	v_cmp_eq_u64_e32 vcc, s[26:27], v[38:39]
	v_mul_f32_e32 v41, v40, v41
	s_or_b64 s[24:25], vcc, s[24:25]
	v_mov_b32_e32 v40, v16
	v_fma_f32 v16, v16, v36, -v41
	s_andn2_b64 exec, exec, s[24:25]
	s_cbranch_execnz .LBB61_320
; %bb.321:
	s_or_b64 exec, exec, s[24:25]
.LBB61_322:
	s_or_b64 exec, exec, s[22:23]
                                        ; implicit-def: $vgpr36
.LBB61_323:
	s_andn2_saveexec_b64 s[20:21], s[20:21]
; %bb.324:
	v_mov_b32_e32 v16, v36
; %bb.325:
	s_or_b64 exec, exec, s[20:21]
.LBB61_326:
	s_or_b64 exec, exec, s[14:15]
.LBB61_327:
	s_or_b64 exec, exec, s[10:11]
	v_trunc_f32_e32 v17, v17
	s_mov_b32 s10, 0x2f800000
	v_mul_f32_e64 v36, |v17|, s10
	v_floor_f32_e32 v36, v36
	s_mov_b32 s10, 0xcf800000
	v_cvt_u32_f32_e32 v38, v36
	v_fma_f32 v36, v36, s10, |v17|
	v_cvt_u32_f32_e32 v36, v36
	v_ashrrev_i32_e32 v17, 31, v17
	v_xor_b32_e32 v39, v38, v17
	v_xor_b32_e32 v36, v36, v17
	v_sub_co_u32_e32 v38, vcc, v36, v17
	v_subb_co_u32_e32 v39, vcc, v39, v17, vcc
	v_cmp_lt_i64_e32 vcc, -1, v[38:39]
	v_mov_b32_e32 v17, 0
	s_and_saveexec_b64 s[10:11], vcc
	s_cbranch_execz .LBB61_339
; %bb.328:
	v_cmp_lt_i64_e32 vcc, 0, v[38:39]
	v_mov_b32_e32 v17, 1.0
	s_and_saveexec_b64 s[14:15], vcc
	s_cbranch_execz .LBB61_338
; %bb.329:
	v_cvt_f32_f16_sdwa v36, v37 dst_sel:DWORD dst_unused:UNUSED_PAD src0_sel:WORD_1
	v_cmp_ne_u64_e32 vcc, 1, v[38:39]
	s_and_saveexec_b64 s[20:21], vcc
	s_xor_b64 s[20:21], exec, s[20:21]
	s_cbranch_execz .LBB61_335
; %bb.330:
	s_mov_b64 s[22:23], 0x81
	v_cmp_gt_u64_e32 vcc, s[22:23], v[38:39]
	v_mov_b32_e32 v17, 0x7fc00000
	s_and_saveexec_b64 s[22:23], vcc
	s_cbranch_execz .LBB61_334
; %bb.331:
	s_mov_b64 s[26:27], 1
	s_mov_b64 s[24:25], 0
	v_mov_b32_e32 v37, 1.0
	v_mov_b32_e32 v17, v36
.LBB61_332:                             ; =>This Inner Loop Header: Depth=1
	s_flbit_i32_b32 s28, s27
	s_min_u32 s30, s28, 32
	s_lshl_b64 s[28:29], s[26:27], s30
	s_min_u32 s28, s28, 1
	s_or_b32 s28, s29, s28
	v_cvt_f32_u32_e32 v40, s28
	s_sub_i32 s30, 32, s30
	s_add_u32 s26, s26, 1
	s_addc_u32 s27, s27, 0
	v_ldexp_f32 v40, v40, s30
	v_cmp_eq_u64_e32 vcc, s[26:27], v[38:39]
	v_mul_f32_e32 v40, v37, v40
	s_or_b64 s[24:25], vcc, s[24:25]
	v_mov_b32_e32 v37, v17
	v_fma_f32 v17, v17, v36, -v40
	s_andn2_b64 exec, exec, s[24:25]
	s_cbranch_execnz .LBB61_332
; %bb.333:
	s_or_b64 exec, exec, s[24:25]
.LBB61_334:
	s_or_b64 exec, exec, s[22:23]
                                        ; implicit-def: $vgpr36
.LBB61_335:
	s_andn2_saveexec_b64 s[20:21], s[20:21]
; %bb.336:
	v_mov_b32_e32 v17, v36
; %bb.337:
	s_or_b64 exec, exec, s[20:21]
.LBB61_338:
	s_or_b64 exec, exec, s[14:15]
.LBB61_339:
	s_or_b64 exec, exec, s[10:11]
	s_waitcnt vmcnt(0)
	v_trunc_f32_e32 v6, v6
	s_mov_b32 s10, 0x2f800000
	v_mul_f32_e64 v36, |v6|, s10
	v_floor_f32_e32 v36, v36
	s_mov_b32 s10, 0xcf800000
	v_cvt_u32_f32_e32 v37, v36
	v_fma_f32 v36, v36, s10, |v6|
	v_cvt_u32_f32_e32 v36, v36
	v_ashrrev_i32_e32 v6, 31, v6
	v_xor_b32_e32 v37, v37, v6
	v_xor_b32_e32 v36, v36, v6
	v_sub_co_u32_e32 v36, vcc, v36, v6
	v_subb_co_u32_e32 v37, vcc, v37, v6, vcc
	v_cmp_lt_i64_e32 vcc, -1, v[36:37]
	v_mov_b32_e32 v6, 0
	s_and_saveexec_b64 s[10:11], vcc
	s_cbranch_execz .LBB61_351
; %bb.340:
	v_cmp_lt_i64_e32 vcc, 0, v[36:37]
	v_mov_b32_e32 v6, 1.0
	s_and_saveexec_b64 s[14:15], vcc
	s_cbranch_execz .LBB61_350
; %bb.341:
	v_cvt_f32_f16_e32 v38, v34
	v_cmp_ne_u64_e32 vcc, 1, v[36:37]
                                        ; implicit-def: $vgpr6
	s_and_saveexec_b64 s[20:21], vcc
	s_xor_b64 s[20:21], exec, s[20:21]
	s_cbranch_execz .LBB61_347
; %bb.342:
	s_mov_b64 s[22:23], 0x81
	v_cmp_gt_u64_e32 vcc, s[22:23], v[36:37]
	v_mov_b32_e32 v6, 0x7fc00000
	s_and_saveexec_b64 s[22:23], vcc
	s_cbranch_execz .LBB61_346
; %bb.343:
	s_mov_b64 s[26:27], 1
	s_mov_b64 s[24:25], 0
	v_mov_b32_e32 v39, 1.0
	v_mov_b32_e32 v6, v38
.LBB61_344:                             ; =>This Inner Loop Header: Depth=1
	s_flbit_i32_b32 s28, s27
	s_min_u32 s30, s28, 32
	s_lshl_b64 s[28:29], s[26:27], s30
	s_min_u32 s28, s28, 1
	s_or_b32 s28, s29, s28
	v_cvt_f32_u32_e32 v40, s28
	s_sub_i32 s30, 32, s30
	s_add_u32 s26, s26, 1
	s_addc_u32 s27, s27, 0
	v_ldexp_f32 v40, v40, s30
	v_cmp_eq_u64_e32 vcc, s[26:27], v[36:37]
	v_mul_f32_e32 v40, v39, v40
	s_or_b64 s[24:25], vcc, s[24:25]
	v_mov_b32_e32 v39, v6
	v_fma_f32 v6, v6, v38, -v40
	s_andn2_b64 exec, exec, s[24:25]
	s_cbranch_execnz .LBB61_344
; %bb.345:
	s_or_b64 exec, exec, s[24:25]
.LBB61_346:
	s_or_b64 exec, exec, s[22:23]
                                        ; implicit-def: $vgpr38
.LBB61_347:
	s_andn2_saveexec_b64 s[20:21], s[20:21]
; %bb.348:
	v_mov_b32_e32 v6, v38
; %bb.349:
	s_or_b64 exec, exec, s[20:21]
.LBB61_350:
	s_or_b64 exec, exec, s[14:15]
.LBB61_351:
	s_or_b64 exec, exec, s[10:11]
	v_trunc_f32_e32 v7, v7
	s_mov_b32 s10, 0x2f800000
	v_mul_f32_e64 v36, |v7|, s10
	v_floor_f32_e32 v36, v36
	s_mov_b32 s10, 0xcf800000
	v_cvt_u32_f32_e32 v37, v36
	v_fma_f32 v36, v36, s10, |v7|
	v_cvt_u32_f32_e32 v36, v36
	v_ashrrev_i32_e32 v7, 31, v7
	v_xor_b32_e32 v37, v37, v7
	v_xor_b32_e32 v36, v36, v7
	v_sub_co_u32_e32 v36, vcc, v36, v7
	v_subb_co_u32_e32 v37, vcc, v37, v7, vcc
	v_cmp_lt_i64_e32 vcc, -1, v[36:37]
	v_mov_b32_e32 v7, 0
	s_and_saveexec_b64 s[10:11], vcc
	s_cbranch_execz .LBB61_363
; %bb.352:
	v_cmp_lt_i64_e32 vcc, 0, v[36:37]
	v_mov_b32_e32 v7, 1.0
	s_and_saveexec_b64 s[14:15], vcc
	s_cbranch_execz .LBB61_362
; %bb.353:
	v_cvt_f32_f16_sdwa v34, v34 dst_sel:DWORD dst_unused:UNUSED_PAD src0_sel:WORD_1
	v_cmp_ne_u64_e32 vcc, 1, v[36:37]
	s_and_saveexec_b64 s[20:21], vcc
	s_xor_b64 s[20:21], exec, s[20:21]
	s_cbranch_execz .LBB61_359
; %bb.354:
	s_mov_b64 s[22:23], 0x81
	v_cmp_gt_u64_e32 vcc, s[22:23], v[36:37]
	v_mov_b32_e32 v7, 0x7fc00000
	s_and_saveexec_b64 s[22:23], vcc
	s_cbranch_execz .LBB61_358
; %bb.355:
	s_mov_b64 s[26:27], 1
	s_mov_b64 s[24:25], 0
	v_mov_b32_e32 v38, 1.0
	v_mov_b32_e32 v7, v34
.LBB61_356:                             ; =>This Inner Loop Header: Depth=1
	s_flbit_i32_b32 s28, s27
	s_min_u32 s30, s28, 32
	s_lshl_b64 s[28:29], s[26:27], s30
	s_min_u32 s28, s28, 1
	s_or_b32 s28, s29, s28
	v_cvt_f32_u32_e32 v39, s28
	s_sub_i32 s30, 32, s30
	s_add_u32 s26, s26, 1
	s_addc_u32 s27, s27, 0
	v_ldexp_f32 v39, v39, s30
	v_cmp_eq_u64_e32 vcc, s[26:27], v[36:37]
	v_mul_f32_e32 v39, v38, v39
	s_or_b64 s[24:25], vcc, s[24:25]
	v_mov_b32_e32 v38, v7
	v_fma_f32 v7, v7, v34, -v39
	s_andn2_b64 exec, exec, s[24:25]
	s_cbranch_execnz .LBB61_356
; %bb.357:
	s_or_b64 exec, exec, s[24:25]
.LBB61_358:
	s_or_b64 exec, exec, s[22:23]
                                        ; implicit-def: $vgpr34
.LBB61_359:
	s_andn2_saveexec_b64 s[20:21], s[20:21]
; %bb.360:
	v_mov_b32_e32 v7, v34
; %bb.361:
	s_or_b64 exec, exec, s[20:21]
.LBB61_362:
	s_or_b64 exec, exec, s[14:15]
.LBB61_363:
	s_or_b64 exec, exec, s[10:11]
	v_trunc_f32_e32 v8, v8
	s_mov_b32 s10, 0x2f800000
	v_mul_f32_e64 v34, |v8|, s10
	v_floor_f32_e32 v34, v34
	s_mov_b32 s10, 0xcf800000
	v_cvt_u32_f32_e32 v36, v34
	v_fma_f32 v34, v34, s10, |v8|
	v_cvt_u32_f32_e32 v34, v34
	v_ashrrev_i32_e32 v8, 31, v8
	v_xor_b32_e32 v37, v36, v8
	v_xor_b32_e32 v34, v34, v8
	v_sub_co_u32_e32 v36, vcc, v34, v8
	v_subb_co_u32_e32 v37, vcc, v37, v8, vcc
	v_cmp_lt_i64_e32 vcc, -1, v[36:37]
	v_mov_b32_e32 v8, 0
	s_and_saveexec_b64 s[10:11], vcc
	s_cbranch_execz .LBB61_375
; %bb.364:
	v_cmp_lt_i64_e32 vcc, 0, v[36:37]
	v_mov_b32_e32 v8, 1.0
	s_and_saveexec_b64 s[14:15], vcc
	s_cbranch_execz .LBB61_374
; %bb.365:
	v_cvt_f32_f16_e32 v34, v35
	v_cmp_ne_u64_e32 vcc, 1, v[36:37]
	s_and_saveexec_b64 s[20:21], vcc
	s_xor_b64 s[20:21], exec, s[20:21]
	s_cbranch_execz .LBB61_371
; %bb.366:
	s_mov_b64 s[22:23], 0x81
	v_cmp_gt_u64_e32 vcc, s[22:23], v[36:37]
	v_mov_b32_e32 v8, 0x7fc00000
	s_and_saveexec_b64 s[22:23], vcc
	s_cbranch_execz .LBB61_370
; %bb.367:
	s_mov_b64 s[26:27], 1
	s_mov_b64 s[24:25], 0
	v_mov_b32_e32 v38, 1.0
	v_mov_b32_e32 v8, v34
.LBB61_368:                             ; =>This Inner Loop Header: Depth=1
	s_flbit_i32_b32 s28, s27
	s_min_u32 s30, s28, 32
	s_lshl_b64 s[28:29], s[26:27], s30
	s_min_u32 s28, s28, 1
	s_or_b32 s28, s29, s28
	v_cvt_f32_u32_e32 v39, s28
	s_sub_i32 s30, 32, s30
	s_add_u32 s26, s26, 1
	s_addc_u32 s27, s27, 0
	v_ldexp_f32 v39, v39, s30
	v_cmp_eq_u64_e32 vcc, s[26:27], v[36:37]
	v_mul_f32_e32 v39, v38, v39
	s_or_b64 s[24:25], vcc, s[24:25]
	v_mov_b32_e32 v38, v8
	v_fma_f32 v8, v8, v34, -v39
	s_andn2_b64 exec, exec, s[24:25]
	s_cbranch_execnz .LBB61_368
; %bb.369:
	s_or_b64 exec, exec, s[24:25]
.LBB61_370:
	s_or_b64 exec, exec, s[22:23]
                                        ; implicit-def: $vgpr34
.LBB61_371:
	s_andn2_saveexec_b64 s[20:21], s[20:21]
; %bb.372:
	v_mov_b32_e32 v8, v34
; %bb.373:
	s_or_b64 exec, exec, s[20:21]
.LBB61_374:
	s_or_b64 exec, exec, s[14:15]
.LBB61_375:
	s_or_b64 exec, exec, s[10:11]
	v_trunc_f32_e32 v9, v9
	s_mov_b32 s10, 0x2f800000
	v_mul_f32_e64 v34, |v9|, s10
	v_floor_f32_e32 v34, v34
	s_mov_b32 s10, 0xcf800000
	v_cvt_u32_f32_e32 v36, v34
	v_fma_f32 v34, v34, s10, |v9|
	v_cvt_u32_f32_e32 v34, v34
	v_ashrrev_i32_e32 v9, 31, v9
	v_xor_b32_e32 v37, v36, v9
	v_xor_b32_e32 v34, v34, v9
	v_sub_co_u32_e32 v36, vcc, v34, v9
	v_subb_co_u32_e32 v37, vcc, v37, v9, vcc
	v_cmp_lt_i64_e32 vcc, -1, v[36:37]
	v_mov_b32_e32 v9, 0
	s_and_saveexec_b64 s[10:11], vcc
	s_cbranch_execz .LBB61_387
; %bb.376:
	v_cmp_lt_i64_e32 vcc, 0, v[36:37]
	v_mov_b32_e32 v9, 1.0
	s_and_saveexec_b64 s[14:15], vcc
	s_cbranch_execz .LBB61_386
; %bb.377:
	v_cvt_f32_f16_sdwa v34, v35 dst_sel:DWORD dst_unused:UNUSED_PAD src0_sel:WORD_1
	v_cmp_ne_u64_e32 vcc, 1, v[36:37]
	s_and_saveexec_b64 s[20:21], vcc
	s_xor_b64 s[20:21], exec, s[20:21]
	s_cbranch_execz .LBB61_383
; %bb.378:
	s_mov_b64 s[22:23], 0x81
	v_cmp_gt_u64_e32 vcc, s[22:23], v[36:37]
	v_mov_b32_e32 v9, 0x7fc00000
	s_and_saveexec_b64 s[22:23], vcc
	s_cbranch_execz .LBB61_382
; %bb.379:
	s_mov_b64 s[26:27], 1
	s_mov_b64 s[24:25], 0
	v_mov_b32_e32 v35, 1.0
	v_mov_b32_e32 v9, v34
.LBB61_380:                             ; =>This Inner Loop Header: Depth=1
	s_flbit_i32_b32 s28, s27
	s_min_u32 s30, s28, 32
	s_lshl_b64 s[28:29], s[26:27], s30
	s_min_u32 s28, s28, 1
	s_or_b32 s28, s29, s28
	v_cvt_f32_u32_e32 v38, s28
	s_sub_i32 s30, 32, s30
	s_add_u32 s26, s26, 1
	s_addc_u32 s27, s27, 0
	v_ldexp_f32 v38, v38, s30
	v_cmp_eq_u64_e32 vcc, s[26:27], v[36:37]
	v_mul_f32_e32 v38, v35, v38
	s_or_b64 s[24:25], vcc, s[24:25]
	v_mov_b32_e32 v35, v9
	v_fma_f32 v9, v9, v34, -v38
	s_andn2_b64 exec, exec, s[24:25]
	s_cbranch_execnz .LBB61_380
; %bb.381:
	s_or_b64 exec, exec, s[24:25]
.LBB61_382:
	s_or_b64 exec, exec, s[22:23]
                                        ; implicit-def: $vgpr34
.LBB61_383:
	s_andn2_saveexec_b64 s[20:21], s[20:21]
; %bb.384:
	v_mov_b32_e32 v9, v34
; %bb.385:
	s_or_b64 exec, exec, s[20:21]
.LBB61_386:
	s_or_b64 exec, exec, s[14:15]
.LBB61_387:
	s_or_b64 exec, exec, s[10:11]
	s_add_u32 s8, s16, s8
	s_addc_u32 s9, s17, s9
	v_mov_b32_e32 v34, s9
	v_add_co_u32_e32 v35, vcc, s8, v54
	v_addc_co_u32_e32 v34, vcc, 0, v34, vcc
	global_store_dwordx4 v54, v[2:5], s[8:9]
	s_nop 0
	v_add_co_u32_e32 v2, vcc, 0x2000, v35
	v_addc_co_u32_e32 v3, vcc, 0, v34, vcc
	global_store_dwordx4 v[2:3], v[10:13], off
	global_store_dwordx4 v53, v[18:21], s[8:9]
	v_add_co_u32_e32 v2, vcc, 0x6000, v35
	v_addc_co_u32_e32 v3, vcc, 0, v34, vcc
	global_store_dwordx4 v[2:3], v[26:29], off
	global_store_dwordx4 v52, v[30:33], s[8:9]
	;; [unrolled: 4-line block ×3, first 2 shown]
	v_add_co_u32_e32 v2, vcc, 0xe000, v35
	v_addc_co_u32_e32 v3, vcc, 0, v34, vcc
	global_store_dwordx4 v[2:3], v[6:9], off
	s_branch .LBB61_2
.LBB61_388:
	s_load_dword s10, s[4:5], 0x24
	s_load_dwordx4 s[20:23], s[4:5], 0x28
	s_add_u32 s8, s4, 56
	s_addc_u32 s9, s5, 0
	v_mov_b32_e32 v31, v0
	s_waitcnt lgkmcnt(0)
	v_lshrrev_b16_e64 v8, 8, s10
	v_mov_b32_e32 v0, s16
	v_mov_b32_e32 v1, s17
	;; [unrolled: 1-line block ×12, first 2 shown]
	s_getpc_b64 s[4:5]
	s_add_u32 s4, s4, _ZN2at6native25elementwise_kernel_helperILb1ENS0_13BinaryFunctorIfffZZZNS0_12_GLOBAL__N_133hermite_polynomial_he_kernel_cudaERNS_18TensorIteratorBaseEENKUlvE_clEvENKUlvE0_clEvEUlffE_EENS0_6memory8policies11unroll_baseILi512ESt5arrayIPcLm3EE23TrivialOffsetCalculatorILi2EjESG_ILi1EjENSA_12LoadWithCastILi2EEENSA_13StoreWithCastILi1EEELi32ELi1EEEEEvT0_T1_@rel32@lo+4
	s_addc_u32 s5, s5, _ZN2at6native25elementwise_kernel_helperILb1ENS0_13BinaryFunctorIfffZZZNS0_12_GLOBAL__N_133hermite_polynomial_he_kernel_cudaERNS_18TensorIteratorBaseEENKUlvE_clEvENKUlvE0_clEvEUlffE_EENS0_6memory8policies11unroll_baseILi512ESt5arrayIPcLm3EE23TrivialOffsetCalculatorILi2EjESG_ILi1EjENSA_12LoadWithCastILi2EEENSA_13StoreWithCastILi1EEELi32ELi1EEEEEvT0_T1_@rel32@hi+12
	s_swappc_b64 s[30:31], s[4:5]
	s_endpgm
	.section	.rodata,"a",@progbits
	.p2align	6, 0x0
	.amdhsa_kernel _ZN2at6native39vectorized_templated_elementwise_kernelILi4ENS0_13BinaryFunctorIfffZZZNS0_12_GLOBAL__N_133hermite_polynomial_he_kernel_cudaERNS_18TensorIteratorBaseEENKUlvE_clEvENKUlvE0_clEvEUlffE_EESt5arrayIPcLm3EE23TrivialOffsetCalculatorILi2EjESD_ILi1EjENS0_6memory12LoadWithCastILi2EEENSG_13StoreWithCastILi1EEEfJN3c104HalfEfEEEviT0_T1_T2_T3_T4_T5_
		.amdhsa_group_segment_fixed_size 0
		.amdhsa_private_segment_fixed_size 288
		.amdhsa_kernarg_size 312
		.amdhsa_user_sgpr_count 8
		.amdhsa_user_sgpr_private_segment_buffer 1
		.amdhsa_user_sgpr_dispatch_ptr 0
		.amdhsa_user_sgpr_queue_ptr 0
		.amdhsa_user_sgpr_kernarg_segment_ptr 1
		.amdhsa_user_sgpr_dispatch_id 0
		.amdhsa_user_sgpr_flat_scratch_init 1
		.amdhsa_user_sgpr_kernarg_preload_length 0
		.amdhsa_user_sgpr_kernarg_preload_offset 0
		.amdhsa_user_sgpr_private_segment_size 0
		.amdhsa_uses_dynamic_stack 0
		.amdhsa_system_sgpr_private_segment_wavefront_offset 1
		.amdhsa_system_sgpr_workgroup_id_x 1
		.amdhsa_system_sgpr_workgroup_id_y 0
		.amdhsa_system_sgpr_workgroup_id_z 0
		.amdhsa_system_sgpr_workgroup_info 0
		.amdhsa_system_vgpr_workitem_id 0
		.amdhsa_next_free_vgpr 120
		.amdhsa_next_free_sgpr 98
		.amdhsa_accum_offset 120
		.amdhsa_reserve_vcc 1
		.amdhsa_reserve_flat_scratch 1
		.amdhsa_float_round_mode_32 0
		.amdhsa_float_round_mode_16_64 0
		.amdhsa_float_denorm_mode_32 3
		.amdhsa_float_denorm_mode_16_64 3
		.amdhsa_dx10_clamp 1
		.amdhsa_ieee_mode 1
		.amdhsa_fp16_overflow 0
		.amdhsa_tg_split 0
		.amdhsa_exception_fp_ieee_invalid_op 0
		.amdhsa_exception_fp_denorm_src 0
		.amdhsa_exception_fp_ieee_div_zero 0
		.amdhsa_exception_fp_ieee_overflow 0
		.amdhsa_exception_fp_ieee_underflow 0
		.amdhsa_exception_fp_ieee_inexact 0
		.amdhsa_exception_int_div_zero 0
	.end_amdhsa_kernel
	.section	.text._ZN2at6native39vectorized_templated_elementwise_kernelILi4ENS0_13BinaryFunctorIfffZZZNS0_12_GLOBAL__N_133hermite_polynomial_he_kernel_cudaERNS_18TensorIteratorBaseEENKUlvE_clEvENKUlvE0_clEvEUlffE_EESt5arrayIPcLm3EE23TrivialOffsetCalculatorILi2EjESD_ILi1EjENS0_6memory12LoadWithCastILi2EEENSG_13StoreWithCastILi1EEEfJN3c104HalfEfEEEviT0_T1_T2_T3_T4_T5_,"axG",@progbits,_ZN2at6native39vectorized_templated_elementwise_kernelILi4ENS0_13BinaryFunctorIfffZZZNS0_12_GLOBAL__N_133hermite_polynomial_he_kernel_cudaERNS_18TensorIteratorBaseEENKUlvE_clEvENKUlvE0_clEvEUlffE_EESt5arrayIPcLm3EE23TrivialOffsetCalculatorILi2EjESD_ILi1EjENS0_6memory12LoadWithCastILi2EEENSG_13StoreWithCastILi1EEEfJN3c104HalfEfEEEviT0_T1_T2_T3_T4_T5_,comdat
.Lfunc_end61:
	.size	_ZN2at6native39vectorized_templated_elementwise_kernelILi4ENS0_13BinaryFunctorIfffZZZNS0_12_GLOBAL__N_133hermite_polynomial_he_kernel_cudaERNS_18TensorIteratorBaseEENKUlvE_clEvENKUlvE0_clEvEUlffE_EESt5arrayIPcLm3EE23TrivialOffsetCalculatorILi2EjESD_ILi1EjENS0_6memory12LoadWithCastILi2EEENSG_13StoreWithCastILi1EEEfJN3c104HalfEfEEEviT0_T1_T2_T3_T4_T5_, .Lfunc_end61-_ZN2at6native39vectorized_templated_elementwise_kernelILi4ENS0_13BinaryFunctorIfffZZZNS0_12_GLOBAL__N_133hermite_polynomial_he_kernel_cudaERNS_18TensorIteratorBaseEENKUlvE_clEvENKUlvE0_clEvEUlffE_EESt5arrayIPcLm3EE23TrivialOffsetCalculatorILi2EjESD_ILi1EjENS0_6memory12LoadWithCastILi2EEENSG_13StoreWithCastILi1EEEfJN3c104HalfEfEEEviT0_T1_T2_T3_T4_T5_
                                        ; -- End function
	.section	.AMDGPU.csdata,"",@progbits
; Kernel info:
; codeLenInByte = 9360
; NumSgprs: 104
; NumVgprs: 120
; NumAgprs: 0
; TotalNumVgprs: 120
; ScratchSize: 288
; MemoryBound: 0
; FloatMode: 240
; IeeeMode: 1
; LDSByteSize: 0 bytes/workgroup (compile time only)
; SGPRBlocks: 12
; VGPRBlocks: 14
; NumSGPRsForWavesPerEU: 104
; NumVGPRsForWavesPerEU: 120
; AccumOffset: 120
; Occupancy: 4
; WaveLimiterHint : 0
; COMPUTE_PGM_RSRC2:SCRATCH_EN: 1
; COMPUTE_PGM_RSRC2:USER_SGPR: 8
; COMPUTE_PGM_RSRC2:TRAP_HANDLER: 0
; COMPUTE_PGM_RSRC2:TGID_X_EN: 1
; COMPUTE_PGM_RSRC2:TGID_Y_EN: 0
; COMPUTE_PGM_RSRC2:TGID_Z_EN: 0
; COMPUTE_PGM_RSRC2:TIDIG_COMP_CNT: 0
; COMPUTE_PGM_RSRC3_GFX90A:ACCUM_OFFSET: 29
; COMPUTE_PGM_RSRC3_GFX90A:TG_SPLIT: 0
	.section	.text._ZN2at6native39vectorized_templated_elementwise_kernelILi2ENS0_13BinaryFunctorIfffZZZNS0_12_GLOBAL__N_133hermite_polynomial_he_kernel_cudaERNS_18TensorIteratorBaseEENKUlvE_clEvENKUlvE0_clEvEUlffE_EESt5arrayIPcLm3EE23TrivialOffsetCalculatorILi2EjESD_ILi1EjENS0_6memory12LoadWithCastILi2EEENSG_13StoreWithCastILi1EEEfJN3c104HalfEfEEEviT0_T1_T2_T3_T4_T5_,"axG",@progbits,_ZN2at6native39vectorized_templated_elementwise_kernelILi2ENS0_13BinaryFunctorIfffZZZNS0_12_GLOBAL__N_133hermite_polynomial_he_kernel_cudaERNS_18TensorIteratorBaseEENKUlvE_clEvENKUlvE0_clEvEUlffE_EESt5arrayIPcLm3EE23TrivialOffsetCalculatorILi2EjESD_ILi1EjENS0_6memory12LoadWithCastILi2EEENSG_13StoreWithCastILi1EEEfJN3c104HalfEfEEEviT0_T1_T2_T3_T4_T5_,comdat
	.globl	_ZN2at6native39vectorized_templated_elementwise_kernelILi2ENS0_13BinaryFunctorIfffZZZNS0_12_GLOBAL__N_133hermite_polynomial_he_kernel_cudaERNS_18TensorIteratorBaseEENKUlvE_clEvENKUlvE0_clEvEUlffE_EESt5arrayIPcLm3EE23TrivialOffsetCalculatorILi2EjESD_ILi1EjENS0_6memory12LoadWithCastILi2EEENSG_13StoreWithCastILi1EEEfJN3c104HalfEfEEEviT0_T1_T2_T3_T4_T5_ ; -- Begin function _ZN2at6native39vectorized_templated_elementwise_kernelILi2ENS0_13BinaryFunctorIfffZZZNS0_12_GLOBAL__N_133hermite_polynomial_he_kernel_cudaERNS_18TensorIteratorBaseEENKUlvE_clEvENKUlvE0_clEvEUlffE_EESt5arrayIPcLm3EE23TrivialOffsetCalculatorILi2EjESD_ILi1EjENS0_6memory12LoadWithCastILi2EEENSG_13StoreWithCastILi1EEEfJN3c104HalfEfEEEviT0_T1_T2_T3_T4_T5_
	.p2align	8
	.type	_ZN2at6native39vectorized_templated_elementwise_kernelILi2ENS0_13BinaryFunctorIfffZZZNS0_12_GLOBAL__N_133hermite_polynomial_he_kernel_cudaERNS_18TensorIteratorBaseEENKUlvE_clEvENKUlvE0_clEvEUlffE_EESt5arrayIPcLm3EE23TrivialOffsetCalculatorILi2EjESD_ILi1EjENS0_6memory12LoadWithCastILi2EEENSG_13StoreWithCastILi1EEEfJN3c104HalfEfEEEviT0_T1_T2_T3_T4_T5_,@function
_ZN2at6native39vectorized_templated_elementwise_kernelILi2ENS0_13BinaryFunctorIfffZZZNS0_12_GLOBAL__N_133hermite_polynomial_he_kernel_cudaERNS_18TensorIteratorBaseEENKUlvE_clEvENKUlvE0_clEvEUlffE_EESt5arrayIPcLm3EE23TrivialOffsetCalculatorILi2EjESD_ILi1EjENS0_6memory12LoadWithCastILi2EEENSG_13StoreWithCastILi1EEEfJN3c104HalfEfEEEviT0_T1_T2_T3_T4_T5_: ; @_ZN2at6native39vectorized_templated_elementwise_kernelILi2ENS0_13BinaryFunctorIfffZZZNS0_12_GLOBAL__N_133hermite_polynomial_he_kernel_cudaERNS_18TensorIteratorBaseEENKUlvE_clEvENKUlvE0_clEvEUlffE_EESt5arrayIPcLm3EE23TrivialOffsetCalculatorILi2EjESD_ILi1EjENS0_6memory12LoadWithCastILi2EEENSG_13StoreWithCastILi1EEEfJN3c104HalfEfEEEviT0_T1_T2_T3_T4_T5_
; %bb.0:
	s_add_u32 flat_scratch_lo, s6, s9
	s_addc_u32 flat_scratch_hi, s7, 0
	s_add_u32 s0, s0, s9
	s_mov_b32 s12, s8
	s_load_dword s8, s[4:5], 0x38
	s_load_dwordx2 s[6:7], s[4:5], 0x18
	s_load_dword s9, s[4:5], 0x0
	s_load_dwordx4 s[16:19], s[4:5], 0x8
	s_addc_u32 s1, s1, 0
	s_not_b32 s10, s12
	s_waitcnt lgkmcnt(0)
	s_add_i32 s8, s8, s10
	s_lshl_b32 s8, s8, 14
	s_sub_i32 s13, s9, s8
	s_cmpk_gt_i32 s13, 0x3fff
	s_mov_b64 s[10:11], -1
	s_mov_b32 s32, 0
	s_cbranch_scc1 .LBB62_3
; %bb.1:
	s_and_b64 vcc, exec, s[10:11]
	s_cbranch_vccnz .LBB62_388
.LBB62_2:
	s_endpgm
.LBB62_3:
	s_ashr_i32 s9, s8, 31
	s_lshl_b64 s[10:11], s[8:9], 1
	s_add_u32 s14, s18, s10
	s_addc_u32 s15, s19, s11
	v_lshlrev_b32_e32 v1, 2, v0
	v_mov_b32_e32 v2, s15
	v_add_co_u32_e32 v10, vcc, s14, v1
	v_addc_co_u32_e32 v11, vcc, 0, v2, vcc
	s_movk_i32 s20, 0x1000
	v_add_co_u32_e32 v2, vcc, s20, v10
	v_addc_co_u32_e32 v3, vcc, 0, v11, vcc
	s_movk_i32 s10, 0x2000
	v_add_co_u32_e32 v4, vcc, s10, v10
	v_addc_co_u32_e32 v5, vcc, 0, v11, vcc
	s_movk_i32 s21, 0x3000
	v_add_co_u32_e32 v6, vcc, s21, v10
	v_or_b32_e32 v12, 0x400, v0
	v_or_b32_e32 v13, 0x800, v0
	;; [unrolled: 1-line block ×3, first 2 shown]
	v_addc_co_u32_e32 v7, vcc, 0, v11, vcc
	s_movk_i32 s10, 0x4000
	s_lshl_b64 s[8:9], s[8:9], 2
	v_lshlrev_b32_e32 v8, 2, v12
	v_lshlrev_b32_e32 v9, 2, v13
	;; [unrolled: 1-line block ×3, first 2 shown]
	global_load_dword v58, v1, s[14:15]
	global_load_dword v57, v1, s[14:15] offset:2048
	global_load_dword v56, v8, s[14:15]
	global_load_dword v55, v[2:3], off offset:2048
	global_load_dword v54, v9, s[14:15]
	global_load_dword v53, v[4:5], off offset:2048
	;; [unrolled: 2-line block ×3, first 2 shown]
	v_add_co_u32_e32 v4, vcc, s10, v10
	s_add_u32 s10, s6, s8
	s_addc_u32 s11, s7, s9
	v_lshlrev_b32_e32 v1, 3, v0
	global_load_dwordx2 v[2:3], v1, s[10:11]
	v_addc_co_u32_e32 v5, vcc, 0, v11, vcc
	s_movk_i32 s22, 0x5000
	v_add_co_u32_e32 v6, vcc, s22, v10
	v_addc_co_u32_e32 v7, vcc, 0, v11, vcc
	s_movk_i32 s23, 0x6000
	v_add_co_u32_e32 v8, vcc, s23, v10
	v_addc_co_u32_e32 v9, vcc, 0, v11, vcc
	s_movk_i32 s23, 0x7000
	v_or_b32_e32 v17, 0x1000, v0
	v_add_co_u32_e32 v10, vcc, s23, v10
	v_lshlrev_b32_e32 v14, 2, v17
	v_or_b32_e32 v20, 0x1400, v0
	v_or_b32_e32 v34, 0x1800, v0
	;; [unrolled: 1-line block ×3, first 2 shown]
	v_addc_co_u32_e32 v11, vcc, 0, v11, vcc
	v_lshlrev_b32_e32 v15, 2, v20
	v_lshlrev_b32_e32 v18, 2, v34
	;; [unrolled: 1-line block ×3, first 2 shown]
	global_load_dword v50, v14, s[14:15]
	global_load_dword v49, v[4:5], off offset:2048
	global_load_dword v48, v15, s[14:15]
	global_load_dword v47, v[6:7], off offset:2048
	;; [unrolled: 2-line block ×4, first 2 shown]
	v_mov_b32_e32 v4, s11
	v_add_co_u32_e32 v59, vcc, s10, v1
	v_addc_co_u32_e32 v63, vcc, 0, v4, vcc
	v_add_co_u32_e32 v4, vcc, s20, v59
	v_addc_co_u32_e32 v5, vcc, 0, v63, vcc
	;; [unrolled: 2-line block ×3, first 2 shown]
	v_lshlrev_b32_e32 v41, 3, v12
	global_load_dwordx2 v[6:7], v[4:5], off
	global_load_dwordx2 v[10:11], v41, s[10:11]
	global_load_dwordx2 v[14:15], v[8:9], off
	v_add_co_u32_e32 v4, vcc, s22, v59
	v_addc_co_u32_e32 v5, vcc, 0, v63, vcc
	v_add_co_u32_e32 v8, vcc, s23, v59
	v_lshlrev_b32_e32 v42, 3, v13
	v_addc_co_u32_e32 v9, vcc, 0, v63, vcc
	s_mov_b32 s14, 0x9000
	v_lshlrev_b32_e32 v38, 3, v16
	global_load_dwordx2 v[18:19], v42, s[10:11]
	global_load_dwordx2 v[22:23], v[4:5], off
	global_load_dwordx2 v[26:27], v38, s[10:11]
	global_load_dwordx2 v[30:31], v[8:9], off
	v_add_co_u32_e32 v4, vcc, s14, v59
	v_addc_co_u32_e32 v5, vcc, 0, v63, vcc
	s_mov_b32 s14, 0xb000
	v_lshlrev_b32_e32 v40, 3, v17
	v_add_co_u32_e32 v8, vcc, s14, v59
	s_mov_b32 s15, 0x2f800000
	v_lshlrev_b32_e32 v37, 3, v20
	v_addc_co_u32_e32 v9, vcc, 0, v63, vcc
	global_load_dwordx2 v[32:33], v40, s[10:11]
	global_load_dwordx2 v[28:29], v[4:5], off
	global_load_dwordx2 v[24:25], v37, s[10:11]
	global_load_dwordx2 v[20:21], v[8:9], off
	s_mov_b32 s14, 0xd000
	v_add_co_u32_e32 v60, vcc, s14, v59
	v_addc_co_u32_e32 v61, vcc, 0, v63, vcc
	s_mov_b32 s14, 0xf000
	v_add_co_u32_e32 v62, vcc, s14, v59
	v_addc_co_u32_e32 v63, vcc, 0, v63, vcc
	v_lshlrev_b32_e32 v39, 3, v34
	v_lshlrev_b32_e32 v36, 3, v35
	s_waitcnt vmcnt(19)
	v_trunc_f32_e32 v2, v2
	v_mul_f32_e64 v4, |v2|, s15
	v_floor_f32_e32 v4, v4
	s_mov_b32 s15, 0xcf800000
	v_fma_f32 v5, v4, s15, |v2|
	v_cvt_u32_f32_e32 v5, v5
	v_cvt_u32_f32_e32 v4, v4
	v_ashrrev_i32_e32 v2, 31, v2
	v_xor_b32_e32 v5, v5, v2
	v_xor_b32_e32 v4, v4, v2
	v_sub_co_u32_e32 v34, vcc, v5, v2
	v_subb_co_u32_e32 v35, vcc, v4, v2, vcc
	global_load_dwordx2 v[16:17], v39, s[10:11]
	global_load_dwordx2 v[12:13], v[60:61], off
	global_load_dwordx2 v[8:9], v36, s[10:11]
	global_load_dwordx2 v[4:5], v[62:63], off
	v_cmp_lt_i64_e32 vcc, -1, v[34:35]
	v_mov_b32_e32 v2, 0
	s_and_saveexec_b64 s[10:11], vcc
	s_cbranch_execz .LBB62_15
; %bb.4:
	v_cmp_lt_i64_e32 vcc, 0, v[34:35]
	v_mov_b32_e32 v2, 1.0
	s_and_saveexec_b64 s[14:15], vcc
	s_cbranch_execz .LBB62_14
; %bb.5:
	v_cvt_f32_f16_e32 v59, v58
	v_cmp_ne_u64_e32 vcc, 1, v[34:35]
                                        ; implicit-def: $vgpr2
	s_and_saveexec_b64 s[20:21], vcc
	s_xor_b64 s[20:21], exec, s[20:21]
	s_cbranch_execz .LBB62_11
; %bb.6:
	s_mov_b64 s[22:23], 0x81
	v_cmp_gt_u64_e32 vcc, s[22:23], v[34:35]
	v_mov_b32_e32 v2, 0x7fc00000
	s_and_saveexec_b64 s[22:23], vcc
	s_cbranch_execz .LBB62_10
; %bb.7:
	s_mov_b64 s[26:27], 1
	s_mov_b64 s[24:25], 0
	v_mov_b32_e32 v60, 1.0
	v_mov_b32_e32 v2, v59
.LBB62_8:                               ; =>This Inner Loop Header: Depth=1
	s_flbit_i32_b32 s28, s27
	s_min_u32 s30, s28, 32
	s_lshl_b64 s[28:29], s[26:27], s30
	s_min_u32 s28, s28, 1
	s_or_b32 s28, s29, s28
	v_cvt_f32_u32_e32 v61, s28
	s_sub_i32 s30, 32, s30
	s_add_u32 s26, s26, 1
	s_addc_u32 s27, s27, 0
	v_ldexp_f32 v61, v61, s30
	v_cmp_eq_u64_e32 vcc, s[26:27], v[34:35]
	v_mul_f32_e32 v61, v60, v61
	s_or_b64 s[24:25], vcc, s[24:25]
	v_mov_b32_e32 v60, v2
	v_fma_f32 v2, v2, v59, -v61
	s_andn2_b64 exec, exec, s[24:25]
	s_cbranch_execnz .LBB62_8
; %bb.9:
	s_or_b64 exec, exec, s[24:25]
.LBB62_10:
	s_or_b64 exec, exec, s[22:23]
                                        ; implicit-def: $vgpr59
.LBB62_11:
	s_andn2_saveexec_b64 s[20:21], s[20:21]
; %bb.12:
	v_mov_b32_e32 v2, v59
; %bb.13:
	s_or_b64 exec, exec, s[20:21]
.LBB62_14:
	s_or_b64 exec, exec, s[14:15]
.LBB62_15:
	s_or_b64 exec, exec, s[10:11]
	v_trunc_f32_e32 v3, v3
	s_mov_b32 s10, 0x2f800000
	v_mul_f32_e64 v34, |v3|, s10
	v_floor_f32_e32 v34, v34
	s_mov_b32 s10, 0xcf800000
	v_cvt_u32_f32_e32 v35, v34
	v_fma_f32 v34, v34, s10, |v3|
	v_cvt_u32_f32_e32 v34, v34
	v_ashrrev_i32_e32 v3, 31, v3
	v_xor_b32_e32 v35, v35, v3
	v_xor_b32_e32 v34, v34, v3
	v_sub_co_u32_e32 v34, vcc, v34, v3
	v_subb_co_u32_e32 v35, vcc, v35, v3, vcc
	v_cmp_lt_i64_e32 vcc, -1, v[34:35]
	v_mov_b32_e32 v3, 0
	s_and_saveexec_b64 s[10:11], vcc
	s_cbranch_execz .LBB62_27
; %bb.16:
	v_cmp_lt_i64_e32 vcc, 0, v[34:35]
	v_mov_b32_e32 v3, 1.0
	s_and_saveexec_b64 s[14:15], vcc
	s_cbranch_execz .LBB62_26
; %bb.17:
	v_cvt_f32_f16_sdwa v58, v58 dst_sel:DWORD dst_unused:UNUSED_PAD src0_sel:WORD_1
	v_cmp_ne_u64_e32 vcc, 1, v[34:35]
	s_and_saveexec_b64 s[20:21], vcc
	s_xor_b64 s[20:21], exec, s[20:21]
	s_cbranch_execz .LBB62_23
; %bb.18:
	s_mov_b64 s[22:23], 0x81
	v_cmp_gt_u64_e32 vcc, s[22:23], v[34:35]
	v_mov_b32_e32 v3, 0x7fc00000
	s_and_saveexec_b64 s[22:23], vcc
	s_cbranch_execz .LBB62_22
; %bb.19:
	s_mov_b64 s[26:27], 1
	s_mov_b64 s[24:25], 0
	v_mov_b32_e32 v59, 1.0
	v_mov_b32_e32 v3, v58
.LBB62_20:                              ; =>This Inner Loop Header: Depth=1
	s_flbit_i32_b32 s28, s27
	s_min_u32 s30, s28, 32
	s_lshl_b64 s[28:29], s[26:27], s30
	s_min_u32 s28, s28, 1
	s_or_b32 s28, s29, s28
	v_cvt_f32_u32_e32 v60, s28
	s_sub_i32 s30, 32, s30
	s_add_u32 s26, s26, 1
	s_addc_u32 s27, s27, 0
	v_ldexp_f32 v60, v60, s30
	v_cmp_eq_u64_e32 vcc, s[26:27], v[34:35]
	v_mul_f32_e32 v60, v59, v60
	s_or_b64 s[24:25], vcc, s[24:25]
	v_mov_b32_e32 v59, v3
	v_fma_f32 v3, v3, v58, -v60
	s_andn2_b64 exec, exec, s[24:25]
	s_cbranch_execnz .LBB62_20
; %bb.21:
	s_or_b64 exec, exec, s[24:25]
.LBB62_22:
	s_or_b64 exec, exec, s[22:23]
                                        ; implicit-def: $vgpr58
.LBB62_23:
	s_andn2_saveexec_b64 s[20:21], s[20:21]
; %bb.24:
	v_mov_b32_e32 v3, v58
; %bb.25:
	s_or_b64 exec, exec, s[20:21]
.LBB62_26:
	s_or_b64 exec, exec, s[14:15]
.LBB62_27:
	s_or_b64 exec, exec, s[10:11]
	s_waitcnt vmcnt(14)
	v_trunc_f32_e32 v6, v6
	s_mov_b32 s10, 0x2f800000
	v_mul_f32_e64 v34, |v6|, s10
	v_floor_f32_e32 v34, v34
	s_mov_b32 s10, 0xcf800000
	v_cvt_u32_f32_e32 v35, v34
	v_fma_f32 v34, v34, s10, |v6|
	v_cvt_u32_f32_e32 v34, v34
	v_ashrrev_i32_e32 v6, 31, v6
	v_xor_b32_e32 v35, v35, v6
	v_xor_b32_e32 v34, v34, v6
	v_sub_co_u32_e32 v34, vcc, v34, v6
	v_subb_co_u32_e32 v35, vcc, v35, v6, vcc
	v_cmp_lt_i64_e32 vcc, -1, v[34:35]
	v_mov_b32_e32 v6, 0
	s_and_saveexec_b64 s[10:11], vcc
	s_cbranch_execz .LBB62_39
; %bb.28:
	v_cmp_lt_i64_e32 vcc, 0, v[34:35]
	v_mov_b32_e32 v6, 1.0
	s_and_saveexec_b64 s[14:15], vcc
	s_cbranch_execz .LBB62_38
; %bb.29:
	v_cvt_f32_f16_e32 v58, v57
	v_cmp_ne_u64_e32 vcc, 1, v[34:35]
                                        ; implicit-def: $vgpr6
	s_and_saveexec_b64 s[20:21], vcc
	s_xor_b64 s[20:21], exec, s[20:21]
	s_cbranch_execz .LBB62_35
; %bb.30:
	s_mov_b64 s[22:23], 0x81
	v_cmp_gt_u64_e32 vcc, s[22:23], v[34:35]
	v_mov_b32_e32 v6, 0x7fc00000
	s_and_saveexec_b64 s[22:23], vcc
	s_cbranch_execz .LBB62_34
; %bb.31:
	s_mov_b64 s[26:27], 1
	s_mov_b64 s[24:25], 0
	v_mov_b32_e32 v59, 1.0
	v_mov_b32_e32 v6, v58
.LBB62_32:                              ; =>This Inner Loop Header: Depth=1
	s_flbit_i32_b32 s28, s27
	s_min_u32 s30, s28, 32
	s_lshl_b64 s[28:29], s[26:27], s30
	s_min_u32 s28, s28, 1
	s_or_b32 s28, s29, s28
	v_cvt_f32_u32_e32 v60, s28
	s_sub_i32 s30, 32, s30
	s_add_u32 s26, s26, 1
	s_addc_u32 s27, s27, 0
	v_ldexp_f32 v60, v60, s30
	v_cmp_eq_u64_e32 vcc, s[26:27], v[34:35]
	v_mul_f32_e32 v60, v59, v60
	s_or_b64 s[24:25], vcc, s[24:25]
	v_mov_b32_e32 v59, v6
	v_fma_f32 v6, v6, v58, -v60
	s_andn2_b64 exec, exec, s[24:25]
	s_cbranch_execnz .LBB62_32
; %bb.33:
	s_or_b64 exec, exec, s[24:25]
.LBB62_34:
	s_or_b64 exec, exec, s[22:23]
                                        ; implicit-def: $vgpr58
.LBB62_35:
	s_andn2_saveexec_b64 s[20:21], s[20:21]
; %bb.36:
	v_mov_b32_e32 v6, v58
; %bb.37:
	s_or_b64 exec, exec, s[20:21]
.LBB62_38:
	s_or_b64 exec, exec, s[14:15]
.LBB62_39:
	s_or_b64 exec, exec, s[10:11]
	v_trunc_f32_e32 v7, v7
	s_mov_b32 s10, 0x2f800000
	v_mul_f32_e64 v34, |v7|, s10
	v_floor_f32_e32 v34, v34
	s_mov_b32 s10, 0xcf800000
	v_cvt_u32_f32_e32 v35, v34
	v_fma_f32 v34, v34, s10, |v7|
	v_cvt_u32_f32_e32 v34, v34
	v_ashrrev_i32_e32 v7, 31, v7
	v_xor_b32_e32 v35, v35, v7
	v_xor_b32_e32 v34, v34, v7
	v_sub_co_u32_e32 v34, vcc, v34, v7
	v_subb_co_u32_e32 v35, vcc, v35, v7, vcc
	v_cmp_lt_i64_e32 vcc, -1, v[34:35]
	v_mov_b32_e32 v7, 0
	s_and_saveexec_b64 s[10:11], vcc
	s_cbranch_execz .LBB62_51
; %bb.40:
	v_cmp_lt_i64_e32 vcc, 0, v[34:35]
	v_mov_b32_e32 v7, 1.0
	s_and_saveexec_b64 s[14:15], vcc
	s_cbranch_execz .LBB62_50
; %bb.41:
	v_cvt_f32_f16_sdwa v57, v57 dst_sel:DWORD dst_unused:UNUSED_PAD src0_sel:WORD_1
	v_cmp_ne_u64_e32 vcc, 1, v[34:35]
	s_and_saveexec_b64 s[20:21], vcc
	s_xor_b64 s[20:21], exec, s[20:21]
	s_cbranch_execz .LBB62_47
; %bb.42:
	s_mov_b64 s[22:23], 0x81
	v_cmp_gt_u64_e32 vcc, s[22:23], v[34:35]
	v_mov_b32_e32 v7, 0x7fc00000
	s_and_saveexec_b64 s[22:23], vcc
	s_cbranch_execz .LBB62_46
; %bb.43:
	s_mov_b64 s[26:27], 1
	s_mov_b64 s[24:25], 0
	v_mov_b32_e32 v58, 1.0
	v_mov_b32_e32 v7, v57
.LBB62_44:                              ; =>This Inner Loop Header: Depth=1
	s_flbit_i32_b32 s28, s27
	s_min_u32 s30, s28, 32
	s_lshl_b64 s[28:29], s[26:27], s30
	s_min_u32 s28, s28, 1
	s_or_b32 s28, s29, s28
	v_cvt_f32_u32_e32 v59, s28
	s_sub_i32 s30, 32, s30
	s_add_u32 s26, s26, 1
	s_addc_u32 s27, s27, 0
	v_ldexp_f32 v59, v59, s30
	v_cmp_eq_u64_e32 vcc, s[26:27], v[34:35]
	v_mul_f32_e32 v59, v58, v59
	s_or_b64 s[24:25], vcc, s[24:25]
	v_mov_b32_e32 v58, v7
	v_fma_f32 v7, v7, v57, -v59
	s_andn2_b64 exec, exec, s[24:25]
	s_cbranch_execnz .LBB62_44
; %bb.45:
	s_or_b64 exec, exec, s[24:25]
.LBB62_46:
	s_or_b64 exec, exec, s[22:23]
                                        ; implicit-def: $vgpr57
.LBB62_47:
	s_andn2_saveexec_b64 s[20:21], s[20:21]
; %bb.48:
	v_mov_b32_e32 v7, v57
; %bb.49:
	s_or_b64 exec, exec, s[20:21]
.LBB62_50:
	s_or_b64 exec, exec, s[14:15]
.LBB62_51:
	s_or_b64 exec, exec, s[10:11]
	s_waitcnt vmcnt(13)
	v_trunc_f32_e32 v10, v10
	s_mov_b32 s10, 0x2f800000
	v_mul_f32_e64 v34, |v10|, s10
	v_floor_f32_e32 v34, v34
	s_mov_b32 s10, 0xcf800000
	v_cvt_u32_f32_e32 v35, v34
	v_fma_f32 v34, v34, s10, |v10|
	v_cvt_u32_f32_e32 v34, v34
	v_ashrrev_i32_e32 v10, 31, v10
	v_xor_b32_e32 v35, v35, v10
	v_xor_b32_e32 v34, v34, v10
	v_sub_co_u32_e32 v34, vcc, v34, v10
	v_subb_co_u32_e32 v35, vcc, v35, v10, vcc
	v_cmp_lt_i64_e32 vcc, -1, v[34:35]
	v_mov_b32_e32 v10, 0
	s_and_saveexec_b64 s[10:11], vcc
	s_cbranch_execz .LBB62_63
; %bb.52:
	v_cmp_lt_i64_e32 vcc, 0, v[34:35]
	v_mov_b32_e32 v10, 1.0
	s_and_saveexec_b64 s[14:15], vcc
	s_cbranch_execz .LBB62_62
; %bb.53:
	v_cvt_f32_f16_e32 v57, v56
	v_cmp_ne_u64_e32 vcc, 1, v[34:35]
                                        ; implicit-def: $vgpr10
	s_and_saveexec_b64 s[20:21], vcc
	s_xor_b64 s[20:21], exec, s[20:21]
	s_cbranch_execz .LBB62_59
; %bb.54:
	s_mov_b64 s[22:23], 0x81
	v_cmp_gt_u64_e32 vcc, s[22:23], v[34:35]
	v_mov_b32_e32 v10, 0x7fc00000
	s_and_saveexec_b64 s[22:23], vcc
	s_cbranch_execz .LBB62_58
; %bb.55:
	s_mov_b64 s[26:27], 1
	s_mov_b64 s[24:25], 0
	v_mov_b32_e32 v58, 1.0
	v_mov_b32_e32 v10, v57
.LBB62_56:                              ; =>This Inner Loop Header: Depth=1
	s_flbit_i32_b32 s28, s27
	s_min_u32 s30, s28, 32
	s_lshl_b64 s[28:29], s[26:27], s30
	s_min_u32 s28, s28, 1
	s_or_b32 s28, s29, s28
	v_cvt_f32_u32_e32 v59, s28
	s_sub_i32 s30, 32, s30
	s_add_u32 s26, s26, 1
	s_addc_u32 s27, s27, 0
	v_ldexp_f32 v59, v59, s30
	v_cmp_eq_u64_e32 vcc, s[26:27], v[34:35]
	v_mul_f32_e32 v59, v58, v59
	s_or_b64 s[24:25], vcc, s[24:25]
	v_mov_b32_e32 v58, v10
	v_fma_f32 v10, v10, v57, -v59
	s_andn2_b64 exec, exec, s[24:25]
	s_cbranch_execnz .LBB62_56
; %bb.57:
	s_or_b64 exec, exec, s[24:25]
.LBB62_58:
	s_or_b64 exec, exec, s[22:23]
                                        ; implicit-def: $vgpr57
.LBB62_59:
	s_andn2_saveexec_b64 s[20:21], s[20:21]
; %bb.60:
	v_mov_b32_e32 v10, v57
; %bb.61:
	s_or_b64 exec, exec, s[20:21]
.LBB62_62:
	s_or_b64 exec, exec, s[14:15]
.LBB62_63:
	s_or_b64 exec, exec, s[10:11]
	v_trunc_f32_e32 v11, v11
	s_mov_b32 s10, 0x2f800000
	v_mul_f32_e64 v34, |v11|, s10
	v_floor_f32_e32 v34, v34
	s_mov_b32 s10, 0xcf800000
	v_cvt_u32_f32_e32 v35, v34
	v_fma_f32 v34, v34, s10, |v11|
	v_cvt_u32_f32_e32 v34, v34
	v_ashrrev_i32_e32 v11, 31, v11
	v_xor_b32_e32 v35, v35, v11
	v_xor_b32_e32 v34, v34, v11
	v_sub_co_u32_e32 v34, vcc, v34, v11
	v_subb_co_u32_e32 v35, vcc, v35, v11, vcc
	v_cmp_lt_i64_e32 vcc, -1, v[34:35]
	v_mov_b32_e32 v11, 0
	s_and_saveexec_b64 s[10:11], vcc
	s_cbranch_execz .LBB62_75
; %bb.64:
	v_cmp_lt_i64_e32 vcc, 0, v[34:35]
	v_mov_b32_e32 v11, 1.0
	s_and_saveexec_b64 s[14:15], vcc
	s_cbranch_execz .LBB62_74
; %bb.65:
	v_cvt_f32_f16_sdwa v56, v56 dst_sel:DWORD dst_unused:UNUSED_PAD src0_sel:WORD_1
	v_cmp_ne_u64_e32 vcc, 1, v[34:35]
	s_and_saveexec_b64 s[20:21], vcc
	s_xor_b64 s[20:21], exec, s[20:21]
	s_cbranch_execz .LBB62_71
; %bb.66:
	s_mov_b64 s[22:23], 0x81
	v_cmp_gt_u64_e32 vcc, s[22:23], v[34:35]
	v_mov_b32_e32 v11, 0x7fc00000
	s_and_saveexec_b64 s[22:23], vcc
	s_cbranch_execz .LBB62_70
; %bb.67:
	s_mov_b64 s[26:27], 1
	s_mov_b64 s[24:25], 0
	v_mov_b32_e32 v57, 1.0
	v_mov_b32_e32 v11, v56
.LBB62_68:                              ; =>This Inner Loop Header: Depth=1
	s_flbit_i32_b32 s28, s27
	s_min_u32 s30, s28, 32
	s_lshl_b64 s[28:29], s[26:27], s30
	s_min_u32 s28, s28, 1
	s_or_b32 s28, s29, s28
	v_cvt_f32_u32_e32 v58, s28
	s_sub_i32 s30, 32, s30
	s_add_u32 s26, s26, 1
	s_addc_u32 s27, s27, 0
	v_ldexp_f32 v58, v58, s30
	v_cmp_eq_u64_e32 vcc, s[26:27], v[34:35]
	v_mul_f32_e32 v58, v57, v58
	s_or_b64 s[24:25], vcc, s[24:25]
	v_mov_b32_e32 v57, v11
	v_fma_f32 v11, v11, v56, -v58
	s_andn2_b64 exec, exec, s[24:25]
	s_cbranch_execnz .LBB62_68
; %bb.69:
	s_or_b64 exec, exec, s[24:25]
.LBB62_70:
	s_or_b64 exec, exec, s[22:23]
                                        ; implicit-def: $vgpr56
.LBB62_71:
	s_andn2_saveexec_b64 s[20:21], s[20:21]
; %bb.72:
	v_mov_b32_e32 v11, v56
; %bb.73:
	s_or_b64 exec, exec, s[20:21]
.LBB62_74:
	s_or_b64 exec, exec, s[14:15]
.LBB62_75:
	s_or_b64 exec, exec, s[10:11]
	s_waitcnt vmcnt(12)
	v_trunc_f32_e32 v14, v14
	s_mov_b32 s10, 0x2f800000
	v_mul_f32_e64 v34, |v14|, s10
	v_floor_f32_e32 v34, v34
	s_mov_b32 s10, 0xcf800000
	v_cvt_u32_f32_e32 v35, v34
	v_fma_f32 v34, v34, s10, |v14|
	v_cvt_u32_f32_e32 v34, v34
	v_ashrrev_i32_e32 v14, 31, v14
	v_xor_b32_e32 v35, v35, v14
	v_xor_b32_e32 v34, v34, v14
	v_sub_co_u32_e32 v34, vcc, v34, v14
	v_subb_co_u32_e32 v35, vcc, v35, v14, vcc
	v_cmp_lt_i64_e32 vcc, -1, v[34:35]
	v_mov_b32_e32 v14, 0
	s_and_saveexec_b64 s[10:11], vcc
	s_cbranch_execz .LBB62_87
; %bb.76:
	v_cmp_lt_i64_e32 vcc, 0, v[34:35]
	v_mov_b32_e32 v14, 1.0
	s_and_saveexec_b64 s[14:15], vcc
	s_cbranch_execz .LBB62_86
; %bb.77:
	v_cvt_f32_f16_e32 v56, v55
	v_cmp_ne_u64_e32 vcc, 1, v[34:35]
                                        ; implicit-def: $vgpr14
	s_and_saveexec_b64 s[20:21], vcc
	s_xor_b64 s[20:21], exec, s[20:21]
	s_cbranch_execz .LBB62_83
; %bb.78:
	s_mov_b64 s[22:23], 0x81
	v_cmp_gt_u64_e32 vcc, s[22:23], v[34:35]
	v_mov_b32_e32 v14, 0x7fc00000
	s_and_saveexec_b64 s[22:23], vcc
	s_cbranch_execz .LBB62_82
; %bb.79:
	s_mov_b64 s[26:27], 1
	s_mov_b64 s[24:25], 0
	v_mov_b32_e32 v57, 1.0
	v_mov_b32_e32 v14, v56
.LBB62_80:                              ; =>This Inner Loop Header: Depth=1
	s_flbit_i32_b32 s28, s27
	s_min_u32 s30, s28, 32
	s_lshl_b64 s[28:29], s[26:27], s30
	s_min_u32 s28, s28, 1
	s_or_b32 s28, s29, s28
	v_cvt_f32_u32_e32 v58, s28
	s_sub_i32 s30, 32, s30
	s_add_u32 s26, s26, 1
	s_addc_u32 s27, s27, 0
	v_ldexp_f32 v58, v58, s30
	v_cmp_eq_u64_e32 vcc, s[26:27], v[34:35]
	v_mul_f32_e32 v58, v57, v58
	s_or_b64 s[24:25], vcc, s[24:25]
	v_mov_b32_e32 v57, v14
	v_fma_f32 v14, v14, v56, -v58
	s_andn2_b64 exec, exec, s[24:25]
	s_cbranch_execnz .LBB62_80
; %bb.81:
	s_or_b64 exec, exec, s[24:25]
.LBB62_82:
	s_or_b64 exec, exec, s[22:23]
                                        ; implicit-def: $vgpr56
.LBB62_83:
	s_andn2_saveexec_b64 s[20:21], s[20:21]
; %bb.84:
	v_mov_b32_e32 v14, v56
; %bb.85:
	s_or_b64 exec, exec, s[20:21]
.LBB62_86:
	s_or_b64 exec, exec, s[14:15]
.LBB62_87:
	s_or_b64 exec, exec, s[10:11]
	v_trunc_f32_e32 v15, v15
	s_mov_b32 s10, 0x2f800000
	v_mul_f32_e64 v34, |v15|, s10
	v_floor_f32_e32 v34, v34
	s_mov_b32 s10, 0xcf800000
	v_cvt_u32_f32_e32 v35, v34
	v_fma_f32 v34, v34, s10, |v15|
	v_cvt_u32_f32_e32 v34, v34
	v_ashrrev_i32_e32 v15, 31, v15
	v_xor_b32_e32 v35, v35, v15
	v_xor_b32_e32 v34, v34, v15
	v_sub_co_u32_e32 v34, vcc, v34, v15
	v_subb_co_u32_e32 v35, vcc, v35, v15, vcc
	v_cmp_lt_i64_e32 vcc, -1, v[34:35]
	v_mov_b32_e32 v15, 0
	s_and_saveexec_b64 s[10:11], vcc
	s_cbranch_execz .LBB62_99
; %bb.88:
	v_cmp_lt_i64_e32 vcc, 0, v[34:35]
	v_mov_b32_e32 v15, 1.0
	s_and_saveexec_b64 s[14:15], vcc
	s_cbranch_execz .LBB62_98
; %bb.89:
	v_cvt_f32_f16_sdwa v55, v55 dst_sel:DWORD dst_unused:UNUSED_PAD src0_sel:WORD_1
	v_cmp_ne_u64_e32 vcc, 1, v[34:35]
	s_and_saveexec_b64 s[20:21], vcc
	s_xor_b64 s[20:21], exec, s[20:21]
	s_cbranch_execz .LBB62_95
; %bb.90:
	s_mov_b64 s[22:23], 0x81
	v_cmp_gt_u64_e32 vcc, s[22:23], v[34:35]
	v_mov_b32_e32 v15, 0x7fc00000
	s_and_saveexec_b64 s[22:23], vcc
	s_cbranch_execz .LBB62_94
; %bb.91:
	s_mov_b64 s[26:27], 1
	s_mov_b64 s[24:25], 0
	v_mov_b32_e32 v56, 1.0
	v_mov_b32_e32 v15, v55
.LBB62_92:                              ; =>This Inner Loop Header: Depth=1
	s_flbit_i32_b32 s28, s27
	s_min_u32 s30, s28, 32
	s_lshl_b64 s[28:29], s[26:27], s30
	s_min_u32 s28, s28, 1
	s_or_b32 s28, s29, s28
	v_cvt_f32_u32_e32 v57, s28
	s_sub_i32 s30, 32, s30
	s_add_u32 s26, s26, 1
	s_addc_u32 s27, s27, 0
	v_ldexp_f32 v57, v57, s30
	v_cmp_eq_u64_e32 vcc, s[26:27], v[34:35]
	v_mul_f32_e32 v57, v56, v57
	s_or_b64 s[24:25], vcc, s[24:25]
	v_mov_b32_e32 v56, v15
	v_fma_f32 v15, v15, v55, -v57
	s_andn2_b64 exec, exec, s[24:25]
	s_cbranch_execnz .LBB62_92
; %bb.93:
	s_or_b64 exec, exec, s[24:25]
.LBB62_94:
	s_or_b64 exec, exec, s[22:23]
                                        ; implicit-def: $vgpr55
.LBB62_95:
	s_andn2_saveexec_b64 s[20:21], s[20:21]
; %bb.96:
	v_mov_b32_e32 v15, v55
; %bb.97:
	s_or_b64 exec, exec, s[20:21]
.LBB62_98:
	s_or_b64 exec, exec, s[14:15]
.LBB62_99:
	s_or_b64 exec, exec, s[10:11]
	s_waitcnt vmcnt(11)
	v_trunc_f32_e32 v18, v18
	s_mov_b32 s10, 0x2f800000
	v_mul_f32_e64 v34, |v18|, s10
	v_floor_f32_e32 v34, v34
	s_mov_b32 s10, 0xcf800000
	v_cvt_u32_f32_e32 v35, v34
	v_fma_f32 v34, v34, s10, |v18|
	v_cvt_u32_f32_e32 v34, v34
	v_ashrrev_i32_e32 v18, 31, v18
	v_xor_b32_e32 v35, v35, v18
	v_xor_b32_e32 v34, v34, v18
	v_sub_co_u32_e32 v34, vcc, v34, v18
	v_subb_co_u32_e32 v35, vcc, v35, v18, vcc
	v_cmp_lt_i64_e32 vcc, -1, v[34:35]
	v_mov_b32_e32 v18, 0
	s_and_saveexec_b64 s[10:11], vcc
	s_cbranch_execz .LBB62_111
; %bb.100:
	v_cmp_lt_i64_e32 vcc, 0, v[34:35]
	v_mov_b32_e32 v18, 1.0
	s_and_saveexec_b64 s[14:15], vcc
	s_cbranch_execz .LBB62_110
; %bb.101:
	v_cvt_f32_f16_e32 v55, v54
	v_cmp_ne_u64_e32 vcc, 1, v[34:35]
                                        ; implicit-def: $vgpr18
	s_and_saveexec_b64 s[20:21], vcc
	s_xor_b64 s[20:21], exec, s[20:21]
	s_cbranch_execz .LBB62_107
; %bb.102:
	s_mov_b64 s[22:23], 0x81
	v_cmp_gt_u64_e32 vcc, s[22:23], v[34:35]
	v_mov_b32_e32 v18, 0x7fc00000
	s_and_saveexec_b64 s[22:23], vcc
	s_cbranch_execz .LBB62_106
; %bb.103:
	s_mov_b64 s[26:27], 1
	s_mov_b64 s[24:25], 0
	v_mov_b32_e32 v56, 1.0
	v_mov_b32_e32 v18, v55
.LBB62_104:                             ; =>This Inner Loop Header: Depth=1
	s_flbit_i32_b32 s28, s27
	s_min_u32 s30, s28, 32
	s_lshl_b64 s[28:29], s[26:27], s30
	s_min_u32 s28, s28, 1
	s_or_b32 s28, s29, s28
	v_cvt_f32_u32_e32 v57, s28
	s_sub_i32 s30, 32, s30
	s_add_u32 s26, s26, 1
	s_addc_u32 s27, s27, 0
	v_ldexp_f32 v57, v57, s30
	v_cmp_eq_u64_e32 vcc, s[26:27], v[34:35]
	v_mul_f32_e32 v57, v56, v57
	s_or_b64 s[24:25], vcc, s[24:25]
	v_mov_b32_e32 v56, v18
	v_fma_f32 v18, v18, v55, -v57
	s_andn2_b64 exec, exec, s[24:25]
	s_cbranch_execnz .LBB62_104
; %bb.105:
	s_or_b64 exec, exec, s[24:25]
.LBB62_106:
	s_or_b64 exec, exec, s[22:23]
                                        ; implicit-def: $vgpr55
.LBB62_107:
	s_andn2_saveexec_b64 s[20:21], s[20:21]
; %bb.108:
	v_mov_b32_e32 v18, v55
; %bb.109:
	s_or_b64 exec, exec, s[20:21]
.LBB62_110:
	s_or_b64 exec, exec, s[14:15]
.LBB62_111:
	s_or_b64 exec, exec, s[10:11]
	v_trunc_f32_e32 v19, v19
	s_mov_b32 s10, 0x2f800000
	v_mul_f32_e64 v34, |v19|, s10
	v_floor_f32_e32 v34, v34
	s_mov_b32 s10, 0xcf800000
	v_cvt_u32_f32_e32 v35, v34
	v_fma_f32 v34, v34, s10, |v19|
	v_cvt_u32_f32_e32 v34, v34
	v_ashrrev_i32_e32 v19, 31, v19
	v_xor_b32_e32 v35, v35, v19
	v_xor_b32_e32 v34, v34, v19
	v_sub_co_u32_e32 v34, vcc, v34, v19
	v_subb_co_u32_e32 v35, vcc, v35, v19, vcc
	v_cmp_lt_i64_e32 vcc, -1, v[34:35]
	v_mov_b32_e32 v19, 0
	s_and_saveexec_b64 s[10:11], vcc
	s_cbranch_execz .LBB62_123
; %bb.112:
	v_cmp_lt_i64_e32 vcc, 0, v[34:35]
	v_mov_b32_e32 v19, 1.0
	s_and_saveexec_b64 s[14:15], vcc
	s_cbranch_execz .LBB62_122
; %bb.113:
	v_cvt_f32_f16_sdwa v54, v54 dst_sel:DWORD dst_unused:UNUSED_PAD src0_sel:WORD_1
	v_cmp_ne_u64_e32 vcc, 1, v[34:35]
	s_and_saveexec_b64 s[20:21], vcc
	s_xor_b64 s[20:21], exec, s[20:21]
	s_cbranch_execz .LBB62_119
; %bb.114:
	s_mov_b64 s[22:23], 0x81
	v_cmp_gt_u64_e32 vcc, s[22:23], v[34:35]
	v_mov_b32_e32 v19, 0x7fc00000
	s_and_saveexec_b64 s[22:23], vcc
	s_cbranch_execz .LBB62_118
; %bb.115:
	s_mov_b64 s[26:27], 1
	s_mov_b64 s[24:25], 0
	v_mov_b32_e32 v55, 1.0
	v_mov_b32_e32 v19, v54
.LBB62_116:                             ; =>This Inner Loop Header: Depth=1
	s_flbit_i32_b32 s28, s27
	s_min_u32 s30, s28, 32
	s_lshl_b64 s[28:29], s[26:27], s30
	s_min_u32 s28, s28, 1
	s_or_b32 s28, s29, s28
	v_cvt_f32_u32_e32 v56, s28
	s_sub_i32 s30, 32, s30
	s_add_u32 s26, s26, 1
	s_addc_u32 s27, s27, 0
	v_ldexp_f32 v56, v56, s30
	v_cmp_eq_u64_e32 vcc, s[26:27], v[34:35]
	v_mul_f32_e32 v56, v55, v56
	s_or_b64 s[24:25], vcc, s[24:25]
	v_mov_b32_e32 v55, v19
	v_fma_f32 v19, v19, v54, -v56
	s_andn2_b64 exec, exec, s[24:25]
	s_cbranch_execnz .LBB62_116
; %bb.117:
	s_or_b64 exec, exec, s[24:25]
.LBB62_118:
	s_or_b64 exec, exec, s[22:23]
                                        ; implicit-def: $vgpr54
.LBB62_119:
	s_andn2_saveexec_b64 s[20:21], s[20:21]
; %bb.120:
	v_mov_b32_e32 v19, v54
; %bb.121:
	s_or_b64 exec, exec, s[20:21]
.LBB62_122:
	s_or_b64 exec, exec, s[14:15]
.LBB62_123:
	s_or_b64 exec, exec, s[10:11]
	s_waitcnt vmcnt(10)
	v_trunc_f32_e32 v22, v22
	s_mov_b32 s10, 0x2f800000
	v_mul_f32_e64 v34, |v22|, s10
	v_floor_f32_e32 v34, v34
	s_mov_b32 s10, 0xcf800000
	v_cvt_u32_f32_e32 v35, v34
	v_fma_f32 v34, v34, s10, |v22|
	v_cvt_u32_f32_e32 v34, v34
	v_ashrrev_i32_e32 v22, 31, v22
	v_xor_b32_e32 v35, v35, v22
	v_xor_b32_e32 v34, v34, v22
	v_sub_co_u32_e32 v34, vcc, v34, v22
	v_subb_co_u32_e32 v35, vcc, v35, v22, vcc
	v_cmp_lt_i64_e32 vcc, -1, v[34:35]
	v_mov_b32_e32 v22, 0
	s_and_saveexec_b64 s[10:11], vcc
	s_cbranch_execz .LBB62_135
; %bb.124:
	v_cmp_lt_i64_e32 vcc, 0, v[34:35]
	v_mov_b32_e32 v22, 1.0
	s_and_saveexec_b64 s[14:15], vcc
	s_cbranch_execz .LBB62_134
; %bb.125:
	v_cvt_f32_f16_e32 v54, v53
	v_cmp_ne_u64_e32 vcc, 1, v[34:35]
                                        ; implicit-def: $vgpr22
	s_and_saveexec_b64 s[20:21], vcc
	s_xor_b64 s[20:21], exec, s[20:21]
	s_cbranch_execz .LBB62_131
; %bb.126:
	s_mov_b64 s[22:23], 0x81
	v_cmp_gt_u64_e32 vcc, s[22:23], v[34:35]
	v_mov_b32_e32 v22, 0x7fc00000
	s_and_saveexec_b64 s[22:23], vcc
	s_cbranch_execz .LBB62_130
; %bb.127:
	s_mov_b64 s[26:27], 1
	s_mov_b64 s[24:25], 0
	v_mov_b32_e32 v55, 1.0
	v_mov_b32_e32 v22, v54
.LBB62_128:                             ; =>This Inner Loop Header: Depth=1
	s_flbit_i32_b32 s28, s27
	s_min_u32 s30, s28, 32
	s_lshl_b64 s[28:29], s[26:27], s30
	s_min_u32 s28, s28, 1
	s_or_b32 s28, s29, s28
	v_cvt_f32_u32_e32 v56, s28
	s_sub_i32 s30, 32, s30
	s_add_u32 s26, s26, 1
	s_addc_u32 s27, s27, 0
	v_ldexp_f32 v56, v56, s30
	v_cmp_eq_u64_e32 vcc, s[26:27], v[34:35]
	v_mul_f32_e32 v56, v55, v56
	s_or_b64 s[24:25], vcc, s[24:25]
	v_mov_b32_e32 v55, v22
	v_fma_f32 v22, v22, v54, -v56
	s_andn2_b64 exec, exec, s[24:25]
	s_cbranch_execnz .LBB62_128
; %bb.129:
	s_or_b64 exec, exec, s[24:25]
.LBB62_130:
	s_or_b64 exec, exec, s[22:23]
                                        ; implicit-def: $vgpr54
.LBB62_131:
	s_andn2_saveexec_b64 s[20:21], s[20:21]
; %bb.132:
	v_mov_b32_e32 v22, v54
; %bb.133:
	s_or_b64 exec, exec, s[20:21]
.LBB62_134:
	s_or_b64 exec, exec, s[14:15]
.LBB62_135:
	s_or_b64 exec, exec, s[10:11]
	v_trunc_f32_e32 v23, v23
	s_mov_b32 s10, 0x2f800000
	v_mul_f32_e64 v34, |v23|, s10
	v_floor_f32_e32 v34, v34
	s_mov_b32 s10, 0xcf800000
	v_cvt_u32_f32_e32 v35, v34
	v_fma_f32 v34, v34, s10, |v23|
	v_cvt_u32_f32_e32 v34, v34
	v_ashrrev_i32_e32 v23, 31, v23
	v_xor_b32_e32 v35, v35, v23
	v_xor_b32_e32 v34, v34, v23
	v_sub_co_u32_e32 v34, vcc, v34, v23
	v_subb_co_u32_e32 v35, vcc, v35, v23, vcc
	v_cmp_lt_i64_e32 vcc, -1, v[34:35]
	v_mov_b32_e32 v23, 0
	s_and_saveexec_b64 s[10:11], vcc
	s_cbranch_execz .LBB62_147
; %bb.136:
	v_cmp_lt_i64_e32 vcc, 0, v[34:35]
	v_mov_b32_e32 v23, 1.0
	s_and_saveexec_b64 s[14:15], vcc
	s_cbranch_execz .LBB62_146
; %bb.137:
	v_cvt_f32_f16_sdwa v53, v53 dst_sel:DWORD dst_unused:UNUSED_PAD src0_sel:WORD_1
	v_cmp_ne_u64_e32 vcc, 1, v[34:35]
	s_and_saveexec_b64 s[20:21], vcc
	s_xor_b64 s[20:21], exec, s[20:21]
	s_cbranch_execz .LBB62_143
; %bb.138:
	s_mov_b64 s[22:23], 0x81
	v_cmp_gt_u64_e32 vcc, s[22:23], v[34:35]
	v_mov_b32_e32 v23, 0x7fc00000
	s_and_saveexec_b64 s[22:23], vcc
	s_cbranch_execz .LBB62_142
; %bb.139:
	s_mov_b64 s[26:27], 1
	s_mov_b64 s[24:25], 0
	v_mov_b32_e32 v54, 1.0
	v_mov_b32_e32 v23, v53
.LBB62_140:                             ; =>This Inner Loop Header: Depth=1
	s_flbit_i32_b32 s28, s27
	s_min_u32 s30, s28, 32
	s_lshl_b64 s[28:29], s[26:27], s30
	s_min_u32 s28, s28, 1
	s_or_b32 s28, s29, s28
	v_cvt_f32_u32_e32 v55, s28
	s_sub_i32 s30, 32, s30
	s_add_u32 s26, s26, 1
	s_addc_u32 s27, s27, 0
	v_ldexp_f32 v55, v55, s30
	v_cmp_eq_u64_e32 vcc, s[26:27], v[34:35]
	v_mul_f32_e32 v55, v54, v55
	s_or_b64 s[24:25], vcc, s[24:25]
	v_mov_b32_e32 v54, v23
	v_fma_f32 v23, v23, v53, -v55
	s_andn2_b64 exec, exec, s[24:25]
	s_cbranch_execnz .LBB62_140
; %bb.141:
	s_or_b64 exec, exec, s[24:25]
.LBB62_142:
	s_or_b64 exec, exec, s[22:23]
                                        ; implicit-def: $vgpr53
.LBB62_143:
	s_andn2_saveexec_b64 s[20:21], s[20:21]
; %bb.144:
	v_mov_b32_e32 v23, v53
; %bb.145:
	s_or_b64 exec, exec, s[20:21]
.LBB62_146:
	s_or_b64 exec, exec, s[14:15]
.LBB62_147:
	s_or_b64 exec, exec, s[10:11]
	s_waitcnt vmcnt(9)
	v_trunc_f32_e32 v26, v26
	s_mov_b32 s10, 0x2f800000
	v_mul_f32_e64 v34, |v26|, s10
	v_floor_f32_e32 v34, v34
	s_mov_b32 s10, 0xcf800000
	v_cvt_u32_f32_e32 v35, v34
	v_fma_f32 v34, v34, s10, |v26|
	v_cvt_u32_f32_e32 v34, v34
	v_ashrrev_i32_e32 v26, 31, v26
	v_xor_b32_e32 v35, v35, v26
	v_xor_b32_e32 v34, v34, v26
	v_sub_co_u32_e32 v34, vcc, v34, v26
	v_subb_co_u32_e32 v35, vcc, v35, v26, vcc
	v_cmp_lt_i64_e32 vcc, -1, v[34:35]
	v_mov_b32_e32 v26, 0
	s_and_saveexec_b64 s[10:11], vcc
	s_cbranch_execz .LBB62_159
; %bb.148:
	v_cmp_lt_i64_e32 vcc, 0, v[34:35]
	v_mov_b32_e32 v26, 1.0
	s_and_saveexec_b64 s[14:15], vcc
	s_cbranch_execz .LBB62_158
; %bb.149:
	v_cvt_f32_f16_e32 v53, v52
	v_cmp_ne_u64_e32 vcc, 1, v[34:35]
                                        ; implicit-def: $vgpr26
	s_and_saveexec_b64 s[20:21], vcc
	s_xor_b64 s[20:21], exec, s[20:21]
	s_cbranch_execz .LBB62_155
; %bb.150:
	s_mov_b64 s[22:23], 0x81
	v_cmp_gt_u64_e32 vcc, s[22:23], v[34:35]
	v_mov_b32_e32 v26, 0x7fc00000
	s_and_saveexec_b64 s[22:23], vcc
	s_cbranch_execz .LBB62_154
; %bb.151:
	s_mov_b64 s[26:27], 1
	s_mov_b64 s[24:25], 0
	v_mov_b32_e32 v54, 1.0
	v_mov_b32_e32 v26, v53
.LBB62_152:                             ; =>This Inner Loop Header: Depth=1
	s_flbit_i32_b32 s28, s27
	s_min_u32 s30, s28, 32
	s_lshl_b64 s[28:29], s[26:27], s30
	s_min_u32 s28, s28, 1
	s_or_b32 s28, s29, s28
	v_cvt_f32_u32_e32 v55, s28
	s_sub_i32 s30, 32, s30
	s_add_u32 s26, s26, 1
	s_addc_u32 s27, s27, 0
	v_ldexp_f32 v55, v55, s30
	v_cmp_eq_u64_e32 vcc, s[26:27], v[34:35]
	v_mul_f32_e32 v55, v54, v55
	s_or_b64 s[24:25], vcc, s[24:25]
	v_mov_b32_e32 v54, v26
	v_fma_f32 v26, v26, v53, -v55
	s_andn2_b64 exec, exec, s[24:25]
	s_cbranch_execnz .LBB62_152
; %bb.153:
	s_or_b64 exec, exec, s[24:25]
.LBB62_154:
	s_or_b64 exec, exec, s[22:23]
                                        ; implicit-def: $vgpr53
.LBB62_155:
	s_andn2_saveexec_b64 s[20:21], s[20:21]
; %bb.156:
	v_mov_b32_e32 v26, v53
; %bb.157:
	s_or_b64 exec, exec, s[20:21]
.LBB62_158:
	s_or_b64 exec, exec, s[14:15]
.LBB62_159:
	s_or_b64 exec, exec, s[10:11]
	v_trunc_f32_e32 v27, v27
	s_mov_b32 s10, 0x2f800000
	v_mul_f32_e64 v34, |v27|, s10
	v_floor_f32_e32 v34, v34
	s_mov_b32 s10, 0xcf800000
	v_cvt_u32_f32_e32 v35, v34
	v_fma_f32 v34, v34, s10, |v27|
	v_cvt_u32_f32_e32 v34, v34
	v_ashrrev_i32_e32 v27, 31, v27
	v_xor_b32_e32 v35, v35, v27
	v_xor_b32_e32 v34, v34, v27
	v_sub_co_u32_e32 v34, vcc, v34, v27
	v_subb_co_u32_e32 v35, vcc, v35, v27, vcc
	v_cmp_lt_i64_e32 vcc, -1, v[34:35]
	v_mov_b32_e32 v27, 0
	s_and_saveexec_b64 s[10:11], vcc
	s_cbranch_execz .LBB62_171
; %bb.160:
	v_cmp_lt_i64_e32 vcc, 0, v[34:35]
	v_mov_b32_e32 v27, 1.0
	s_and_saveexec_b64 s[14:15], vcc
	s_cbranch_execz .LBB62_170
; %bb.161:
	v_cvt_f32_f16_sdwa v52, v52 dst_sel:DWORD dst_unused:UNUSED_PAD src0_sel:WORD_1
	v_cmp_ne_u64_e32 vcc, 1, v[34:35]
	s_and_saveexec_b64 s[20:21], vcc
	s_xor_b64 s[20:21], exec, s[20:21]
	s_cbranch_execz .LBB62_167
; %bb.162:
	s_mov_b64 s[22:23], 0x81
	v_cmp_gt_u64_e32 vcc, s[22:23], v[34:35]
	v_mov_b32_e32 v27, 0x7fc00000
	s_and_saveexec_b64 s[22:23], vcc
	s_cbranch_execz .LBB62_166
; %bb.163:
	s_mov_b64 s[26:27], 1
	s_mov_b64 s[24:25], 0
	v_mov_b32_e32 v53, 1.0
	v_mov_b32_e32 v27, v52
.LBB62_164:                             ; =>This Inner Loop Header: Depth=1
	s_flbit_i32_b32 s28, s27
	s_min_u32 s30, s28, 32
	s_lshl_b64 s[28:29], s[26:27], s30
	s_min_u32 s28, s28, 1
	s_or_b32 s28, s29, s28
	v_cvt_f32_u32_e32 v54, s28
	s_sub_i32 s30, 32, s30
	s_add_u32 s26, s26, 1
	s_addc_u32 s27, s27, 0
	v_ldexp_f32 v54, v54, s30
	v_cmp_eq_u64_e32 vcc, s[26:27], v[34:35]
	v_mul_f32_e32 v54, v53, v54
	s_or_b64 s[24:25], vcc, s[24:25]
	v_mov_b32_e32 v53, v27
	v_fma_f32 v27, v27, v52, -v54
	s_andn2_b64 exec, exec, s[24:25]
	s_cbranch_execnz .LBB62_164
; %bb.165:
	s_or_b64 exec, exec, s[24:25]
.LBB62_166:
	s_or_b64 exec, exec, s[22:23]
                                        ; implicit-def: $vgpr52
.LBB62_167:
	s_andn2_saveexec_b64 s[20:21], s[20:21]
; %bb.168:
	v_mov_b32_e32 v27, v52
; %bb.169:
	s_or_b64 exec, exec, s[20:21]
.LBB62_170:
	s_or_b64 exec, exec, s[14:15]
.LBB62_171:
	s_or_b64 exec, exec, s[10:11]
	s_waitcnt vmcnt(8)
	v_trunc_f32_e32 v30, v30
	s_mov_b32 s10, 0x2f800000
	v_mul_f32_e64 v34, |v30|, s10
	v_floor_f32_e32 v34, v34
	s_mov_b32 s10, 0xcf800000
	v_cvt_u32_f32_e32 v35, v34
	v_fma_f32 v34, v34, s10, |v30|
	v_cvt_u32_f32_e32 v34, v34
	v_ashrrev_i32_e32 v30, 31, v30
	v_xor_b32_e32 v35, v35, v30
	v_xor_b32_e32 v34, v34, v30
	v_sub_co_u32_e32 v34, vcc, v34, v30
	v_subb_co_u32_e32 v35, vcc, v35, v30, vcc
	v_cmp_lt_i64_e32 vcc, -1, v[34:35]
	v_mov_b32_e32 v30, 0
	s_and_saveexec_b64 s[10:11], vcc
	s_cbranch_execz .LBB62_183
; %bb.172:
	v_cmp_lt_i64_e32 vcc, 0, v[34:35]
	v_mov_b32_e32 v30, 1.0
	s_and_saveexec_b64 s[14:15], vcc
	s_cbranch_execz .LBB62_182
; %bb.173:
	v_cvt_f32_f16_e32 v52, v51
	v_cmp_ne_u64_e32 vcc, 1, v[34:35]
                                        ; implicit-def: $vgpr30
	s_and_saveexec_b64 s[20:21], vcc
	s_xor_b64 s[20:21], exec, s[20:21]
	s_cbranch_execz .LBB62_179
; %bb.174:
	s_mov_b64 s[22:23], 0x81
	v_cmp_gt_u64_e32 vcc, s[22:23], v[34:35]
	v_mov_b32_e32 v30, 0x7fc00000
	s_and_saveexec_b64 s[22:23], vcc
	s_cbranch_execz .LBB62_178
; %bb.175:
	s_mov_b64 s[26:27], 1
	s_mov_b64 s[24:25], 0
	v_mov_b32_e32 v53, 1.0
	v_mov_b32_e32 v30, v52
.LBB62_176:                             ; =>This Inner Loop Header: Depth=1
	s_flbit_i32_b32 s28, s27
	s_min_u32 s30, s28, 32
	s_lshl_b64 s[28:29], s[26:27], s30
	s_min_u32 s28, s28, 1
	s_or_b32 s28, s29, s28
	v_cvt_f32_u32_e32 v54, s28
	s_sub_i32 s30, 32, s30
	s_add_u32 s26, s26, 1
	s_addc_u32 s27, s27, 0
	v_ldexp_f32 v54, v54, s30
	v_cmp_eq_u64_e32 vcc, s[26:27], v[34:35]
	v_mul_f32_e32 v54, v53, v54
	s_or_b64 s[24:25], vcc, s[24:25]
	v_mov_b32_e32 v53, v30
	v_fma_f32 v30, v30, v52, -v54
	s_andn2_b64 exec, exec, s[24:25]
	s_cbranch_execnz .LBB62_176
; %bb.177:
	s_or_b64 exec, exec, s[24:25]
.LBB62_178:
	s_or_b64 exec, exec, s[22:23]
                                        ; implicit-def: $vgpr52
.LBB62_179:
	s_andn2_saveexec_b64 s[20:21], s[20:21]
; %bb.180:
	v_mov_b32_e32 v30, v52
; %bb.181:
	s_or_b64 exec, exec, s[20:21]
.LBB62_182:
	s_or_b64 exec, exec, s[14:15]
.LBB62_183:
	s_or_b64 exec, exec, s[10:11]
	v_trunc_f32_e32 v31, v31
	s_mov_b32 s10, 0x2f800000
	v_mul_f32_e64 v34, |v31|, s10
	v_floor_f32_e32 v34, v34
	s_mov_b32 s10, 0xcf800000
	v_cvt_u32_f32_e32 v35, v34
	v_fma_f32 v34, v34, s10, |v31|
	v_cvt_u32_f32_e32 v34, v34
	v_ashrrev_i32_e32 v31, 31, v31
	v_xor_b32_e32 v35, v35, v31
	v_xor_b32_e32 v34, v34, v31
	v_sub_co_u32_e32 v34, vcc, v34, v31
	v_subb_co_u32_e32 v35, vcc, v35, v31, vcc
	v_cmp_lt_i64_e32 vcc, -1, v[34:35]
	v_mov_b32_e32 v31, 0
	s_and_saveexec_b64 s[10:11], vcc
	s_cbranch_execz .LBB62_195
; %bb.184:
	v_cmp_lt_i64_e32 vcc, 0, v[34:35]
	v_mov_b32_e32 v31, 1.0
	s_and_saveexec_b64 s[14:15], vcc
	s_cbranch_execz .LBB62_194
; %bb.185:
	v_cvt_f32_f16_sdwa v51, v51 dst_sel:DWORD dst_unused:UNUSED_PAD src0_sel:WORD_1
	v_cmp_ne_u64_e32 vcc, 1, v[34:35]
	s_and_saveexec_b64 s[20:21], vcc
	s_xor_b64 s[20:21], exec, s[20:21]
	s_cbranch_execz .LBB62_191
; %bb.186:
	s_mov_b64 s[22:23], 0x81
	v_cmp_gt_u64_e32 vcc, s[22:23], v[34:35]
	v_mov_b32_e32 v31, 0x7fc00000
	s_and_saveexec_b64 s[22:23], vcc
	s_cbranch_execz .LBB62_190
; %bb.187:
	s_mov_b64 s[26:27], 1
	s_mov_b64 s[24:25], 0
	v_mov_b32_e32 v52, 1.0
	v_mov_b32_e32 v31, v51
.LBB62_188:                             ; =>This Inner Loop Header: Depth=1
	s_flbit_i32_b32 s28, s27
	s_min_u32 s30, s28, 32
	s_lshl_b64 s[28:29], s[26:27], s30
	s_min_u32 s28, s28, 1
	s_or_b32 s28, s29, s28
	v_cvt_f32_u32_e32 v53, s28
	s_sub_i32 s30, 32, s30
	s_add_u32 s26, s26, 1
	s_addc_u32 s27, s27, 0
	v_ldexp_f32 v53, v53, s30
	v_cmp_eq_u64_e32 vcc, s[26:27], v[34:35]
	v_mul_f32_e32 v53, v52, v53
	s_or_b64 s[24:25], vcc, s[24:25]
	v_mov_b32_e32 v52, v31
	v_fma_f32 v31, v31, v51, -v53
	s_andn2_b64 exec, exec, s[24:25]
	s_cbranch_execnz .LBB62_188
; %bb.189:
	s_or_b64 exec, exec, s[24:25]
.LBB62_190:
	s_or_b64 exec, exec, s[22:23]
                                        ; implicit-def: $vgpr51
.LBB62_191:
	s_andn2_saveexec_b64 s[20:21], s[20:21]
; %bb.192:
	v_mov_b32_e32 v31, v51
; %bb.193:
	s_or_b64 exec, exec, s[20:21]
.LBB62_194:
	s_or_b64 exec, exec, s[14:15]
.LBB62_195:
	s_or_b64 exec, exec, s[10:11]
	s_waitcnt vmcnt(7)
	v_trunc_f32_e32 v32, v32
	s_mov_b32 s10, 0x2f800000
	v_mul_f32_e64 v34, |v32|, s10
	v_floor_f32_e32 v34, v34
	s_mov_b32 s10, 0xcf800000
	v_cvt_u32_f32_e32 v35, v34
	v_fma_f32 v34, v34, s10, |v32|
	v_cvt_u32_f32_e32 v34, v34
	v_ashrrev_i32_e32 v32, 31, v32
	v_xor_b32_e32 v35, v35, v32
	v_xor_b32_e32 v34, v34, v32
	v_sub_co_u32_e32 v34, vcc, v34, v32
	v_subb_co_u32_e32 v35, vcc, v35, v32, vcc
	v_cmp_lt_i64_e32 vcc, -1, v[34:35]
	v_mov_b32_e32 v32, 0
	s_and_saveexec_b64 s[10:11], vcc
	s_cbranch_execz .LBB62_207
; %bb.196:
	v_cmp_lt_i64_e32 vcc, 0, v[34:35]
	v_mov_b32_e32 v32, 1.0
	s_and_saveexec_b64 s[14:15], vcc
	s_cbranch_execz .LBB62_206
; %bb.197:
	v_cvt_f32_f16_e32 v51, v50
	v_cmp_ne_u64_e32 vcc, 1, v[34:35]
                                        ; implicit-def: $vgpr32
	s_and_saveexec_b64 s[20:21], vcc
	s_xor_b64 s[20:21], exec, s[20:21]
	s_cbranch_execz .LBB62_203
; %bb.198:
	s_mov_b64 s[22:23], 0x81
	v_cmp_gt_u64_e32 vcc, s[22:23], v[34:35]
	v_mov_b32_e32 v32, 0x7fc00000
	s_and_saveexec_b64 s[22:23], vcc
	s_cbranch_execz .LBB62_202
; %bb.199:
	s_mov_b64 s[26:27], 1
	s_mov_b64 s[24:25], 0
	v_mov_b32_e32 v52, 1.0
	v_mov_b32_e32 v32, v51
.LBB62_200:                             ; =>This Inner Loop Header: Depth=1
	s_flbit_i32_b32 s28, s27
	s_min_u32 s30, s28, 32
	s_lshl_b64 s[28:29], s[26:27], s30
	s_min_u32 s28, s28, 1
	s_or_b32 s28, s29, s28
	v_cvt_f32_u32_e32 v53, s28
	s_sub_i32 s30, 32, s30
	s_add_u32 s26, s26, 1
	s_addc_u32 s27, s27, 0
	v_ldexp_f32 v53, v53, s30
	v_cmp_eq_u64_e32 vcc, s[26:27], v[34:35]
	v_mul_f32_e32 v53, v52, v53
	s_or_b64 s[24:25], vcc, s[24:25]
	v_mov_b32_e32 v52, v32
	v_fma_f32 v32, v32, v51, -v53
	s_andn2_b64 exec, exec, s[24:25]
	s_cbranch_execnz .LBB62_200
; %bb.201:
	s_or_b64 exec, exec, s[24:25]
.LBB62_202:
	s_or_b64 exec, exec, s[22:23]
                                        ; implicit-def: $vgpr51
.LBB62_203:
	s_andn2_saveexec_b64 s[20:21], s[20:21]
; %bb.204:
	v_mov_b32_e32 v32, v51
; %bb.205:
	s_or_b64 exec, exec, s[20:21]
.LBB62_206:
	s_or_b64 exec, exec, s[14:15]
.LBB62_207:
	s_or_b64 exec, exec, s[10:11]
	v_trunc_f32_e32 v33, v33
	s_mov_b32 s10, 0x2f800000
	v_mul_f32_e64 v34, |v33|, s10
	v_floor_f32_e32 v34, v34
	s_mov_b32 s10, 0xcf800000
	v_cvt_u32_f32_e32 v35, v34
	v_fma_f32 v34, v34, s10, |v33|
	v_cvt_u32_f32_e32 v34, v34
	v_ashrrev_i32_e32 v33, 31, v33
	v_xor_b32_e32 v35, v35, v33
	v_xor_b32_e32 v34, v34, v33
	v_sub_co_u32_e32 v34, vcc, v34, v33
	v_subb_co_u32_e32 v35, vcc, v35, v33, vcc
	v_cmp_lt_i64_e32 vcc, -1, v[34:35]
	v_mov_b32_e32 v33, 0
	s_and_saveexec_b64 s[10:11], vcc
	s_cbranch_execz .LBB62_219
; %bb.208:
	v_cmp_lt_i64_e32 vcc, 0, v[34:35]
	v_mov_b32_e32 v33, 1.0
	s_and_saveexec_b64 s[14:15], vcc
	s_cbranch_execz .LBB62_218
; %bb.209:
	v_cvt_f32_f16_sdwa v50, v50 dst_sel:DWORD dst_unused:UNUSED_PAD src0_sel:WORD_1
	v_cmp_ne_u64_e32 vcc, 1, v[34:35]
	s_and_saveexec_b64 s[20:21], vcc
	s_xor_b64 s[20:21], exec, s[20:21]
	s_cbranch_execz .LBB62_215
; %bb.210:
	s_mov_b64 s[22:23], 0x81
	v_cmp_gt_u64_e32 vcc, s[22:23], v[34:35]
	v_mov_b32_e32 v33, 0x7fc00000
	s_and_saveexec_b64 s[22:23], vcc
	s_cbranch_execz .LBB62_214
; %bb.211:
	s_mov_b64 s[26:27], 1
	s_mov_b64 s[24:25], 0
	v_mov_b32_e32 v51, 1.0
	v_mov_b32_e32 v33, v50
.LBB62_212:                             ; =>This Inner Loop Header: Depth=1
	s_flbit_i32_b32 s28, s27
	s_min_u32 s30, s28, 32
	s_lshl_b64 s[28:29], s[26:27], s30
	s_min_u32 s28, s28, 1
	s_or_b32 s28, s29, s28
	v_cvt_f32_u32_e32 v52, s28
	s_sub_i32 s30, 32, s30
	s_add_u32 s26, s26, 1
	s_addc_u32 s27, s27, 0
	v_ldexp_f32 v52, v52, s30
	v_cmp_eq_u64_e32 vcc, s[26:27], v[34:35]
	v_mul_f32_e32 v52, v51, v52
	s_or_b64 s[24:25], vcc, s[24:25]
	v_mov_b32_e32 v51, v33
	v_fma_f32 v33, v33, v50, -v52
	s_andn2_b64 exec, exec, s[24:25]
	s_cbranch_execnz .LBB62_212
; %bb.213:
	s_or_b64 exec, exec, s[24:25]
.LBB62_214:
	s_or_b64 exec, exec, s[22:23]
                                        ; implicit-def: $vgpr50
.LBB62_215:
	s_andn2_saveexec_b64 s[20:21], s[20:21]
; %bb.216:
	v_mov_b32_e32 v33, v50
; %bb.217:
	s_or_b64 exec, exec, s[20:21]
.LBB62_218:
	s_or_b64 exec, exec, s[14:15]
.LBB62_219:
	s_or_b64 exec, exec, s[10:11]
	s_waitcnt vmcnt(6)
	v_trunc_f32_e32 v28, v28
	s_mov_b32 s10, 0x2f800000
	v_mul_f32_e64 v34, |v28|, s10
	v_floor_f32_e32 v34, v34
	s_mov_b32 s10, 0xcf800000
	v_cvt_u32_f32_e32 v35, v34
	v_fma_f32 v34, v34, s10, |v28|
	v_cvt_u32_f32_e32 v34, v34
	v_ashrrev_i32_e32 v28, 31, v28
	v_xor_b32_e32 v35, v35, v28
	v_xor_b32_e32 v34, v34, v28
	v_sub_co_u32_e32 v34, vcc, v34, v28
	v_subb_co_u32_e32 v35, vcc, v35, v28, vcc
	v_cmp_lt_i64_e32 vcc, -1, v[34:35]
	v_mov_b32_e32 v28, 0
	s_and_saveexec_b64 s[10:11], vcc
	s_cbranch_execz .LBB62_231
; %bb.220:
	v_cmp_lt_i64_e32 vcc, 0, v[34:35]
	v_mov_b32_e32 v28, 1.0
	s_and_saveexec_b64 s[14:15], vcc
	s_cbranch_execz .LBB62_230
; %bb.221:
	v_cvt_f32_f16_e32 v50, v49
	v_cmp_ne_u64_e32 vcc, 1, v[34:35]
                                        ; implicit-def: $vgpr28
	s_and_saveexec_b64 s[20:21], vcc
	s_xor_b64 s[20:21], exec, s[20:21]
	s_cbranch_execz .LBB62_227
; %bb.222:
	s_mov_b64 s[22:23], 0x81
	v_cmp_gt_u64_e32 vcc, s[22:23], v[34:35]
	v_mov_b32_e32 v28, 0x7fc00000
	s_and_saveexec_b64 s[22:23], vcc
	s_cbranch_execz .LBB62_226
; %bb.223:
	s_mov_b64 s[26:27], 1
	s_mov_b64 s[24:25], 0
	v_mov_b32_e32 v51, 1.0
	v_mov_b32_e32 v28, v50
.LBB62_224:                             ; =>This Inner Loop Header: Depth=1
	s_flbit_i32_b32 s28, s27
	s_min_u32 s30, s28, 32
	s_lshl_b64 s[28:29], s[26:27], s30
	s_min_u32 s28, s28, 1
	s_or_b32 s28, s29, s28
	v_cvt_f32_u32_e32 v52, s28
	s_sub_i32 s30, 32, s30
	s_add_u32 s26, s26, 1
	s_addc_u32 s27, s27, 0
	v_ldexp_f32 v52, v52, s30
	v_cmp_eq_u64_e32 vcc, s[26:27], v[34:35]
	v_mul_f32_e32 v52, v51, v52
	s_or_b64 s[24:25], vcc, s[24:25]
	v_mov_b32_e32 v51, v28
	v_fma_f32 v28, v28, v50, -v52
	s_andn2_b64 exec, exec, s[24:25]
	s_cbranch_execnz .LBB62_224
; %bb.225:
	s_or_b64 exec, exec, s[24:25]
.LBB62_226:
	s_or_b64 exec, exec, s[22:23]
                                        ; implicit-def: $vgpr50
.LBB62_227:
	s_andn2_saveexec_b64 s[20:21], s[20:21]
; %bb.228:
	v_mov_b32_e32 v28, v50
; %bb.229:
	s_or_b64 exec, exec, s[20:21]
.LBB62_230:
	s_or_b64 exec, exec, s[14:15]
.LBB62_231:
	s_or_b64 exec, exec, s[10:11]
	v_trunc_f32_e32 v29, v29
	s_mov_b32 s10, 0x2f800000
	v_mul_f32_e64 v34, |v29|, s10
	v_floor_f32_e32 v34, v34
	s_mov_b32 s10, 0xcf800000
	v_cvt_u32_f32_e32 v35, v34
	v_fma_f32 v34, v34, s10, |v29|
	v_cvt_u32_f32_e32 v34, v34
	v_ashrrev_i32_e32 v29, 31, v29
	v_xor_b32_e32 v35, v35, v29
	v_xor_b32_e32 v34, v34, v29
	v_sub_co_u32_e32 v34, vcc, v34, v29
	v_subb_co_u32_e32 v35, vcc, v35, v29, vcc
	v_cmp_lt_i64_e32 vcc, -1, v[34:35]
	v_mov_b32_e32 v29, 0
	s_and_saveexec_b64 s[10:11], vcc
	s_cbranch_execz .LBB62_243
; %bb.232:
	v_cmp_lt_i64_e32 vcc, 0, v[34:35]
	v_mov_b32_e32 v29, 1.0
	s_and_saveexec_b64 s[14:15], vcc
	s_cbranch_execz .LBB62_242
; %bb.233:
	v_cvt_f32_f16_sdwa v49, v49 dst_sel:DWORD dst_unused:UNUSED_PAD src0_sel:WORD_1
	v_cmp_ne_u64_e32 vcc, 1, v[34:35]
	s_and_saveexec_b64 s[20:21], vcc
	s_xor_b64 s[20:21], exec, s[20:21]
	s_cbranch_execz .LBB62_239
; %bb.234:
	s_mov_b64 s[22:23], 0x81
	v_cmp_gt_u64_e32 vcc, s[22:23], v[34:35]
	v_mov_b32_e32 v29, 0x7fc00000
	s_and_saveexec_b64 s[22:23], vcc
	s_cbranch_execz .LBB62_238
; %bb.235:
	s_mov_b64 s[26:27], 1
	s_mov_b64 s[24:25], 0
	v_mov_b32_e32 v50, 1.0
	v_mov_b32_e32 v29, v49
.LBB62_236:                             ; =>This Inner Loop Header: Depth=1
	s_flbit_i32_b32 s28, s27
	s_min_u32 s30, s28, 32
	s_lshl_b64 s[28:29], s[26:27], s30
	s_min_u32 s28, s28, 1
	s_or_b32 s28, s29, s28
	v_cvt_f32_u32_e32 v51, s28
	s_sub_i32 s30, 32, s30
	s_add_u32 s26, s26, 1
	s_addc_u32 s27, s27, 0
	v_ldexp_f32 v51, v51, s30
	v_cmp_eq_u64_e32 vcc, s[26:27], v[34:35]
	v_mul_f32_e32 v51, v50, v51
	s_or_b64 s[24:25], vcc, s[24:25]
	v_mov_b32_e32 v50, v29
	v_fma_f32 v29, v29, v49, -v51
	s_andn2_b64 exec, exec, s[24:25]
	s_cbranch_execnz .LBB62_236
; %bb.237:
	s_or_b64 exec, exec, s[24:25]
.LBB62_238:
	s_or_b64 exec, exec, s[22:23]
                                        ; implicit-def: $vgpr49
.LBB62_239:
	s_andn2_saveexec_b64 s[20:21], s[20:21]
; %bb.240:
	v_mov_b32_e32 v29, v49
; %bb.241:
	s_or_b64 exec, exec, s[20:21]
.LBB62_242:
	s_or_b64 exec, exec, s[14:15]
.LBB62_243:
	s_or_b64 exec, exec, s[10:11]
	s_waitcnt vmcnt(5)
	v_trunc_f32_e32 v24, v24
	s_mov_b32 s10, 0x2f800000
	v_mul_f32_e64 v34, |v24|, s10
	v_floor_f32_e32 v34, v34
	s_mov_b32 s10, 0xcf800000
	v_cvt_u32_f32_e32 v35, v34
	v_fma_f32 v34, v34, s10, |v24|
	v_cvt_u32_f32_e32 v34, v34
	v_ashrrev_i32_e32 v24, 31, v24
	v_xor_b32_e32 v35, v35, v24
	v_xor_b32_e32 v34, v34, v24
	v_sub_co_u32_e32 v34, vcc, v34, v24
	v_subb_co_u32_e32 v35, vcc, v35, v24, vcc
	v_cmp_lt_i64_e32 vcc, -1, v[34:35]
	v_mov_b32_e32 v24, 0
	s_and_saveexec_b64 s[10:11], vcc
	s_cbranch_execz .LBB62_255
; %bb.244:
	v_cmp_lt_i64_e32 vcc, 0, v[34:35]
	v_mov_b32_e32 v24, 1.0
	s_and_saveexec_b64 s[14:15], vcc
	s_cbranch_execz .LBB62_254
; %bb.245:
	v_cvt_f32_f16_e32 v49, v48
	v_cmp_ne_u64_e32 vcc, 1, v[34:35]
                                        ; implicit-def: $vgpr24
	s_and_saveexec_b64 s[20:21], vcc
	s_xor_b64 s[20:21], exec, s[20:21]
	s_cbranch_execz .LBB62_251
; %bb.246:
	s_mov_b64 s[22:23], 0x81
	v_cmp_gt_u64_e32 vcc, s[22:23], v[34:35]
	v_mov_b32_e32 v24, 0x7fc00000
	s_and_saveexec_b64 s[22:23], vcc
	s_cbranch_execz .LBB62_250
; %bb.247:
	s_mov_b64 s[26:27], 1
	s_mov_b64 s[24:25], 0
	v_mov_b32_e32 v50, 1.0
	v_mov_b32_e32 v24, v49
.LBB62_248:                             ; =>This Inner Loop Header: Depth=1
	s_flbit_i32_b32 s28, s27
	s_min_u32 s30, s28, 32
	s_lshl_b64 s[28:29], s[26:27], s30
	s_min_u32 s28, s28, 1
	s_or_b32 s28, s29, s28
	v_cvt_f32_u32_e32 v51, s28
	s_sub_i32 s30, 32, s30
	s_add_u32 s26, s26, 1
	s_addc_u32 s27, s27, 0
	v_ldexp_f32 v51, v51, s30
	v_cmp_eq_u64_e32 vcc, s[26:27], v[34:35]
	v_mul_f32_e32 v51, v50, v51
	s_or_b64 s[24:25], vcc, s[24:25]
	v_mov_b32_e32 v50, v24
	v_fma_f32 v24, v24, v49, -v51
	s_andn2_b64 exec, exec, s[24:25]
	s_cbranch_execnz .LBB62_248
; %bb.249:
	s_or_b64 exec, exec, s[24:25]
.LBB62_250:
	s_or_b64 exec, exec, s[22:23]
                                        ; implicit-def: $vgpr49
.LBB62_251:
	s_andn2_saveexec_b64 s[20:21], s[20:21]
; %bb.252:
	v_mov_b32_e32 v24, v49
; %bb.253:
	s_or_b64 exec, exec, s[20:21]
.LBB62_254:
	s_or_b64 exec, exec, s[14:15]
.LBB62_255:
	s_or_b64 exec, exec, s[10:11]
	v_trunc_f32_e32 v25, v25
	s_mov_b32 s10, 0x2f800000
	v_mul_f32_e64 v34, |v25|, s10
	v_floor_f32_e32 v34, v34
	s_mov_b32 s10, 0xcf800000
	v_cvt_u32_f32_e32 v35, v34
	v_fma_f32 v34, v34, s10, |v25|
	v_cvt_u32_f32_e32 v34, v34
	v_ashrrev_i32_e32 v25, 31, v25
	v_xor_b32_e32 v35, v35, v25
	v_xor_b32_e32 v34, v34, v25
	v_sub_co_u32_e32 v34, vcc, v34, v25
	v_subb_co_u32_e32 v35, vcc, v35, v25, vcc
	v_cmp_lt_i64_e32 vcc, -1, v[34:35]
	v_mov_b32_e32 v25, 0
	s_and_saveexec_b64 s[10:11], vcc
	s_cbranch_execz .LBB62_267
; %bb.256:
	v_cmp_lt_i64_e32 vcc, 0, v[34:35]
	v_mov_b32_e32 v25, 1.0
	s_and_saveexec_b64 s[14:15], vcc
	s_cbranch_execz .LBB62_266
; %bb.257:
	v_cvt_f32_f16_sdwa v48, v48 dst_sel:DWORD dst_unused:UNUSED_PAD src0_sel:WORD_1
	v_cmp_ne_u64_e32 vcc, 1, v[34:35]
	s_and_saveexec_b64 s[20:21], vcc
	s_xor_b64 s[20:21], exec, s[20:21]
	s_cbranch_execz .LBB62_263
; %bb.258:
	s_mov_b64 s[22:23], 0x81
	v_cmp_gt_u64_e32 vcc, s[22:23], v[34:35]
	v_mov_b32_e32 v25, 0x7fc00000
	s_and_saveexec_b64 s[22:23], vcc
	s_cbranch_execz .LBB62_262
; %bb.259:
	s_mov_b64 s[26:27], 1
	s_mov_b64 s[24:25], 0
	v_mov_b32_e32 v49, 1.0
	v_mov_b32_e32 v25, v48
.LBB62_260:                             ; =>This Inner Loop Header: Depth=1
	s_flbit_i32_b32 s28, s27
	s_min_u32 s30, s28, 32
	s_lshl_b64 s[28:29], s[26:27], s30
	s_min_u32 s28, s28, 1
	s_or_b32 s28, s29, s28
	v_cvt_f32_u32_e32 v50, s28
	s_sub_i32 s30, 32, s30
	s_add_u32 s26, s26, 1
	s_addc_u32 s27, s27, 0
	v_ldexp_f32 v50, v50, s30
	v_cmp_eq_u64_e32 vcc, s[26:27], v[34:35]
	v_mul_f32_e32 v50, v49, v50
	s_or_b64 s[24:25], vcc, s[24:25]
	v_mov_b32_e32 v49, v25
	v_fma_f32 v25, v25, v48, -v50
	s_andn2_b64 exec, exec, s[24:25]
	s_cbranch_execnz .LBB62_260
; %bb.261:
	s_or_b64 exec, exec, s[24:25]
.LBB62_262:
	s_or_b64 exec, exec, s[22:23]
                                        ; implicit-def: $vgpr48
.LBB62_263:
	s_andn2_saveexec_b64 s[20:21], s[20:21]
; %bb.264:
	v_mov_b32_e32 v25, v48
; %bb.265:
	s_or_b64 exec, exec, s[20:21]
.LBB62_266:
	s_or_b64 exec, exec, s[14:15]
.LBB62_267:
	s_or_b64 exec, exec, s[10:11]
	s_waitcnt vmcnt(4)
	v_trunc_f32_e32 v20, v20
	s_mov_b32 s10, 0x2f800000
	v_mul_f32_e64 v34, |v20|, s10
	v_floor_f32_e32 v34, v34
	s_mov_b32 s10, 0xcf800000
	v_cvt_u32_f32_e32 v35, v34
	v_fma_f32 v34, v34, s10, |v20|
	v_cvt_u32_f32_e32 v34, v34
	v_ashrrev_i32_e32 v20, 31, v20
	v_xor_b32_e32 v35, v35, v20
	v_xor_b32_e32 v34, v34, v20
	v_sub_co_u32_e32 v34, vcc, v34, v20
	v_subb_co_u32_e32 v35, vcc, v35, v20, vcc
	v_cmp_lt_i64_e32 vcc, -1, v[34:35]
	v_mov_b32_e32 v20, 0
	s_and_saveexec_b64 s[10:11], vcc
	s_cbranch_execz .LBB62_279
; %bb.268:
	v_cmp_lt_i64_e32 vcc, 0, v[34:35]
	v_mov_b32_e32 v20, 1.0
	s_and_saveexec_b64 s[14:15], vcc
	s_cbranch_execz .LBB62_278
; %bb.269:
	v_cvt_f32_f16_e32 v48, v47
	v_cmp_ne_u64_e32 vcc, 1, v[34:35]
                                        ; implicit-def: $vgpr20
	s_and_saveexec_b64 s[20:21], vcc
	s_xor_b64 s[20:21], exec, s[20:21]
	s_cbranch_execz .LBB62_275
; %bb.270:
	s_mov_b64 s[22:23], 0x81
	v_cmp_gt_u64_e32 vcc, s[22:23], v[34:35]
	v_mov_b32_e32 v20, 0x7fc00000
	s_and_saveexec_b64 s[22:23], vcc
	s_cbranch_execz .LBB62_274
; %bb.271:
	s_mov_b64 s[26:27], 1
	s_mov_b64 s[24:25], 0
	v_mov_b32_e32 v49, 1.0
	v_mov_b32_e32 v20, v48
.LBB62_272:                             ; =>This Inner Loop Header: Depth=1
	s_flbit_i32_b32 s28, s27
	s_min_u32 s30, s28, 32
	s_lshl_b64 s[28:29], s[26:27], s30
	s_min_u32 s28, s28, 1
	s_or_b32 s28, s29, s28
	v_cvt_f32_u32_e32 v50, s28
	s_sub_i32 s30, 32, s30
	s_add_u32 s26, s26, 1
	s_addc_u32 s27, s27, 0
	v_ldexp_f32 v50, v50, s30
	v_cmp_eq_u64_e32 vcc, s[26:27], v[34:35]
	v_mul_f32_e32 v50, v49, v50
	s_or_b64 s[24:25], vcc, s[24:25]
	v_mov_b32_e32 v49, v20
	v_fma_f32 v20, v20, v48, -v50
	s_andn2_b64 exec, exec, s[24:25]
	s_cbranch_execnz .LBB62_272
; %bb.273:
	s_or_b64 exec, exec, s[24:25]
.LBB62_274:
	s_or_b64 exec, exec, s[22:23]
                                        ; implicit-def: $vgpr48
.LBB62_275:
	s_andn2_saveexec_b64 s[20:21], s[20:21]
; %bb.276:
	v_mov_b32_e32 v20, v48
; %bb.277:
	s_or_b64 exec, exec, s[20:21]
.LBB62_278:
	s_or_b64 exec, exec, s[14:15]
.LBB62_279:
	s_or_b64 exec, exec, s[10:11]
	v_trunc_f32_e32 v21, v21
	s_mov_b32 s10, 0x2f800000
	v_mul_f32_e64 v34, |v21|, s10
	v_floor_f32_e32 v34, v34
	s_mov_b32 s10, 0xcf800000
	v_cvt_u32_f32_e32 v35, v34
	v_fma_f32 v34, v34, s10, |v21|
	v_cvt_u32_f32_e32 v34, v34
	v_ashrrev_i32_e32 v21, 31, v21
	v_xor_b32_e32 v35, v35, v21
	v_xor_b32_e32 v34, v34, v21
	v_sub_co_u32_e32 v34, vcc, v34, v21
	v_subb_co_u32_e32 v35, vcc, v35, v21, vcc
	v_cmp_lt_i64_e32 vcc, -1, v[34:35]
	v_mov_b32_e32 v21, 0
	s_and_saveexec_b64 s[10:11], vcc
	s_cbranch_execz .LBB62_291
; %bb.280:
	v_cmp_lt_i64_e32 vcc, 0, v[34:35]
	v_mov_b32_e32 v21, 1.0
	s_and_saveexec_b64 s[14:15], vcc
	s_cbranch_execz .LBB62_290
; %bb.281:
	v_cvt_f32_f16_sdwa v47, v47 dst_sel:DWORD dst_unused:UNUSED_PAD src0_sel:WORD_1
	v_cmp_ne_u64_e32 vcc, 1, v[34:35]
	s_and_saveexec_b64 s[20:21], vcc
	s_xor_b64 s[20:21], exec, s[20:21]
	s_cbranch_execz .LBB62_287
; %bb.282:
	s_mov_b64 s[22:23], 0x81
	v_cmp_gt_u64_e32 vcc, s[22:23], v[34:35]
	v_mov_b32_e32 v21, 0x7fc00000
	s_and_saveexec_b64 s[22:23], vcc
	s_cbranch_execz .LBB62_286
; %bb.283:
	s_mov_b64 s[26:27], 1
	s_mov_b64 s[24:25], 0
	v_mov_b32_e32 v48, 1.0
	v_mov_b32_e32 v21, v47
.LBB62_284:                             ; =>This Inner Loop Header: Depth=1
	s_flbit_i32_b32 s28, s27
	s_min_u32 s30, s28, 32
	s_lshl_b64 s[28:29], s[26:27], s30
	s_min_u32 s28, s28, 1
	s_or_b32 s28, s29, s28
	v_cvt_f32_u32_e32 v49, s28
	s_sub_i32 s30, 32, s30
	s_add_u32 s26, s26, 1
	s_addc_u32 s27, s27, 0
	v_ldexp_f32 v49, v49, s30
	v_cmp_eq_u64_e32 vcc, s[26:27], v[34:35]
	v_mul_f32_e32 v49, v48, v49
	s_or_b64 s[24:25], vcc, s[24:25]
	v_mov_b32_e32 v48, v21
	v_fma_f32 v21, v21, v47, -v49
	s_andn2_b64 exec, exec, s[24:25]
	s_cbranch_execnz .LBB62_284
; %bb.285:
	s_or_b64 exec, exec, s[24:25]
.LBB62_286:
	s_or_b64 exec, exec, s[22:23]
                                        ; implicit-def: $vgpr47
.LBB62_287:
	s_andn2_saveexec_b64 s[20:21], s[20:21]
; %bb.288:
	v_mov_b32_e32 v21, v47
; %bb.289:
	s_or_b64 exec, exec, s[20:21]
.LBB62_290:
	s_or_b64 exec, exec, s[14:15]
.LBB62_291:
	s_or_b64 exec, exec, s[10:11]
	s_waitcnt vmcnt(3)
	v_trunc_f32_e32 v16, v16
	s_mov_b32 s10, 0x2f800000
	v_mul_f32_e64 v34, |v16|, s10
	v_floor_f32_e32 v34, v34
	s_mov_b32 s10, 0xcf800000
	v_cvt_u32_f32_e32 v35, v34
	v_fma_f32 v34, v34, s10, |v16|
	v_cvt_u32_f32_e32 v34, v34
	v_ashrrev_i32_e32 v16, 31, v16
	v_xor_b32_e32 v35, v35, v16
	v_xor_b32_e32 v34, v34, v16
	v_sub_co_u32_e32 v34, vcc, v34, v16
	v_subb_co_u32_e32 v35, vcc, v35, v16, vcc
	v_cmp_lt_i64_e32 vcc, -1, v[34:35]
	v_mov_b32_e32 v16, 0
	s_and_saveexec_b64 s[10:11], vcc
	s_cbranch_execz .LBB62_303
; %bb.292:
	v_cmp_lt_i64_e32 vcc, 0, v[34:35]
	v_mov_b32_e32 v16, 1.0
	s_and_saveexec_b64 s[14:15], vcc
	s_cbranch_execz .LBB62_302
; %bb.293:
	v_cvt_f32_f16_e32 v47, v46
	v_cmp_ne_u64_e32 vcc, 1, v[34:35]
                                        ; implicit-def: $vgpr16
	s_and_saveexec_b64 s[20:21], vcc
	s_xor_b64 s[20:21], exec, s[20:21]
	s_cbranch_execz .LBB62_299
; %bb.294:
	s_mov_b64 s[22:23], 0x81
	v_cmp_gt_u64_e32 vcc, s[22:23], v[34:35]
	v_mov_b32_e32 v16, 0x7fc00000
	s_and_saveexec_b64 s[22:23], vcc
	s_cbranch_execz .LBB62_298
; %bb.295:
	s_mov_b64 s[26:27], 1
	s_mov_b64 s[24:25], 0
	v_mov_b32_e32 v48, 1.0
	v_mov_b32_e32 v16, v47
.LBB62_296:                             ; =>This Inner Loop Header: Depth=1
	s_flbit_i32_b32 s28, s27
	s_min_u32 s30, s28, 32
	s_lshl_b64 s[28:29], s[26:27], s30
	s_min_u32 s28, s28, 1
	s_or_b32 s28, s29, s28
	v_cvt_f32_u32_e32 v49, s28
	s_sub_i32 s30, 32, s30
	s_add_u32 s26, s26, 1
	s_addc_u32 s27, s27, 0
	v_ldexp_f32 v49, v49, s30
	v_cmp_eq_u64_e32 vcc, s[26:27], v[34:35]
	v_mul_f32_e32 v49, v48, v49
	s_or_b64 s[24:25], vcc, s[24:25]
	v_mov_b32_e32 v48, v16
	v_fma_f32 v16, v16, v47, -v49
	s_andn2_b64 exec, exec, s[24:25]
	s_cbranch_execnz .LBB62_296
; %bb.297:
	s_or_b64 exec, exec, s[24:25]
.LBB62_298:
	s_or_b64 exec, exec, s[22:23]
                                        ; implicit-def: $vgpr47
.LBB62_299:
	s_andn2_saveexec_b64 s[20:21], s[20:21]
; %bb.300:
	v_mov_b32_e32 v16, v47
; %bb.301:
	s_or_b64 exec, exec, s[20:21]
.LBB62_302:
	s_or_b64 exec, exec, s[14:15]
.LBB62_303:
	s_or_b64 exec, exec, s[10:11]
	v_trunc_f32_e32 v17, v17
	s_mov_b32 s10, 0x2f800000
	v_mul_f32_e64 v34, |v17|, s10
	v_floor_f32_e32 v34, v34
	s_mov_b32 s10, 0xcf800000
	v_cvt_u32_f32_e32 v35, v34
	v_fma_f32 v34, v34, s10, |v17|
	v_cvt_u32_f32_e32 v34, v34
	v_ashrrev_i32_e32 v17, 31, v17
	v_xor_b32_e32 v35, v35, v17
	v_xor_b32_e32 v34, v34, v17
	v_sub_co_u32_e32 v34, vcc, v34, v17
	v_subb_co_u32_e32 v35, vcc, v35, v17, vcc
	v_cmp_lt_i64_e32 vcc, -1, v[34:35]
	v_mov_b32_e32 v17, 0
	s_and_saveexec_b64 s[10:11], vcc
	s_cbranch_execz .LBB62_315
; %bb.304:
	v_cmp_lt_i64_e32 vcc, 0, v[34:35]
	v_mov_b32_e32 v17, 1.0
	s_and_saveexec_b64 s[14:15], vcc
	s_cbranch_execz .LBB62_314
; %bb.305:
	v_cvt_f32_f16_sdwa v46, v46 dst_sel:DWORD dst_unused:UNUSED_PAD src0_sel:WORD_1
	v_cmp_ne_u64_e32 vcc, 1, v[34:35]
	s_and_saveexec_b64 s[20:21], vcc
	s_xor_b64 s[20:21], exec, s[20:21]
	s_cbranch_execz .LBB62_311
; %bb.306:
	s_mov_b64 s[22:23], 0x81
	v_cmp_gt_u64_e32 vcc, s[22:23], v[34:35]
	v_mov_b32_e32 v17, 0x7fc00000
	s_and_saveexec_b64 s[22:23], vcc
	s_cbranch_execz .LBB62_310
; %bb.307:
	s_mov_b64 s[26:27], 1
	s_mov_b64 s[24:25], 0
	v_mov_b32_e32 v47, 1.0
	v_mov_b32_e32 v17, v46
.LBB62_308:                             ; =>This Inner Loop Header: Depth=1
	s_flbit_i32_b32 s28, s27
	s_min_u32 s30, s28, 32
	s_lshl_b64 s[28:29], s[26:27], s30
	s_min_u32 s28, s28, 1
	s_or_b32 s28, s29, s28
	v_cvt_f32_u32_e32 v48, s28
	s_sub_i32 s30, 32, s30
	s_add_u32 s26, s26, 1
	s_addc_u32 s27, s27, 0
	v_ldexp_f32 v48, v48, s30
	v_cmp_eq_u64_e32 vcc, s[26:27], v[34:35]
	v_mul_f32_e32 v48, v47, v48
	s_or_b64 s[24:25], vcc, s[24:25]
	v_mov_b32_e32 v47, v17
	v_fma_f32 v17, v17, v46, -v48
	s_andn2_b64 exec, exec, s[24:25]
	s_cbranch_execnz .LBB62_308
; %bb.309:
	s_or_b64 exec, exec, s[24:25]
.LBB62_310:
	s_or_b64 exec, exec, s[22:23]
                                        ; implicit-def: $vgpr46
.LBB62_311:
	s_andn2_saveexec_b64 s[20:21], s[20:21]
; %bb.312:
	v_mov_b32_e32 v17, v46
; %bb.313:
	s_or_b64 exec, exec, s[20:21]
.LBB62_314:
	s_or_b64 exec, exec, s[14:15]
.LBB62_315:
	s_or_b64 exec, exec, s[10:11]
	s_waitcnt vmcnt(2)
	v_trunc_f32_e32 v12, v12
	s_mov_b32 s10, 0x2f800000
	v_mul_f32_e64 v34, |v12|, s10
	v_floor_f32_e32 v34, v34
	s_mov_b32 s10, 0xcf800000
	v_cvt_u32_f32_e32 v35, v34
	v_fma_f32 v34, v34, s10, |v12|
	v_cvt_u32_f32_e32 v34, v34
	v_ashrrev_i32_e32 v12, 31, v12
	v_xor_b32_e32 v35, v35, v12
	v_xor_b32_e32 v34, v34, v12
	v_sub_co_u32_e32 v34, vcc, v34, v12
	v_subb_co_u32_e32 v35, vcc, v35, v12, vcc
	v_cmp_lt_i64_e32 vcc, -1, v[34:35]
	v_mov_b32_e32 v12, 0
	s_and_saveexec_b64 s[10:11], vcc
	s_cbranch_execz .LBB62_327
; %bb.316:
	v_cmp_lt_i64_e32 vcc, 0, v[34:35]
	v_mov_b32_e32 v12, 1.0
	s_and_saveexec_b64 s[14:15], vcc
	s_cbranch_execz .LBB62_326
; %bb.317:
	v_cvt_f32_f16_e32 v46, v45
	v_cmp_ne_u64_e32 vcc, 1, v[34:35]
                                        ; implicit-def: $vgpr12
	s_and_saveexec_b64 s[20:21], vcc
	s_xor_b64 s[20:21], exec, s[20:21]
	s_cbranch_execz .LBB62_323
; %bb.318:
	s_mov_b64 s[22:23], 0x81
	v_cmp_gt_u64_e32 vcc, s[22:23], v[34:35]
	v_mov_b32_e32 v12, 0x7fc00000
	s_and_saveexec_b64 s[22:23], vcc
	s_cbranch_execz .LBB62_322
; %bb.319:
	s_mov_b64 s[26:27], 1
	s_mov_b64 s[24:25], 0
	v_mov_b32_e32 v47, 1.0
	v_mov_b32_e32 v12, v46
.LBB62_320:                             ; =>This Inner Loop Header: Depth=1
	s_flbit_i32_b32 s28, s27
	s_min_u32 s30, s28, 32
	s_lshl_b64 s[28:29], s[26:27], s30
	s_min_u32 s28, s28, 1
	s_or_b32 s28, s29, s28
	v_cvt_f32_u32_e32 v48, s28
	s_sub_i32 s30, 32, s30
	s_add_u32 s26, s26, 1
	s_addc_u32 s27, s27, 0
	v_ldexp_f32 v48, v48, s30
	v_cmp_eq_u64_e32 vcc, s[26:27], v[34:35]
	v_mul_f32_e32 v48, v47, v48
	s_or_b64 s[24:25], vcc, s[24:25]
	v_mov_b32_e32 v47, v12
	v_fma_f32 v12, v12, v46, -v48
	s_andn2_b64 exec, exec, s[24:25]
	s_cbranch_execnz .LBB62_320
; %bb.321:
	s_or_b64 exec, exec, s[24:25]
.LBB62_322:
	s_or_b64 exec, exec, s[22:23]
                                        ; implicit-def: $vgpr46
.LBB62_323:
	s_andn2_saveexec_b64 s[20:21], s[20:21]
; %bb.324:
	v_mov_b32_e32 v12, v46
; %bb.325:
	s_or_b64 exec, exec, s[20:21]
.LBB62_326:
	s_or_b64 exec, exec, s[14:15]
.LBB62_327:
	s_or_b64 exec, exec, s[10:11]
	v_trunc_f32_e32 v13, v13
	s_mov_b32 s10, 0x2f800000
	v_mul_f32_e64 v34, |v13|, s10
	v_floor_f32_e32 v34, v34
	s_mov_b32 s10, 0xcf800000
	v_cvt_u32_f32_e32 v35, v34
	v_fma_f32 v34, v34, s10, |v13|
	v_cvt_u32_f32_e32 v34, v34
	v_ashrrev_i32_e32 v13, 31, v13
	v_xor_b32_e32 v35, v35, v13
	v_xor_b32_e32 v34, v34, v13
	v_sub_co_u32_e32 v34, vcc, v34, v13
	v_subb_co_u32_e32 v35, vcc, v35, v13, vcc
	v_cmp_lt_i64_e32 vcc, -1, v[34:35]
	v_mov_b32_e32 v13, 0
	s_and_saveexec_b64 s[10:11], vcc
	s_cbranch_execz .LBB62_339
; %bb.328:
	v_cmp_lt_i64_e32 vcc, 0, v[34:35]
	v_mov_b32_e32 v13, 1.0
	s_and_saveexec_b64 s[14:15], vcc
	s_cbranch_execz .LBB62_338
; %bb.329:
	v_cvt_f32_f16_sdwa v45, v45 dst_sel:DWORD dst_unused:UNUSED_PAD src0_sel:WORD_1
	v_cmp_ne_u64_e32 vcc, 1, v[34:35]
	s_and_saveexec_b64 s[20:21], vcc
	s_xor_b64 s[20:21], exec, s[20:21]
	s_cbranch_execz .LBB62_335
; %bb.330:
	s_mov_b64 s[22:23], 0x81
	v_cmp_gt_u64_e32 vcc, s[22:23], v[34:35]
	v_mov_b32_e32 v13, 0x7fc00000
	s_and_saveexec_b64 s[22:23], vcc
	s_cbranch_execz .LBB62_334
; %bb.331:
	s_mov_b64 s[26:27], 1
	s_mov_b64 s[24:25], 0
	v_mov_b32_e32 v46, 1.0
	v_mov_b32_e32 v13, v45
.LBB62_332:                             ; =>This Inner Loop Header: Depth=1
	s_flbit_i32_b32 s28, s27
	s_min_u32 s30, s28, 32
	s_lshl_b64 s[28:29], s[26:27], s30
	s_min_u32 s28, s28, 1
	s_or_b32 s28, s29, s28
	v_cvt_f32_u32_e32 v47, s28
	s_sub_i32 s30, 32, s30
	s_add_u32 s26, s26, 1
	s_addc_u32 s27, s27, 0
	v_ldexp_f32 v47, v47, s30
	v_cmp_eq_u64_e32 vcc, s[26:27], v[34:35]
	v_mul_f32_e32 v47, v46, v47
	s_or_b64 s[24:25], vcc, s[24:25]
	v_mov_b32_e32 v46, v13
	v_fma_f32 v13, v13, v45, -v47
	s_andn2_b64 exec, exec, s[24:25]
	s_cbranch_execnz .LBB62_332
; %bb.333:
	s_or_b64 exec, exec, s[24:25]
.LBB62_334:
	s_or_b64 exec, exec, s[22:23]
                                        ; implicit-def: $vgpr45
.LBB62_335:
	s_andn2_saveexec_b64 s[20:21], s[20:21]
; %bb.336:
	v_mov_b32_e32 v13, v45
; %bb.337:
	s_or_b64 exec, exec, s[20:21]
.LBB62_338:
	s_or_b64 exec, exec, s[14:15]
.LBB62_339:
	s_or_b64 exec, exec, s[10:11]
	s_waitcnt vmcnt(1)
	v_trunc_f32_e32 v8, v8
	s_mov_b32 s10, 0x2f800000
	v_mul_f32_e64 v34, |v8|, s10
	v_floor_f32_e32 v34, v34
	s_mov_b32 s10, 0xcf800000
	v_cvt_u32_f32_e32 v35, v34
	v_fma_f32 v34, v34, s10, |v8|
	v_cvt_u32_f32_e32 v34, v34
	v_ashrrev_i32_e32 v8, 31, v8
	v_xor_b32_e32 v35, v35, v8
	v_xor_b32_e32 v34, v34, v8
	v_sub_co_u32_e32 v34, vcc, v34, v8
	v_subb_co_u32_e32 v35, vcc, v35, v8, vcc
	v_cmp_lt_i64_e32 vcc, -1, v[34:35]
	v_mov_b32_e32 v8, 0
	s_and_saveexec_b64 s[10:11], vcc
	s_cbranch_execz .LBB62_351
; %bb.340:
	v_cmp_lt_i64_e32 vcc, 0, v[34:35]
	v_mov_b32_e32 v8, 1.0
	s_and_saveexec_b64 s[14:15], vcc
	s_cbranch_execz .LBB62_350
; %bb.341:
	v_cvt_f32_f16_e32 v45, v44
	v_cmp_ne_u64_e32 vcc, 1, v[34:35]
                                        ; implicit-def: $vgpr8
	s_and_saveexec_b64 s[20:21], vcc
	s_xor_b64 s[20:21], exec, s[20:21]
	s_cbranch_execz .LBB62_347
; %bb.342:
	s_mov_b64 s[22:23], 0x81
	v_cmp_gt_u64_e32 vcc, s[22:23], v[34:35]
	v_mov_b32_e32 v8, 0x7fc00000
	s_and_saveexec_b64 s[22:23], vcc
	s_cbranch_execz .LBB62_346
; %bb.343:
	s_mov_b64 s[26:27], 1
	s_mov_b64 s[24:25], 0
	v_mov_b32_e32 v46, 1.0
	v_mov_b32_e32 v8, v45
.LBB62_344:                             ; =>This Inner Loop Header: Depth=1
	s_flbit_i32_b32 s28, s27
	s_min_u32 s30, s28, 32
	s_lshl_b64 s[28:29], s[26:27], s30
	s_min_u32 s28, s28, 1
	s_or_b32 s28, s29, s28
	v_cvt_f32_u32_e32 v47, s28
	s_sub_i32 s30, 32, s30
	s_add_u32 s26, s26, 1
	s_addc_u32 s27, s27, 0
	v_ldexp_f32 v47, v47, s30
	v_cmp_eq_u64_e32 vcc, s[26:27], v[34:35]
	v_mul_f32_e32 v47, v46, v47
	s_or_b64 s[24:25], vcc, s[24:25]
	v_mov_b32_e32 v46, v8
	v_fma_f32 v8, v8, v45, -v47
	s_andn2_b64 exec, exec, s[24:25]
	s_cbranch_execnz .LBB62_344
; %bb.345:
	s_or_b64 exec, exec, s[24:25]
.LBB62_346:
	s_or_b64 exec, exec, s[22:23]
                                        ; implicit-def: $vgpr45
.LBB62_347:
	s_andn2_saveexec_b64 s[20:21], s[20:21]
; %bb.348:
	v_mov_b32_e32 v8, v45
; %bb.349:
	s_or_b64 exec, exec, s[20:21]
.LBB62_350:
	s_or_b64 exec, exec, s[14:15]
.LBB62_351:
	s_or_b64 exec, exec, s[10:11]
	v_trunc_f32_e32 v9, v9
	s_mov_b32 s10, 0x2f800000
	v_mul_f32_e64 v34, |v9|, s10
	v_floor_f32_e32 v34, v34
	s_mov_b32 s10, 0xcf800000
	v_cvt_u32_f32_e32 v35, v34
	v_fma_f32 v34, v34, s10, |v9|
	v_cvt_u32_f32_e32 v34, v34
	v_ashrrev_i32_e32 v9, 31, v9
	v_xor_b32_e32 v35, v35, v9
	v_xor_b32_e32 v34, v34, v9
	v_sub_co_u32_e32 v34, vcc, v34, v9
	v_subb_co_u32_e32 v35, vcc, v35, v9, vcc
	v_cmp_lt_i64_e32 vcc, -1, v[34:35]
	v_mov_b32_e32 v9, 0
	s_and_saveexec_b64 s[10:11], vcc
	s_cbranch_execz .LBB62_363
; %bb.352:
	v_cmp_lt_i64_e32 vcc, 0, v[34:35]
	v_mov_b32_e32 v9, 1.0
	s_and_saveexec_b64 s[14:15], vcc
	s_cbranch_execz .LBB62_362
; %bb.353:
	v_cvt_f32_f16_sdwa v44, v44 dst_sel:DWORD dst_unused:UNUSED_PAD src0_sel:WORD_1
	v_cmp_ne_u64_e32 vcc, 1, v[34:35]
	s_and_saveexec_b64 s[20:21], vcc
	s_xor_b64 s[20:21], exec, s[20:21]
	s_cbranch_execz .LBB62_359
; %bb.354:
	s_mov_b64 s[22:23], 0x81
	v_cmp_gt_u64_e32 vcc, s[22:23], v[34:35]
	v_mov_b32_e32 v9, 0x7fc00000
	s_and_saveexec_b64 s[22:23], vcc
	s_cbranch_execz .LBB62_358
; %bb.355:
	s_mov_b64 s[26:27], 1
	s_mov_b64 s[24:25], 0
	v_mov_b32_e32 v45, 1.0
	v_mov_b32_e32 v9, v44
.LBB62_356:                             ; =>This Inner Loop Header: Depth=1
	s_flbit_i32_b32 s28, s27
	s_min_u32 s30, s28, 32
	s_lshl_b64 s[28:29], s[26:27], s30
	s_min_u32 s28, s28, 1
	s_or_b32 s28, s29, s28
	v_cvt_f32_u32_e32 v46, s28
	s_sub_i32 s30, 32, s30
	s_add_u32 s26, s26, 1
	s_addc_u32 s27, s27, 0
	v_ldexp_f32 v46, v46, s30
	v_cmp_eq_u64_e32 vcc, s[26:27], v[34:35]
	v_mul_f32_e32 v46, v45, v46
	s_or_b64 s[24:25], vcc, s[24:25]
	v_mov_b32_e32 v45, v9
	v_fma_f32 v9, v9, v44, -v46
	s_andn2_b64 exec, exec, s[24:25]
	s_cbranch_execnz .LBB62_356
; %bb.357:
	s_or_b64 exec, exec, s[24:25]
.LBB62_358:
	s_or_b64 exec, exec, s[22:23]
                                        ; implicit-def: $vgpr44
.LBB62_359:
	s_andn2_saveexec_b64 s[20:21], s[20:21]
; %bb.360:
	v_mov_b32_e32 v9, v44
; %bb.361:
	s_or_b64 exec, exec, s[20:21]
.LBB62_362:
	s_or_b64 exec, exec, s[14:15]
.LBB62_363:
	s_or_b64 exec, exec, s[10:11]
	s_waitcnt vmcnt(0)
	v_trunc_f32_e32 v4, v4
	s_mov_b32 s10, 0x2f800000
	v_mul_f32_e64 v34, |v4|, s10
	v_floor_f32_e32 v34, v34
	s_mov_b32 s10, 0xcf800000
	v_cvt_u32_f32_e32 v35, v34
	v_fma_f32 v34, v34, s10, |v4|
	v_cvt_u32_f32_e32 v34, v34
	v_ashrrev_i32_e32 v4, 31, v4
	v_xor_b32_e32 v35, v35, v4
	v_xor_b32_e32 v34, v34, v4
	v_sub_co_u32_e32 v34, vcc, v34, v4
	v_subb_co_u32_e32 v35, vcc, v35, v4, vcc
	v_cmp_lt_i64_e32 vcc, -1, v[34:35]
	v_mov_b32_e32 v4, 0
	s_and_saveexec_b64 s[10:11], vcc
	s_cbranch_execz .LBB62_375
; %bb.364:
	v_cmp_lt_i64_e32 vcc, 0, v[34:35]
	v_mov_b32_e32 v4, 1.0
	s_and_saveexec_b64 s[14:15], vcc
	s_cbranch_execz .LBB62_374
; %bb.365:
	v_cvt_f32_f16_e32 v44, v43
	v_cmp_ne_u64_e32 vcc, 1, v[34:35]
                                        ; implicit-def: $vgpr4
	s_and_saveexec_b64 s[20:21], vcc
	s_xor_b64 s[20:21], exec, s[20:21]
	s_cbranch_execz .LBB62_371
; %bb.366:
	s_mov_b64 s[22:23], 0x81
	v_cmp_gt_u64_e32 vcc, s[22:23], v[34:35]
	v_mov_b32_e32 v4, 0x7fc00000
	s_and_saveexec_b64 s[22:23], vcc
	s_cbranch_execz .LBB62_370
; %bb.367:
	s_mov_b64 s[26:27], 1
	s_mov_b64 s[24:25], 0
	v_mov_b32_e32 v45, 1.0
	v_mov_b32_e32 v4, v44
.LBB62_368:                             ; =>This Inner Loop Header: Depth=1
	s_flbit_i32_b32 s28, s27
	s_min_u32 s30, s28, 32
	s_lshl_b64 s[28:29], s[26:27], s30
	s_min_u32 s28, s28, 1
	s_or_b32 s28, s29, s28
	v_cvt_f32_u32_e32 v46, s28
	s_sub_i32 s30, 32, s30
	s_add_u32 s26, s26, 1
	s_addc_u32 s27, s27, 0
	v_ldexp_f32 v46, v46, s30
	v_cmp_eq_u64_e32 vcc, s[26:27], v[34:35]
	v_mul_f32_e32 v46, v45, v46
	s_or_b64 s[24:25], vcc, s[24:25]
	v_mov_b32_e32 v45, v4
	v_fma_f32 v4, v4, v44, -v46
	s_andn2_b64 exec, exec, s[24:25]
	s_cbranch_execnz .LBB62_368
; %bb.369:
	s_or_b64 exec, exec, s[24:25]
.LBB62_370:
	s_or_b64 exec, exec, s[22:23]
                                        ; implicit-def: $vgpr44
.LBB62_371:
	s_andn2_saveexec_b64 s[20:21], s[20:21]
; %bb.372:
	v_mov_b32_e32 v4, v44
; %bb.373:
	s_or_b64 exec, exec, s[20:21]
.LBB62_374:
	s_or_b64 exec, exec, s[14:15]
.LBB62_375:
	s_or_b64 exec, exec, s[10:11]
	v_trunc_f32_e32 v5, v5
	s_mov_b32 s10, 0x2f800000
	v_mul_f32_e64 v34, |v5|, s10
	v_floor_f32_e32 v34, v34
	s_mov_b32 s10, 0xcf800000
	v_cvt_u32_f32_e32 v35, v34
	v_fma_f32 v34, v34, s10, |v5|
	v_cvt_u32_f32_e32 v34, v34
	v_ashrrev_i32_e32 v5, 31, v5
	v_xor_b32_e32 v35, v35, v5
	v_xor_b32_e32 v34, v34, v5
	v_sub_co_u32_e32 v34, vcc, v34, v5
	v_subb_co_u32_e32 v35, vcc, v35, v5, vcc
	v_cmp_lt_i64_e32 vcc, -1, v[34:35]
	v_mov_b32_e32 v5, 0
	s_and_saveexec_b64 s[10:11], vcc
	s_cbranch_execz .LBB62_387
; %bb.376:
	v_cmp_lt_i64_e32 vcc, 0, v[34:35]
	v_mov_b32_e32 v5, 1.0
	s_and_saveexec_b64 s[14:15], vcc
	s_cbranch_execz .LBB62_386
; %bb.377:
	v_cvt_f32_f16_sdwa v43, v43 dst_sel:DWORD dst_unused:UNUSED_PAD src0_sel:WORD_1
	v_cmp_ne_u64_e32 vcc, 1, v[34:35]
	s_and_saveexec_b64 s[20:21], vcc
	s_xor_b64 s[20:21], exec, s[20:21]
	s_cbranch_execz .LBB62_383
; %bb.378:
	s_mov_b64 s[22:23], 0x81
	v_cmp_gt_u64_e32 vcc, s[22:23], v[34:35]
	v_mov_b32_e32 v5, 0x7fc00000
	s_and_saveexec_b64 s[22:23], vcc
	s_cbranch_execz .LBB62_382
; %bb.379:
	s_mov_b64 s[26:27], 1
	s_mov_b64 s[24:25], 0
	v_mov_b32_e32 v44, 1.0
	v_mov_b32_e32 v5, v43
.LBB62_380:                             ; =>This Inner Loop Header: Depth=1
	s_flbit_i32_b32 s28, s27
	s_min_u32 s30, s28, 32
	s_lshl_b64 s[28:29], s[26:27], s30
	s_min_u32 s28, s28, 1
	s_or_b32 s28, s29, s28
	v_cvt_f32_u32_e32 v45, s28
	s_sub_i32 s30, 32, s30
	s_add_u32 s26, s26, 1
	s_addc_u32 s27, s27, 0
	v_ldexp_f32 v45, v45, s30
	v_cmp_eq_u64_e32 vcc, s[26:27], v[34:35]
	v_mul_f32_e32 v45, v44, v45
	s_or_b64 s[24:25], vcc, s[24:25]
	v_mov_b32_e32 v44, v5
	v_fma_f32 v5, v5, v43, -v45
	s_andn2_b64 exec, exec, s[24:25]
	s_cbranch_execnz .LBB62_380
; %bb.381:
	s_or_b64 exec, exec, s[24:25]
.LBB62_382:
	s_or_b64 exec, exec, s[22:23]
                                        ; implicit-def: $vgpr43
.LBB62_383:
	s_andn2_saveexec_b64 s[20:21], s[20:21]
; %bb.384:
	v_mov_b32_e32 v5, v43
; %bb.385:
	s_or_b64 exec, exec, s[20:21]
.LBB62_386:
	s_or_b64 exec, exec, s[14:15]
.LBB62_387:
	s_or_b64 exec, exec, s[10:11]
	s_add_u32 s8, s16, s8
	s_addc_u32 s9, s17, s9
	v_mov_b32_e32 v34, s9
	v_add_co_u32_e32 v35, vcc, s8, v1
	v_addc_co_u32_e32 v34, vcc, 0, v34, vcc
	global_store_dwordx2 v1, v[2:3], s[8:9]
	v_add_co_u32_e32 v2, vcc, 0x1000, v35
	v_addc_co_u32_e32 v3, vcc, 0, v34, vcc
	global_store_dwordx2 v[2:3], v[6:7], off
	global_store_dwordx2 v41, v[10:11], s[8:9]
	v_add_co_u32_e32 v2, vcc, 0x3000, v35
	v_addc_co_u32_e32 v3, vcc, 0, v34, vcc
	global_store_dwordx2 v[2:3], v[14:15], off
	;; [unrolled: 4-line block ×8, first 2 shown]
	s_branch .LBB62_2
.LBB62_388:
	s_load_dword s10, s[4:5], 0x24
	s_load_dwordx4 s[20:23], s[4:5], 0x28
	s_add_u32 s8, s4, 56
	s_addc_u32 s9, s5, 0
	v_mov_b32_e32 v31, v0
	s_waitcnt lgkmcnt(0)
	v_lshrrev_b16_e64 v8, 8, s10
	v_mov_b32_e32 v0, s16
	v_mov_b32_e32 v1, s17
	;; [unrolled: 1-line block ×12, first 2 shown]
	s_getpc_b64 s[4:5]
	s_add_u32 s4, s4, _ZN2at6native25elementwise_kernel_helperILb1ENS0_13BinaryFunctorIfffZZZNS0_12_GLOBAL__N_133hermite_polynomial_he_kernel_cudaERNS_18TensorIteratorBaseEENKUlvE_clEvENKUlvE0_clEvEUlffE_EENS0_6memory8policies11unroll_baseILi512ESt5arrayIPcLm3EE23TrivialOffsetCalculatorILi2EjESG_ILi1EjENSA_12LoadWithCastILi2EEENSA_13StoreWithCastILi1EEELi32ELi1EEEEEvT0_T1_@rel32@lo+4
	s_addc_u32 s5, s5, _ZN2at6native25elementwise_kernel_helperILb1ENS0_13BinaryFunctorIfffZZZNS0_12_GLOBAL__N_133hermite_polynomial_he_kernel_cudaERNS_18TensorIteratorBaseEENKUlvE_clEvENKUlvE0_clEvEUlffE_EENS0_6memory8policies11unroll_baseILi512ESt5arrayIPcLm3EE23TrivialOffsetCalculatorILi2EjESG_ILi1EjENSA_12LoadWithCastILi2EEENSA_13StoreWithCastILi1EEELi32ELi1EEEEEvT0_T1_@rel32@hi+12
	s_swappc_b64 s[30:31], s[4:5]
	s_endpgm
	.section	.rodata,"a",@progbits
	.p2align	6, 0x0
	.amdhsa_kernel _ZN2at6native39vectorized_templated_elementwise_kernelILi2ENS0_13BinaryFunctorIfffZZZNS0_12_GLOBAL__N_133hermite_polynomial_he_kernel_cudaERNS_18TensorIteratorBaseEENKUlvE_clEvENKUlvE0_clEvEUlffE_EESt5arrayIPcLm3EE23TrivialOffsetCalculatorILi2EjESD_ILi1EjENS0_6memory12LoadWithCastILi2EEENSG_13StoreWithCastILi1EEEfJN3c104HalfEfEEEviT0_T1_T2_T3_T4_T5_
		.amdhsa_group_segment_fixed_size 0
		.amdhsa_private_segment_fixed_size 288
		.amdhsa_kernarg_size 312
		.amdhsa_user_sgpr_count 8
		.amdhsa_user_sgpr_private_segment_buffer 1
		.amdhsa_user_sgpr_dispatch_ptr 0
		.amdhsa_user_sgpr_queue_ptr 0
		.amdhsa_user_sgpr_kernarg_segment_ptr 1
		.amdhsa_user_sgpr_dispatch_id 0
		.amdhsa_user_sgpr_flat_scratch_init 1
		.amdhsa_user_sgpr_kernarg_preload_length 0
		.amdhsa_user_sgpr_kernarg_preload_offset 0
		.amdhsa_user_sgpr_private_segment_size 0
		.amdhsa_uses_dynamic_stack 0
		.amdhsa_system_sgpr_private_segment_wavefront_offset 1
		.amdhsa_system_sgpr_workgroup_id_x 1
		.amdhsa_system_sgpr_workgroup_id_y 0
		.amdhsa_system_sgpr_workgroup_id_z 0
		.amdhsa_system_sgpr_workgroup_info 0
		.amdhsa_system_vgpr_workitem_id 0
		.amdhsa_next_free_vgpr 120
		.amdhsa_next_free_sgpr 98
		.amdhsa_accum_offset 120
		.amdhsa_reserve_vcc 1
		.amdhsa_reserve_flat_scratch 1
		.amdhsa_float_round_mode_32 0
		.amdhsa_float_round_mode_16_64 0
		.amdhsa_float_denorm_mode_32 3
		.amdhsa_float_denorm_mode_16_64 3
		.amdhsa_dx10_clamp 1
		.amdhsa_ieee_mode 1
		.amdhsa_fp16_overflow 0
		.amdhsa_tg_split 0
		.amdhsa_exception_fp_ieee_invalid_op 0
		.amdhsa_exception_fp_denorm_src 0
		.amdhsa_exception_fp_ieee_div_zero 0
		.amdhsa_exception_fp_ieee_overflow 0
		.amdhsa_exception_fp_ieee_underflow 0
		.amdhsa_exception_fp_ieee_inexact 0
		.amdhsa_exception_int_div_zero 0
	.end_amdhsa_kernel
	.section	.text._ZN2at6native39vectorized_templated_elementwise_kernelILi2ENS0_13BinaryFunctorIfffZZZNS0_12_GLOBAL__N_133hermite_polynomial_he_kernel_cudaERNS_18TensorIteratorBaseEENKUlvE_clEvENKUlvE0_clEvEUlffE_EESt5arrayIPcLm3EE23TrivialOffsetCalculatorILi2EjESD_ILi1EjENS0_6memory12LoadWithCastILi2EEENSG_13StoreWithCastILi1EEEfJN3c104HalfEfEEEviT0_T1_T2_T3_T4_T5_,"axG",@progbits,_ZN2at6native39vectorized_templated_elementwise_kernelILi2ENS0_13BinaryFunctorIfffZZZNS0_12_GLOBAL__N_133hermite_polynomial_he_kernel_cudaERNS_18TensorIteratorBaseEENKUlvE_clEvENKUlvE0_clEvEUlffE_EESt5arrayIPcLm3EE23TrivialOffsetCalculatorILi2EjESD_ILi1EjENS0_6memory12LoadWithCastILi2EEENSG_13StoreWithCastILi1EEEfJN3c104HalfEfEEEviT0_T1_T2_T3_T4_T5_,comdat
.Lfunc_end62:
	.size	_ZN2at6native39vectorized_templated_elementwise_kernelILi2ENS0_13BinaryFunctorIfffZZZNS0_12_GLOBAL__N_133hermite_polynomial_he_kernel_cudaERNS_18TensorIteratorBaseEENKUlvE_clEvENKUlvE0_clEvEUlffE_EESt5arrayIPcLm3EE23TrivialOffsetCalculatorILi2EjESD_ILi1EjENS0_6memory12LoadWithCastILi2EEENSG_13StoreWithCastILi1EEEfJN3c104HalfEfEEEviT0_T1_T2_T3_T4_T5_, .Lfunc_end62-_ZN2at6native39vectorized_templated_elementwise_kernelILi2ENS0_13BinaryFunctorIfffZZZNS0_12_GLOBAL__N_133hermite_polynomial_he_kernel_cudaERNS_18TensorIteratorBaseEENKUlvE_clEvENKUlvE0_clEvEUlffE_EESt5arrayIPcLm3EE23TrivialOffsetCalculatorILi2EjESD_ILi1EjENS0_6memory12LoadWithCastILi2EEENSG_13StoreWithCastILi1EEEfJN3c104HalfEfEEEviT0_T1_T2_T3_T4_T5_
                                        ; -- End function
	.section	.AMDGPU.csdata,"",@progbits
; Kernel info:
; codeLenInByte = 9776
; NumSgprs: 104
; NumVgprs: 120
; NumAgprs: 0
; TotalNumVgprs: 120
; ScratchSize: 288
; MemoryBound: 0
; FloatMode: 240
; IeeeMode: 1
; LDSByteSize: 0 bytes/workgroup (compile time only)
; SGPRBlocks: 12
; VGPRBlocks: 14
; NumSGPRsForWavesPerEU: 104
; NumVGPRsForWavesPerEU: 120
; AccumOffset: 120
; Occupancy: 4
; WaveLimiterHint : 0
; COMPUTE_PGM_RSRC2:SCRATCH_EN: 1
; COMPUTE_PGM_RSRC2:USER_SGPR: 8
; COMPUTE_PGM_RSRC2:TRAP_HANDLER: 0
; COMPUTE_PGM_RSRC2:TGID_X_EN: 1
; COMPUTE_PGM_RSRC2:TGID_Y_EN: 0
; COMPUTE_PGM_RSRC2:TGID_Z_EN: 0
; COMPUTE_PGM_RSRC2:TIDIG_COMP_CNT: 0
; COMPUTE_PGM_RSRC3_GFX90A:ACCUM_OFFSET: 29
; COMPUTE_PGM_RSRC3_GFX90A:TG_SPLIT: 0
	.section	.text._ZN2at6native39vectorized_templated_elementwise_kernelILi8ENS0_13BinaryFunctorIfffZZZNS0_12_GLOBAL__N_133hermite_polynomial_he_kernel_cudaERNS_18TensorIteratorBaseEENKUlvE_clEvENKUlvE0_clEvEUlffE_EESt5arrayIPcLm3EE23TrivialOffsetCalculatorILi2EjESD_ILi1EjENS0_6memory12LoadWithCastILi2EEENSG_13StoreWithCastILi1EEEN3c104HalfEJSM_fEEEviT0_T1_T2_T3_T4_T5_,"axG",@progbits,_ZN2at6native39vectorized_templated_elementwise_kernelILi8ENS0_13BinaryFunctorIfffZZZNS0_12_GLOBAL__N_133hermite_polynomial_he_kernel_cudaERNS_18TensorIteratorBaseEENKUlvE_clEvENKUlvE0_clEvEUlffE_EESt5arrayIPcLm3EE23TrivialOffsetCalculatorILi2EjESD_ILi1EjENS0_6memory12LoadWithCastILi2EEENSG_13StoreWithCastILi1EEEN3c104HalfEJSM_fEEEviT0_T1_T2_T3_T4_T5_,comdat
	.globl	_ZN2at6native39vectorized_templated_elementwise_kernelILi8ENS0_13BinaryFunctorIfffZZZNS0_12_GLOBAL__N_133hermite_polynomial_he_kernel_cudaERNS_18TensorIteratorBaseEENKUlvE_clEvENKUlvE0_clEvEUlffE_EESt5arrayIPcLm3EE23TrivialOffsetCalculatorILi2EjESD_ILi1EjENS0_6memory12LoadWithCastILi2EEENSG_13StoreWithCastILi1EEEN3c104HalfEJSM_fEEEviT0_T1_T2_T3_T4_T5_ ; -- Begin function _ZN2at6native39vectorized_templated_elementwise_kernelILi8ENS0_13BinaryFunctorIfffZZZNS0_12_GLOBAL__N_133hermite_polynomial_he_kernel_cudaERNS_18TensorIteratorBaseEENKUlvE_clEvENKUlvE0_clEvEUlffE_EESt5arrayIPcLm3EE23TrivialOffsetCalculatorILi2EjESD_ILi1EjENS0_6memory12LoadWithCastILi2EEENSG_13StoreWithCastILi1EEEN3c104HalfEJSM_fEEEviT0_T1_T2_T3_T4_T5_
	.p2align	8
	.type	_ZN2at6native39vectorized_templated_elementwise_kernelILi8ENS0_13BinaryFunctorIfffZZZNS0_12_GLOBAL__N_133hermite_polynomial_he_kernel_cudaERNS_18TensorIteratorBaseEENKUlvE_clEvENKUlvE0_clEvEUlffE_EESt5arrayIPcLm3EE23TrivialOffsetCalculatorILi2EjESD_ILi1EjENS0_6memory12LoadWithCastILi2EEENSG_13StoreWithCastILi1EEEN3c104HalfEJSM_fEEEviT0_T1_T2_T3_T4_T5_,@function
_ZN2at6native39vectorized_templated_elementwise_kernelILi8ENS0_13BinaryFunctorIfffZZZNS0_12_GLOBAL__N_133hermite_polynomial_he_kernel_cudaERNS_18TensorIteratorBaseEENKUlvE_clEvENKUlvE0_clEvEUlffE_EESt5arrayIPcLm3EE23TrivialOffsetCalculatorILi2EjESD_ILi1EjENS0_6memory12LoadWithCastILi2EEENSG_13StoreWithCastILi1EEEN3c104HalfEJSM_fEEEviT0_T1_T2_T3_T4_T5_: ; @_ZN2at6native39vectorized_templated_elementwise_kernelILi8ENS0_13BinaryFunctorIfffZZZNS0_12_GLOBAL__N_133hermite_polynomial_he_kernel_cudaERNS_18TensorIteratorBaseEENKUlvE_clEvENKUlvE0_clEvEUlffE_EESt5arrayIPcLm3EE23TrivialOffsetCalculatorILi2EjESD_ILi1EjENS0_6memory12LoadWithCastILi2EEENSG_13StoreWithCastILi1EEEN3c104HalfEJSM_fEEEviT0_T1_T2_T3_T4_T5_
; %bb.0:
	s_add_u32 flat_scratch_lo, s6, s9
	s_addc_u32 flat_scratch_hi, s7, 0
	s_add_u32 s0, s0, s9
	s_mov_b32 s12, s8
	s_load_dword s8, s[4:5], 0x38
	s_load_dwordx2 s[6:7], s[4:5], 0x18
	s_load_dword s9, s[4:5], 0x0
	s_load_dwordx4 s[16:19], s[4:5], 0x8
	s_addc_u32 s1, s1, 0
	s_not_b32 s10, s12
	s_waitcnt lgkmcnt(0)
	s_add_i32 s8, s8, s10
	s_lshl_b32 s10, s8, 14
	s_sub_i32 s13, s9, s10
	s_cmpk_gt_i32 s13, 0x3fff
	s_mov_b64 s[8:9], -1
	s_mov_b32 s32, 0
	s_cbranch_scc1 .LBB63_3
; %bb.1:
	s_and_b64 vcc, exec, s[8:9]
	s_cbranch_vccnz .LBB63_388
.LBB63_2:
	s_endpgm
.LBB63_3:
	s_ashr_i32 s11, s10, 31
	s_lshl_b64 s[8:9], s[10:11], 1
	s_add_u32 s14, s18, s8
	s_addc_u32 s15, s19, s9
	v_lshlrev_b32_e32 v52, 4, v0
	v_mov_b32_e32 v1, s15
	v_add_co_u32_e32 v4, vcc, s14, v52
	v_addc_co_u32_e32 v5, vcc, 0, v1, vcc
	v_add_co_u32_e32 v2, vcc, 0x2000, v4
	v_addc_co_u32_e32 v3, vcc, 0, v5, vcc
	v_or_b32_e32 v8, 0x400, v0
	s_lshl_b64 s[10:11], s[10:11], 2
	v_lshlrev_b32_e32 v1, 4, v8
	v_add_co_u32_e32 v6, vcc, 0x6000, v4
	s_add_u32 s10, s6, s10
	global_load_dwordx4 v[38:41], v52, s[14:15]
	global_load_dwordx4 v[26:29], v[2:3], off
	v_addc_co_u32_e32 v7, vcc, 0, v5, vcc
	global_load_dwordx4 v[14:17], v1, s[14:15]
	global_load_dwordx4 v[2:5], v[6:7], off
	s_addc_u32 s11, s7, s11
	v_lshlrev_b32_e32 v6, 5, v0
	global_load_dwordx4 v[42:45], v6, s[10:11] offset:16
	global_load_dwordx4 v[46:49], v6, s[10:11]
	v_mov_b32_e32 v7, s11
	v_add_co_u32_e32 v9, vcc, s10, v6
	v_addc_co_u32_e32 v10, vcc, 0, v7, vcc
	s_movk_i32 s14, 0x4000
	v_add_co_u32_e32 v6, vcc, s14, v9
	v_addc_co_u32_e32 v7, vcc, 0, v10, vcc
	global_load_dwordx4 v[34:37], v[6:7], off
	global_load_dwordx4 v[30:33], v[6:7], off offset:16
	v_lshlrev_b32_e32 v6, 5, v8
	global_load_dwordx4 v[18:21], v6, s[10:11] offset:16
	global_load_dwordx4 v[22:25], v6, s[10:11]
	s_mov_b32 s10, 0xc000
	v_add_co_u32_e32 v50, vcc, s10, v9
	v_addc_co_u32_e32 v51, vcc, 0, v10, vcc
	global_load_dwordx4 v[10:13], v[50:51], off
	global_load_dwordx4 v[6:9], v[50:51], off offset:16
	v_mov_b32_e32 v53, 0
	s_waitcnt vmcnt(6)
	v_cvt_f16_f32_e32 v46, v46
	v_cvt_f32_f16_e32 v46, v46
	v_cvt_i32_f32_e32 v50, v46
	v_ashrrev_i32_e32 v51, 31, v50
	v_cmp_lt_i64_e32 vcc, -1, v[50:51]
	s_and_saveexec_b64 s[10:11], vcc
	s_cbranch_execz .LBB63_15
; %bb.4:
	v_cmp_lt_i64_e32 vcc, 0, v[50:51]
	v_mov_b32_e32 v53, 1.0
	s_and_saveexec_b64 s[14:15], vcc
	s_cbranch_execz .LBB63_14
; %bb.5:
	v_cvt_f32_f16_e32 v46, v38
	v_cmp_ne_u64_e32 vcc, 1, v[50:51]
                                        ; implicit-def: $vgpr53
	s_and_saveexec_b64 s[20:21], vcc
	s_xor_b64 s[20:21], exec, s[20:21]
	s_cbranch_execz .LBB63_11
; %bb.6:
	s_mov_b64 s[22:23], 0x81
	v_cmp_gt_u64_e32 vcc, s[22:23], v[50:51]
	v_mov_b32_e32 v53, 0x7fc00000
	s_and_saveexec_b64 s[22:23], vcc
	s_cbranch_execz .LBB63_10
; %bb.7:
	s_mov_b64 s[26:27], 1
	s_mov_b64 s[24:25], 0
	v_mov_b32_e32 v54, 1.0
	v_mov_b32_e32 v53, v46
.LBB63_8:                               ; =>This Inner Loop Header: Depth=1
	s_flbit_i32_b32 s28, s27
	s_min_u32 s30, s28, 32
	s_lshl_b64 s[28:29], s[26:27], s30
	s_min_u32 s28, s28, 1
	s_or_b32 s28, s29, s28
	v_cvt_f32_u32_e32 v55, s28
	s_sub_i32 s30, 32, s30
	s_add_u32 s26, s26, 1
	s_addc_u32 s27, s27, 0
	v_ldexp_f32 v55, v55, s30
	v_cmp_eq_u64_e32 vcc, s[26:27], v[50:51]
	v_mul_f32_e32 v55, v54, v55
	s_or_b64 s[24:25], vcc, s[24:25]
	v_mov_b32_e32 v54, v53
	v_fma_f32 v53, v53, v46, -v55
	s_andn2_b64 exec, exec, s[24:25]
	s_cbranch_execnz .LBB63_8
; %bb.9:
	s_or_b64 exec, exec, s[24:25]
.LBB63_10:
	s_or_b64 exec, exec, s[22:23]
                                        ; implicit-def: $vgpr46
.LBB63_11:
	s_andn2_saveexec_b64 s[20:21], s[20:21]
; %bb.12:
	v_mov_b32_e32 v53, v46
; %bb.13:
	s_or_b64 exec, exec, s[20:21]
.LBB63_14:
	s_or_b64 exec, exec, s[14:15]
.LBB63_15:
	s_or_b64 exec, exec, s[10:11]
	v_cvt_f16_f32_e32 v46, v47
	v_mov_b32_e32 v50, 0
	v_cvt_f32_f16_e32 v46, v46
	v_cvt_i32_f32_e32 v46, v46
	v_ashrrev_i32_e32 v47, 31, v46
	v_cmp_lt_i64_e32 vcc, -1, v[46:47]
	s_and_saveexec_b64 s[10:11], vcc
	s_cbranch_execz .LBB63_27
; %bb.16:
	v_cmp_lt_i64_e32 vcc, 0, v[46:47]
	v_mov_b32_e32 v50, 1.0
	s_and_saveexec_b64 s[14:15], vcc
	s_cbranch_execz .LBB63_26
; %bb.17:
	v_cvt_f32_f16_sdwa v38, v38 dst_sel:DWORD dst_unused:UNUSED_PAD src0_sel:WORD_1
	v_cmp_ne_u64_e32 vcc, 1, v[46:47]
                                        ; implicit-def: $vgpr50
	s_and_saveexec_b64 s[20:21], vcc
	s_xor_b64 s[20:21], exec, s[20:21]
	s_cbranch_execz .LBB63_23
; %bb.18:
	s_mov_b64 s[22:23], 0x81
	v_cmp_gt_u64_e32 vcc, s[22:23], v[46:47]
	v_mov_b32_e32 v50, 0x7fc00000
	s_and_saveexec_b64 s[22:23], vcc
	s_cbranch_execz .LBB63_22
; %bb.19:
	s_mov_b64 s[26:27], 1
	s_mov_b64 s[24:25], 0
	v_mov_b32_e32 v51, 1.0
	v_mov_b32_e32 v50, v38
.LBB63_20:                              ; =>This Inner Loop Header: Depth=1
	s_flbit_i32_b32 s28, s27
	s_min_u32 s30, s28, 32
	s_lshl_b64 s[28:29], s[26:27], s30
	s_min_u32 s28, s28, 1
	s_or_b32 s28, s29, s28
	v_cvt_f32_u32_e32 v54, s28
	s_sub_i32 s30, 32, s30
	s_add_u32 s26, s26, 1
	s_addc_u32 s27, s27, 0
	v_ldexp_f32 v54, v54, s30
	v_cmp_eq_u64_e32 vcc, s[26:27], v[46:47]
	v_mul_f32_e32 v54, v51, v54
	s_or_b64 s[24:25], vcc, s[24:25]
	v_mov_b32_e32 v51, v50
	v_fma_f32 v50, v50, v38, -v54
	s_andn2_b64 exec, exec, s[24:25]
	s_cbranch_execnz .LBB63_20
; %bb.21:
	s_or_b64 exec, exec, s[24:25]
.LBB63_22:
	s_or_b64 exec, exec, s[22:23]
                                        ; implicit-def: $vgpr38
.LBB63_23:
	s_andn2_saveexec_b64 s[20:21], s[20:21]
; %bb.24:
	v_mov_b32_e32 v50, v38
; %bb.25:
	s_or_b64 exec, exec, s[20:21]
.LBB63_26:
	s_or_b64 exec, exec, s[14:15]
.LBB63_27:
	s_or_b64 exec, exec, s[10:11]
	v_cvt_f16_f32_e32 v38, v48
	v_mov_b32_e32 v48, 0
	v_cvt_f32_f16_e32 v38, v38
	v_cvt_i32_f32_e32 v46, v38
	v_ashrrev_i32_e32 v47, 31, v46
	v_cmp_lt_i64_e32 vcc, -1, v[46:47]
	s_and_saveexec_b64 s[10:11], vcc
	s_cbranch_execz .LBB63_39
; %bb.28:
	v_cmp_lt_i64_e32 vcc, 0, v[46:47]
	v_mov_b32_e32 v48, 1.0
	s_and_saveexec_b64 s[14:15], vcc
	s_cbranch_execz .LBB63_38
; %bb.29:
	v_cvt_f32_f16_e32 v38, v39
	v_cmp_ne_u64_e32 vcc, 1, v[46:47]
                                        ; implicit-def: $vgpr48
	s_and_saveexec_b64 s[20:21], vcc
	s_xor_b64 s[20:21], exec, s[20:21]
	s_cbranch_execz .LBB63_35
; %bb.30:
	s_mov_b64 s[22:23], 0x81
	v_cmp_gt_u64_e32 vcc, s[22:23], v[46:47]
	v_mov_b32_e32 v48, 0x7fc00000
	s_and_saveexec_b64 s[22:23], vcc
	s_cbranch_execz .LBB63_34
; %bb.31:
	s_mov_b64 s[26:27], 1
	s_mov_b64 s[24:25], 0
	v_mov_b32_e32 v51, 1.0
	v_mov_b32_e32 v48, v38
.LBB63_32:                              ; =>This Inner Loop Header: Depth=1
	s_flbit_i32_b32 s28, s27
	s_min_u32 s30, s28, 32
	s_lshl_b64 s[28:29], s[26:27], s30
	s_min_u32 s28, s28, 1
	s_or_b32 s28, s29, s28
	v_cvt_f32_u32_e32 v54, s28
	s_sub_i32 s30, 32, s30
	s_add_u32 s26, s26, 1
	s_addc_u32 s27, s27, 0
	v_ldexp_f32 v54, v54, s30
	v_cmp_eq_u64_e32 vcc, s[26:27], v[46:47]
	v_mul_f32_e32 v54, v51, v54
	s_or_b64 s[24:25], vcc, s[24:25]
	v_mov_b32_e32 v51, v48
	v_fma_f32 v48, v48, v38, -v54
	s_andn2_b64 exec, exec, s[24:25]
	s_cbranch_execnz .LBB63_32
; %bb.33:
	s_or_b64 exec, exec, s[24:25]
.LBB63_34:
	s_or_b64 exec, exec, s[22:23]
                                        ; implicit-def: $vgpr38
.LBB63_35:
	s_andn2_saveexec_b64 s[20:21], s[20:21]
; %bb.36:
	v_mov_b32_e32 v48, v38
; %bb.37:
	s_or_b64 exec, exec, s[20:21]
.LBB63_38:
	s_or_b64 exec, exec, s[14:15]
.LBB63_39:
	s_or_b64 exec, exec, s[10:11]
	v_cvt_f16_f32_e32 v38, v49
	v_mov_b32_e32 v49, 0
	v_cvt_f32_f16_e32 v38, v38
	v_cvt_i32_f32_e32 v46, v38
	v_ashrrev_i32_e32 v47, 31, v46
	v_cmp_lt_i64_e32 vcc, -1, v[46:47]
	s_and_saveexec_b64 s[10:11], vcc
	s_cbranch_execz .LBB63_51
; %bb.40:
	v_cmp_lt_i64_e32 vcc, 0, v[46:47]
	v_mov_b32_e32 v49, 1.0
	s_and_saveexec_b64 s[14:15], vcc
	s_cbranch_execz .LBB63_50
; %bb.41:
	v_cvt_f32_f16_sdwa v38, v39 dst_sel:DWORD dst_unused:UNUSED_PAD src0_sel:WORD_1
	v_cmp_ne_u64_e32 vcc, 1, v[46:47]
                                        ; implicit-def: $vgpr49
	s_and_saveexec_b64 s[20:21], vcc
	s_xor_b64 s[20:21], exec, s[20:21]
	s_cbranch_execz .LBB63_47
; %bb.42:
	s_mov_b64 s[22:23], 0x81
	v_cmp_gt_u64_e32 vcc, s[22:23], v[46:47]
	v_mov_b32_e32 v49, 0x7fc00000
	s_and_saveexec_b64 s[22:23], vcc
	s_cbranch_execz .LBB63_46
; %bb.43:
	s_mov_b64 s[26:27], 1
	s_mov_b64 s[24:25], 0
	v_mov_b32_e32 v39, 1.0
	v_mov_b32_e32 v49, v38
.LBB63_44:                              ; =>This Inner Loop Header: Depth=1
	s_flbit_i32_b32 s28, s27
	s_min_u32 s30, s28, 32
	s_lshl_b64 s[28:29], s[26:27], s30
	s_min_u32 s28, s28, 1
	s_or_b32 s28, s29, s28
	v_cvt_f32_u32_e32 v51, s28
	s_sub_i32 s30, 32, s30
	s_add_u32 s26, s26, 1
	s_addc_u32 s27, s27, 0
	v_ldexp_f32 v51, v51, s30
	v_cmp_eq_u64_e32 vcc, s[26:27], v[46:47]
	v_mul_f32_e32 v51, v39, v51
	s_or_b64 s[24:25], vcc, s[24:25]
	v_mov_b32_e32 v39, v49
	v_fma_f32 v49, v49, v38, -v51
	s_andn2_b64 exec, exec, s[24:25]
	s_cbranch_execnz .LBB63_44
; %bb.45:
	s_or_b64 exec, exec, s[24:25]
.LBB63_46:
	s_or_b64 exec, exec, s[22:23]
                                        ; implicit-def: $vgpr38
.LBB63_47:
	s_andn2_saveexec_b64 s[20:21], s[20:21]
; %bb.48:
	v_mov_b32_e32 v49, v38
; %bb.49:
	s_or_b64 exec, exec, s[20:21]
.LBB63_50:
	s_or_b64 exec, exec, s[14:15]
.LBB63_51:
	s_or_b64 exec, exec, s[10:11]
	v_cvt_f16_f32_e32 v38, v42
	v_mov_b32_e32 v42, 0
	v_cvt_f32_f16_e32 v38, v38
	v_cvt_i32_f32_e32 v38, v38
	v_ashrrev_i32_e32 v39, 31, v38
	v_cmp_lt_i64_e32 vcc, -1, v[38:39]
	s_and_saveexec_b64 s[10:11], vcc
	s_cbranch_execz .LBB63_63
; %bb.52:
	v_cmp_lt_i64_e32 vcc, 0, v[38:39]
	v_mov_b32_e32 v42, 1.0
	s_and_saveexec_b64 s[14:15], vcc
	s_cbranch_execz .LBB63_62
; %bb.53:
	v_cvt_f32_f16_e32 v46, v40
	v_cmp_ne_u64_e32 vcc, 1, v[38:39]
                                        ; implicit-def: $vgpr42
	s_and_saveexec_b64 s[20:21], vcc
	s_xor_b64 s[20:21], exec, s[20:21]
	s_cbranch_execz .LBB63_59
; %bb.54:
	s_mov_b64 s[22:23], 0x81
	v_cmp_gt_u64_e32 vcc, s[22:23], v[38:39]
	v_mov_b32_e32 v42, 0x7fc00000
	s_and_saveexec_b64 s[22:23], vcc
	s_cbranch_execz .LBB63_58
; %bb.55:
	s_mov_b64 s[26:27], 1
	s_mov_b64 s[24:25], 0
	v_mov_b32_e32 v47, 1.0
	v_mov_b32_e32 v42, v46
.LBB63_56:                              ; =>This Inner Loop Header: Depth=1
	s_flbit_i32_b32 s28, s27
	s_min_u32 s30, s28, 32
	s_lshl_b64 s[28:29], s[26:27], s30
	s_min_u32 s28, s28, 1
	s_or_b32 s28, s29, s28
	v_cvt_f32_u32_e32 v51, s28
	s_sub_i32 s30, 32, s30
	s_add_u32 s26, s26, 1
	s_addc_u32 s27, s27, 0
	v_ldexp_f32 v51, v51, s30
	v_cmp_eq_u64_e32 vcc, s[26:27], v[38:39]
	v_mul_f32_e32 v51, v47, v51
	s_or_b64 s[24:25], vcc, s[24:25]
	v_mov_b32_e32 v47, v42
	v_fma_f32 v42, v42, v46, -v51
	s_andn2_b64 exec, exec, s[24:25]
	s_cbranch_execnz .LBB63_56
; %bb.57:
	s_or_b64 exec, exec, s[24:25]
.LBB63_58:
	s_or_b64 exec, exec, s[22:23]
                                        ; implicit-def: $vgpr46
.LBB63_59:
	s_andn2_saveexec_b64 s[20:21], s[20:21]
; %bb.60:
	v_mov_b32_e32 v42, v46
; %bb.61:
	s_or_b64 exec, exec, s[20:21]
.LBB63_62:
	s_or_b64 exec, exec, s[14:15]
.LBB63_63:
	s_or_b64 exec, exec, s[10:11]
	v_cvt_f16_f32_e32 v38, v43
	v_mov_b32_e32 v43, 0
	v_cvt_f32_f16_e32 v38, v38
	v_cvt_i32_f32_e32 v38, v38
	v_ashrrev_i32_e32 v39, 31, v38
	v_cmp_lt_i64_e32 vcc, -1, v[38:39]
	s_and_saveexec_b64 s[10:11], vcc
	s_cbranch_execz .LBB63_75
; %bb.64:
	v_cmp_lt_i64_e32 vcc, 0, v[38:39]
	v_mov_b32_e32 v43, 1.0
	s_and_saveexec_b64 s[14:15], vcc
	s_cbranch_execz .LBB63_74
; %bb.65:
	v_cvt_f32_f16_sdwa v40, v40 dst_sel:DWORD dst_unused:UNUSED_PAD src0_sel:WORD_1
	v_cmp_ne_u64_e32 vcc, 1, v[38:39]
                                        ; implicit-def: $vgpr43
	s_and_saveexec_b64 s[20:21], vcc
	s_xor_b64 s[20:21], exec, s[20:21]
	s_cbranch_execz .LBB63_71
; %bb.66:
	s_mov_b64 s[22:23], 0x81
	v_cmp_gt_u64_e32 vcc, s[22:23], v[38:39]
	v_mov_b32_e32 v43, 0x7fc00000
	s_and_saveexec_b64 s[22:23], vcc
	s_cbranch_execz .LBB63_70
; %bb.67:
	s_mov_b64 s[26:27], 1
	s_mov_b64 s[24:25], 0
	v_mov_b32_e32 v46, 1.0
	v_mov_b32_e32 v43, v40
.LBB63_68:                              ; =>This Inner Loop Header: Depth=1
	s_flbit_i32_b32 s28, s27
	s_min_u32 s30, s28, 32
	s_lshl_b64 s[28:29], s[26:27], s30
	s_min_u32 s28, s28, 1
	s_or_b32 s28, s29, s28
	v_cvt_f32_u32_e32 v47, s28
	s_sub_i32 s30, 32, s30
	s_add_u32 s26, s26, 1
	s_addc_u32 s27, s27, 0
	v_ldexp_f32 v47, v47, s30
	v_cmp_eq_u64_e32 vcc, s[26:27], v[38:39]
	v_mul_f32_e32 v47, v46, v47
	s_or_b64 s[24:25], vcc, s[24:25]
	v_mov_b32_e32 v46, v43
	v_fma_f32 v43, v43, v40, -v47
	s_andn2_b64 exec, exec, s[24:25]
	s_cbranch_execnz .LBB63_68
; %bb.69:
	s_or_b64 exec, exec, s[24:25]
.LBB63_70:
	s_or_b64 exec, exec, s[22:23]
                                        ; implicit-def: $vgpr40
.LBB63_71:
	s_andn2_saveexec_b64 s[20:21], s[20:21]
; %bb.72:
	v_mov_b32_e32 v43, v40
; %bb.73:
	s_or_b64 exec, exec, s[20:21]
.LBB63_74:
	s_or_b64 exec, exec, s[14:15]
.LBB63_75:
	s_or_b64 exec, exec, s[10:11]
	v_cvt_f16_f32_e32 v38, v44
	v_mov_b32_e32 v40, 0
	v_cvt_f32_f16_e32 v38, v38
	v_cvt_i32_f32_e32 v38, v38
	v_ashrrev_i32_e32 v39, 31, v38
	v_cmp_lt_i64_e32 vcc, -1, v[38:39]
	s_and_saveexec_b64 s[10:11], vcc
	s_cbranch_execz .LBB63_87
; %bb.76:
	v_cmp_lt_i64_e32 vcc, 0, v[38:39]
	v_mov_b32_e32 v40, 1.0
	s_and_saveexec_b64 s[14:15], vcc
	s_cbranch_execz .LBB63_86
; %bb.77:
	v_cvt_f32_f16_e32 v44, v41
	v_cmp_ne_u64_e32 vcc, 1, v[38:39]
                                        ; implicit-def: $vgpr40
	s_and_saveexec_b64 s[20:21], vcc
	s_xor_b64 s[20:21], exec, s[20:21]
	s_cbranch_execz .LBB63_83
; %bb.78:
	s_mov_b64 s[22:23], 0x81
	v_cmp_gt_u64_e32 vcc, s[22:23], v[38:39]
	v_mov_b32_e32 v40, 0x7fc00000
	s_and_saveexec_b64 s[22:23], vcc
	s_cbranch_execz .LBB63_82
; %bb.79:
	s_mov_b64 s[26:27], 1
	s_mov_b64 s[24:25], 0
	v_mov_b32_e32 v46, 1.0
	v_mov_b32_e32 v40, v44
.LBB63_80:                              ; =>This Inner Loop Header: Depth=1
	s_flbit_i32_b32 s28, s27
	s_min_u32 s30, s28, 32
	s_lshl_b64 s[28:29], s[26:27], s30
	s_min_u32 s28, s28, 1
	s_or_b32 s28, s29, s28
	v_cvt_f32_u32_e32 v47, s28
	s_sub_i32 s30, 32, s30
	s_add_u32 s26, s26, 1
	s_addc_u32 s27, s27, 0
	v_ldexp_f32 v47, v47, s30
	v_cmp_eq_u64_e32 vcc, s[26:27], v[38:39]
	v_mul_f32_e32 v47, v46, v47
	s_or_b64 s[24:25], vcc, s[24:25]
	v_mov_b32_e32 v46, v40
	v_fma_f32 v40, v40, v44, -v47
	s_andn2_b64 exec, exec, s[24:25]
	s_cbranch_execnz .LBB63_80
; %bb.81:
	s_or_b64 exec, exec, s[24:25]
.LBB63_82:
	s_or_b64 exec, exec, s[22:23]
                                        ; implicit-def: $vgpr44
.LBB63_83:
	s_andn2_saveexec_b64 s[20:21], s[20:21]
; %bb.84:
	v_mov_b32_e32 v40, v44
; %bb.85:
	s_or_b64 exec, exec, s[20:21]
.LBB63_86:
	s_or_b64 exec, exec, s[14:15]
.LBB63_87:
	s_or_b64 exec, exec, s[10:11]
	v_cvt_f16_f32_e32 v38, v45
	v_mov_b32_e32 v44, 0
	v_cvt_f32_f16_e32 v38, v38
	v_cvt_i32_f32_e32 v38, v38
	v_ashrrev_i32_e32 v39, 31, v38
	v_cmp_lt_i64_e32 vcc, -1, v[38:39]
	s_and_saveexec_b64 s[10:11], vcc
	s_cbranch_execz .LBB63_99
; %bb.88:
	v_cmp_lt_i64_e32 vcc, 0, v[38:39]
	v_mov_b32_e32 v44, 1.0
	s_and_saveexec_b64 s[14:15], vcc
	s_cbranch_execz .LBB63_98
; %bb.89:
	v_cvt_f32_f16_sdwa v41, v41 dst_sel:DWORD dst_unused:UNUSED_PAD src0_sel:WORD_1
	v_cmp_ne_u64_e32 vcc, 1, v[38:39]
                                        ; implicit-def: $vgpr44
	s_and_saveexec_b64 s[20:21], vcc
	s_xor_b64 s[20:21], exec, s[20:21]
	s_cbranch_execz .LBB63_95
; %bb.90:
	s_mov_b64 s[22:23], 0x81
	v_cmp_gt_u64_e32 vcc, s[22:23], v[38:39]
	v_mov_b32_e32 v44, 0x7fc00000
	s_and_saveexec_b64 s[22:23], vcc
	s_cbranch_execz .LBB63_94
; %bb.91:
	s_mov_b64 s[26:27], 1
	s_mov_b64 s[24:25], 0
	v_mov_b32_e32 v45, 1.0
	v_mov_b32_e32 v44, v41
.LBB63_92:                              ; =>This Inner Loop Header: Depth=1
	s_flbit_i32_b32 s28, s27
	s_min_u32 s30, s28, 32
	s_lshl_b64 s[28:29], s[26:27], s30
	s_min_u32 s28, s28, 1
	s_or_b32 s28, s29, s28
	v_cvt_f32_u32_e32 v46, s28
	s_sub_i32 s30, 32, s30
	s_add_u32 s26, s26, 1
	s_addc_u32 s27, s27, 0
	v_ldexp_f32 v46, v46, s30
	v_cmp_eq_u64_e32 vcc, s[26:27], v[38:39]
	v_mul_f32_e32 v46, v45, v46
	s_or_b64 s[24:25], vcc, s[24:25]
	v_mov_b32_e32 v45, v44
	v_fma_f32 v44, v44, v41, -v46
	s_andn2_b64 exec, exec, s[24:25]
	s_cbranch_execnz .LBB63_92
; %bb.93:
	s_or_b64 exec, exec, s[24:25]
.LBB63_94:
	s_or_b64 exec, exec, s[22:23]
                                        ; implicit-def: $vgpr41
.LBB63_95:
	s_andn2_saveexec_b64 s[20:21], s[20:21]
; %bb.96:
	v_mov_b32_e32 v44, v41
; %bb.97:
	s_or_b64 exec, exec, s[20:21]
.LBB63_98:
	s_or_b64 exec, exec, s[14:15]
.LBB63_99:
	s_or_b64 exec, exec, s[10:11]
	s_waitcnt vmcnt(5)
	v_cvt_f16_f32_e32 v34, v34
	v_mov_b32_e32 v41, 0
	v_cvt_f32_f16_e32 v34, v34
	v_cvt_i32_f32_e32 v38, v34
	v_ashrrev_i32_e32 v39, 31, v38
	v_cmp_lt_i64_e32 vcc, -1, v[38:39]
	s_and_saveexec_b64 s[10:11], vcc
	s_cbranch_execz .LBB63_111
; %bb.100:
	v_cmp_lt_i64_e32 vcc, 0, v[38:39]
	v_mov_b32_e32 v41, 1.0
	s_and_saveexec_b64 s[14:15], vcc
	s_cbranch_execz .LBB63_110
; %bb.101:
	v_cvt_f32_f16_e32 v34, v26
	v_cmp_ne_u64_e32 vcc, 1, v[38:39]
                                        ; implicit-def: $vgpr41
	s_and_saveexec_b64 s[20:21], vcc
	s_xor_b64 s[20:21], exec, s[20:21]
	s_cbranch_execz .LBB63_107
; %bb.102:
	s_mov_b64 s[22:23], 0x81
	v_cmp_gt_u64_e32 vcc, s[22:23], v[38:39]
	v_mov_b32_e32 v41, 0x7fc00000
	s_and_saveexec_b64 s[22:23], vcc
	s_cbranch_execz .LBB63_106
; %bb.103:
	s_mov_b64 s[26:27], 1
	s_mov_b64 s[24:25], 0
	v_mov_b32_e32 v45, 1.0
	v_mov_b32_e32 v41, v34
.LBB63_104:                             ; =>This Inner Loop Header: Depth=1
	s_flbit_i32_b32 s28, s27
	s_min_u32 s30, s28, 32
	s_lshl_b64 s[28:29], s[26:27], s30
	s_min_u32 s28, s28, 1
	s_or_b32 s28, s29, s28
	v_cvt_f32_u32_e32 v46, s28
	s_sub_i32 s30, 32, s30
	s_add_u32 s26, s26, 1
	s_addc_u32 s27, s27, 0
	v_ldexp_f32 v46, v46, s30
	v_cmp_eq_u64_e32 vcc, s[26:27], v[38:39]
	v_mul_f32_e32 v46, v45, v46
	s_or_b64 s[24:25], vcc, s[24:25]
	v_mov_b32_e32 v45, v41
	v_fma_f32 v41, v41, v34, -v46
	s_andn2_b64 exec, exec, s[24:25]
	s_cbranch_execnz .LBB63_104
; %bb.105:
	s_or_b64 exec, exec, s[24:25]
.LBB63_106:
	s_or_b64 exec, exec, s[22:23]
                                        ; implicit-def: $vgpr34
.LBB63_107:
	s_andn2_saveexec_b64 s[20:21], s[20:21]
; %bb.108:
	v_mov_b32_e32 v41, v34
; %bb.109:
	s_or_b64 exec, exec, s[20:21]
.LBB63_110:
	s_or_b64 exec, exec, s[14:15]
.LBB63_111:
	s_or_b64 exec, exec, s[10:11]
	v_cvt_f16_f32_e32 v34, v35
	v_mov_b32_e32 v38, 0
	v_cvt_f32_f16_e32 v34, v34
	v_cvt_i32_f32_e32 v34, v34
	v_ashrrev_i32_e32 v35, 31, v34
	v_cmp_lt_i64_e32 vcc, -1, v[34:35]
	s_and_saveexec_b64 s[10:11], vcc
	s_cbranch_execz .LBB63_123
; %bb.112:
	v_cmp_lt_i64_e32 vcc, 0, v[34:35]
	v_mov_b32_e32 v38, 1.0
	s_and_saveexec_b64 s[14:15], vcc
	s_cbranch_execz .LBB63_122
; %bb.113:
	v_cvt_f32_f16_sdwa v26, v26 dst_sel:DWORD dst_unused:UNUSED_PAD src0_sel:WORD_1
	v_cmp_ne_u64_e32 vcc, 1, v[34:35]
                                        ; implicit-def: $vgpr38
	s_and_saveexec_b64 s[20:21], vcc
	s_xor_b64 s[20:21], exec, s[20:21]
	s_cbranch_execz .LBB63_119
; %bb.114:
	s_mov_b64 s[22:23], 0x81
	v_cmp_gt_u64_e32 vcc, s[22:23], v[34:35]
	v_mov_b32_e32 v38, 0x7fc00000
	s_and_saveexec_b64 s[22:23], vcc
	s_cbranch_execz .LBB63_118
; %bb.115:
	s_mov_b64 s[26:27], 1
	s_mov_b64 s[24:25], 0
	v_mov_b32_e32 v39, 1.0
	v_mov_b32_e32 v38, v26
.LBB63_116:                             ; =>This Inner Loop Header: Depth=1
	s_flbit_i32_b32 s28, s27
	s_min_u32 s30, s28, 32
	s_lshl_b64 s[28:29], s[26:27], s30
	s_min_u32 s28, s28, 1
	s_or_b32 s28, s29, s28
	v_cvt_f32_u32_e32 v45, s28
	s_sub_i32 s30, 32, s30
	s_add_u32 s26, s26, 1
	s_addc_u32 s27, s27, 0
	v_ldexp_f32 v45, v45, s30
	v_cmp_eq_u64_e32 vcc, s[26:27], v[34:35]
	v_mul_f32_e32 v45, v39, v45
	s_or_b64 s[24:25], vcc, s[24:25]
	v_mov_b32_e32 v39, v38
	v_fma_f32 v38, v38, v26, -v45
	s_andn2_b64 exec, exec, s[24:25]
	s_cbranch_execnz .LBB63_116
; %bb.117:
	s_or_b64 exec, exec, s[24:25]
.LBB63_118:
	s_or_b64 exec, exec, s[22:23]
                                        ; implicit-def: $vgpr26
.LBB63_119:
	s_andn2_saveexec_b64 s[20:21], s[20:21]
; %bb.120:
	v_mov_b32_e32 v38, v26
; %bb.121:
	s_or_b64 exec, exec, s[20:21]
.LBB63_122:
	s_or_b64 exec, exec, s[14:15]
.LBB63_123:
	s_or_b64 exec, exec, s[10:11]
	v_cvt_f16_f32_e32 v26, v36
	v_mov_b32_e32 v36, 0
	v_cvt_f32_f16_e32 v26, v26
	v_cvt_i32_f32_e32 v34, v26
	v_ashrrev_i32_e32 v35, 31, v34
	v_cmp_lt_i64_e32 vcc, -1, v[34:35]
	s_and_saveexec_b64 s[10:11], vcc
	s_cbranch_execz .LBB63_135
; %bb.124:
	v_cmp_lt_i64_e32 vcc, 0, v[34:35]
	v_mov_b32_e32 v36, 1.0
	s_and_saveexec_b64 s[14:15], vcc
	s_cbranch_execz .LBB63_134
; %bb.125:
	v_cvt_f32_f16_e32 v26, v27
	v_cmp_ne_u64_e32 vcc, 1, v[34:35]
                                        ; implicit-def: $vgpr36
	s_and_saveexec_b64 s[20:21], vcc
	s_xor_b64 s[20:21], exec, s[20:21]
	s_cbranch_execz .LBB63_131
; %bb.126:
	s_mov_b64 s[22:23], 0x81
	v_cmp_gt_u64_e32 vcc, s[22:23], v[34:35]
	v_mov_b32_e32 v36, 0x7fc00000
	s_and_saveexec_b64 s[22:23], vcc
	s_cbranch_execz .LBB63_130
; %bb.127:
	s_mov_b64 s[26:27], 1
	s_mov_b64 s[24:25], 0
	v_mov_b32_e32 v39, 1.0
	v_mov_b32_e32 v36, v26
.LBB63_128:                             ; =>This Inner Loop Header: Depth=1
	s_flbit_i32_b32 s28, s27
	s_min_u32 s30, s28, 32
	s_lshl_b64 s[28:29], s[26:27], s30
	s_min_u32 s28, s28, 1
	s_or_b32 s28, s29, s28
	v_cvt_f32_u32_e32 v45, s28
	s_sub_i32 s30, 32, s30
	s_add_u32 s26, s26, 1
	s_addc_u32 s27, s27, 0
	v_ldexp_f32 v45, v45, s30
	v_cmp_eq_u64_e32 vcc, s[26:27], v[34:35]
	v_mul_f32_e32 v45, v39, v45
	s_or_b64 s[24:25], vcc, s[24:25]
	v_mov_b32_e32 v39, v36
	v_fma_f32 v36, v36, v26, -v45
	s_andn2_b64 exec, exec, s[24:25]
	s_cbranch_execnz .LBB63_128
; %bb.129:
	s_or_b64 exec, exec, s[24:25]
.LBB63_130:
	s_or_b64 exec, exec, s[22:23]
                                        ; implicit-def: $vgpr26
.LBB63_131:
	s_andn2_saveexec_b64 s[20:21], s[20:21]
; %bb.132:
	v_mov_b32_e32 v36, v26
; %bb.133:
	s_or_b64 exec, exec, s[20:21]
.LBB63_134:
	s_or_b64 exec, exec, s[14:15]
.LBB63_135:
	s_or_b64 exec, exec, s[10:11]
	v_cvt_f16_f32_e32 v26, v37
	v_mov_b32_e32 v37, 0
	v_cvt_f32_f16_e32 v26, v26
	v_cvt_i32_f32_e32 v34, v26
	v_ashrrev_i32_e32 v35, 31, v34
	v_cmp_lt_i64_e32 vcc, -1, v[34:35]
	s_and_saveexec_b64 s[10:11], vcc
	s_cbranch_execz .LBB63_147
; %bb.136:
	v_cmp_lt_i64_e32 vcc, 0, v[34:35]
	v_mov_b32_e32 v37, 1.0
	s_and_saveexec_b64 s[14:15], vcc
	s_cbranch_execz .LBB63_146
; %bb.137:
	v_cvt_f32_f16_sdwa v26, v27 dst_sel:DWORD dst_unused:UNUSED_PAD src0_sel:WORD_1
	v_cmp_ne_u64_e32 vcc, 1, v[34:35]
                                        ; implicit-def: $vgpr37
	s_and_saveexec_b64 s[20:21], vcc
	s_xor_b64 s[20:21], exec, s[20:21]
	s_cbranch_execz .LBB63_143
; %bb.138:
	s_mov_b64 s[22:23], 0x81
	v_cmp_gt_u64_e32 vcc, s[22:23], v[34:35]
	v_mov_b32_e32 v37, 0x7fc00000
	s_and_saveexec_b64 s[22:23], vcc
	s_cbranch_execz .LBB63_142
; %bb.139:
	s_mov_b64 s[26:27], 1
	s_mov_b64 s[24:25], 0
	v_mov_b32_e32 v27, 1.0
	v_mov_b32_e32 v37, v26
.LBB63_140:                             ; =>This Inner Loop Header: Depth=1
	s_flbit_i32_b32 s28, s27
	s_min_u32 s30, s28, 32
	s_lshl_b64 s[28:29], s[26:27], s30
	s_min_u32 s28, s28, 1
	s_or_b32 s28, s29, s28
	v_cvt_f32_u32_e32 v39, s28
	s_sub_i32 s30, 32, s30
	s_add_u32 s26, s26, 1
	s_addc_u32 s27, s27, 0
	v_ldexp_f32 v39, v39, s30
	v_cmp_eq_u64_e32 vcc, s[26:27], v[34:35]
	v_mul_f32_e32 v39, v27, v39
	s_or_b64 s[24:25], vcc, s[24:25]
	v_mov_b32_e32 v27, v37
	v_fma_f32 v37, v37, v26, -v39
	s_andn2_b64 exec, exec, s[24:25]
	s_cbranch_execnz .LBB63_140
; %bb.141:
	s_or_b64 exec, exec, s[24:25]
.LBB63_142:
	s_or_b64 exec, exec, s[22:23]
                                        ; implicit-def: $vgpr26
.LBB63_143:
	s_andn2_saveexec_b64 s[20:21], s[20:21]
; %bb.144:
	v_mov_b32_e32 v37, v26
; %bb.145:
	s_or_b64 exec, exec, s[20:21]
.LBB63_146:
	s_or_b64 exec, exec, s[14:15]
.LBB63_147:
	s_or_b64 exec, exec, s[10:11]
	s_waitcnt vmcnt(4)
	v_cvt_f16_f32_e32 v26, v30
	v_mov_b32_e32 v30, 0
	v_cvt_f32_f16_e32 v26, v26
	v_cvt_i32_f32_e32 v26, v26
	v_ashrrev_i32_e32 v27, 31, v26
	v_cmp_lt_i64_e32 vcc, -1, v[26:27]
	s_and_saveexec_b64 s[10:11], vcc
	s_cbranch_execz .LBB63_159
; %bb.148:
	v_cmp_lt_i64_e32 vcc, 0, v[26:27]
	v_mov_b32_e32 v30, 1.0
	s_and_saveexec_b64 s[14:15], vcc
	s_cbranch_execz .LBB63_158
; %bb.149:
	v_cvt_f32_f16_e32 v34, v28
	v_cmp_ne_u64_e32 vcc, 1, v[26:27]
                                        ; implicit-def: $vgpr30
	s_and_saveexec_b64 s[20:21], vcc
	s_xor_b64 s[20:21], exec, s[20:21]
	s_cbranch_execz .LBB63_155
; %bb.150:
	s_mov_b64 s[22:23], 0x81
	v_cmp_gt_u64_e32 vcc, s[22:23], v[26:27]
	v_mov_b32_e32 v30, 0x7fc00000
	s_and_saveexec_b64 s[22:23], vcc
	s_cbranch_execz .LBB63_154
; %bb.151:
	s_mov_b64 s[26:27], 1
	s_mov_b64 s[24:25], 0
	v_mov_b32_e32 v35, 1.0
	v_mov_b32_e32 v30, v34
.LBB63_152:                             ; =>This Inner Loop Header: Depth=1
	s_flbit_i32_b32 s28, s27
	s_min_u32 s30, s28, 32
	s_lshl_b64 s[28:29], s[26:27], s30
	s_min_u32 s28, s28, 1
	s_or_b32 s28, s29, s28
	v_cvt_f32_u32_e32 v39, s28
	s_sub_i32 s30, 32, s30
	s_add_u32 s26, s26, 1
	s_addc_u32 s27, s27, 0
	v_ldexp_f32 v39, v39, s30
	v_cmp_eq_u64_e32 vcc, s[26:27], v[26:27]
	v_mul_f32_e32 v39, v35, v39
	s_or_b64 s[24:25], vcc, s[24:25]
	v_mov_b32_e32 v35, v30
	v_fma_f32 v30, v30, v34, -v39
	s_andn2_b64 exec, exec, s[24:25]
	s_cbranch_execnz .LBB63_152
; %bb.153:
	s_or_b64 exec, exec, s[24:25]
.LBB63_154:
	s_or_b64 exec, exec, s[22:23]
                                        ; implicit-def: $vgpr34
.LBB63_155:
	s_andn2_saveexec_b64 s[20:21], s[20:21]
; %bb.156:
	v_mov_b32_e32 v30, v34
; %bb.157:
	s_or_b64 exec, exec, s[20:21]
.LBB63_158:
	s_or_b64 exec, exec, s[14:15]
.LBB63_159:
	s_or_b64 exec, exec, s[10:11]
	v_cvt_f16_f32_e32 v26, v31
	v_mov_b32_e32 v31, 0
	v_cvt_f32_f16_e32 v26, v26
	v_cvt_i32_f32_e32 v26, v26
	v_ashrrev_i32_e32 v27, 31, v26
	v_cmp_lt_i64_e32 vcc, -1, v[26:27]
	s_and_saveexec_b64 s[10:11], vcc
	s_cbranch_execz .LBB63_171
; %bb.160:
	v_cmp_lt_i64_e32 vcc, 0, v[26:27]
	v_mov_b32_e32 v31, 1.0
	s_and_saveexec_b64 s[14:15], vcc
	s_cbranch_execz .LBB63_170
; %bb.161:
	v_cvt_f32_f16_sdwa v28, v28 dst_sel:DWORD dst_unused:UNUSED_PAD src0_sel:WORD_1
	v_cmp_ne_u64_e32 vcc, 1, v[26:27]
                                        ; implicit-def: $vgpr31
	s_and_saveexec_b64 s[20:21], vcc
	s_xor_b64 s[20:21], exec, s[20:21]
	s_cbranch_execz .LBB63_167
; %bb.162:
	s_mov_b64 s[22:23], 0x81
	v_cmp_gt_u64_e32 vcc, s[22:23], v[26:27]
	v_mov_b32_e32 v31, 0x7fc00000
	s_and_saveexec_b64 s[22:23], vcc
	s_cbranch_execz .LBB63_166
; %bb.163:
	s_mov_b64 s[26:27], 1
	s_mov_b64 s[24:25], 0
	v_mov_b32_e32 v34, 1.0
	v_mov_b32_e32 v31, v28
.LBB63_164:                             ; =>This Inner Loop Header: Depth=1
	s_flbit_i32_b32 s28, s27
	s_min_u32 s30, s28, 32
	s_lshl_b64 s[28:29], s[26:27], s30
	s_min_u32 s28, s28, 1
	s_or_b32 s28, s29, s28
	v_cvt_f32_u32_e32 v35, s28
	s_sub_i32 s30, 32, s30
	s_add_u32 s26, s26, 1
	s_addc_u32 s27, s27, 0
	v_ldexp_f32 v35, v35, s30
	v_cmp_eq_u64_e32 vcc, s[26:27], v[26:27]
	v_mul_f32_e32 v35, v34, v35
	s_or_b64 s[24:25], vcc, s[24:25]
	v_mov_b32_e32 v34, v31
	v_fma_f32 v31, v31, v28, -v35
	s_andn2_b64 exec, exec, s[24:25]
	s_cbranch_execnz .LBB63_164
; %bb.165:
	s_or_b64 exec, exec, s[24:25]
.LBB63_166:
	s_or_b64 exec, exec, s[22:23]
                                        ; implicit-def: $vgpr28
.LBB63_167:
	s_andn2_saveexec_b64 s[20:21], s[20:21]
; %bb.168:
	v_mov_b32_e32 v31, v28
; %bb.169:
	s_or_b64 exec, exec, s[20:21]
.LBB63_170:
	s_or_b64 exec, exec, s[14:15]
.LBB63_171:
	s_or_b64 exec, exec, s[10:11]
	v_cvt_f16_f32_e32 v26, v32
	v_mov_b32_e32 v28, 0
	v_cvt_f32_f16_e32 v26, v26
	v_cvt_i32_f32_e32 v26, v26
	v_ashrrev_i32_e32 v27, 31, v26
	v_cmp_lt_i64_e32 vcc, -1, v[26:27]
	s_and_saveexec_b64 s[10:11], vcc
	s_cbranch_execz .LBB63_183
; %bb.172:
	v_cmp_lt_i64_e32 vcc, 0, v[26:27]
	v_mov_b32_e32 v28, 1.0
	s_and_saveexec_b64 s[14:15], vcc
	s_cbranch_execz .LBB63_182
; %bb.173:
	v_cvt_f32_f16_e32 v32, v29
	v_cmp_ne_u64_e32 vcc, 1, v[26:27]
                                        ; implicit-def: $vgpr28
	s_and_saveexec_b64 s[20:21], vcc
	s_xor_b64 s[20:21], exec, s[20:21]
	s_cbranch_execz .LBB63_179
; %bb.174:
	s_mov_b64 s[22:23], 0x81
	v_cmp_gt_u64_e32 vcc, s[22:23], v[26:27]
	v_mov_b32_e32 v28, 0x7fc00000
	s_and_saveexec_b64 s[22:23], vcc
	s_cbranch_execz .LBB63_178
; %bb.175:
	s_mov_b64 s[26:27], 1
	s_mov_b64 s[24:25], 0
	v_mov_b32_e32 v34, 1.0
	v_mov_b32_e32 v28, v32
.LBB63_176:                             ; =>This Inner Loop Header: Depth=1
	s_flbit_i32_b32 s28, s27
	s_min_u32 s30, s28, 32
	s_lshl_b64 s[28:29], s[26:27], s30
	s_min_u32 s28, s28, 1
	s_or_b32 s28, s29, s28
	v_cvt_f32_u32_e32 v35, s28
	s_sub_i32 s30, 32, s30
	s_add_u32 s26, s26, 1
	s_addc_u32 s27, s27, 0
	v_ldexp_f32 v35, v35, s30
	v_cmp_eq_u64_e32 vcc, s[26:27], v[26:27]
	v_mul_f32_e32 v35, v34, v35
	s_or_b64 s[24:25], vcc, s[24:25]
	v_mov_b32_e32 v34, v28
	v_fma_f32 v28, v28, v32, -v35
	s_andn2_b64 exec, exec, s[24:25]
	s_cbranch_execnz .LBB63_176
; %bb.177:
	s_or_b64 exec, exec, s[24:25]
.LBB63_178:
	s_or_b64 exec, exec, s[22:23]
                                        ; implicit-def: $vgpr32
.LBB63_179:
	s_andn2_saveexec_b64 s[20:21], s[20:21]
; %bb.180:
	v_mov_b32_e32 v28, v32
; %bb.181:
	s_or_b64 exec, exec, s[20:21]
.LBB63_182:
	s_or_b64 exec, exec, s[14:15]
.LBB63_183:
	s_or_b64 exec, exec, s[10:11]
	v_cvt_f16_f32_e32 v26, v33
	v_mov_b32_e32 v32, 0
	v_cvt_f32_f16_e32 v26, v26
	v_cvt_i32_f32_e32 v26, v26
	v_ashrrev_i32_e32 v27, 31, v26
	v_cmp_lt_i64_e32 vcc, -1, v[26:27]
	s_and_saveexec_b64 s[10:11], vcc
	s_cbranch_execz .LBB63_195
; %bb.184:
	v_cmp_lt_i64_e32 vcc, 0, v[26:27]
	v_mov_b32_e32 v32, 1.0
	s_and_saveexec_b64 s[14:15], vcc
	s_cbranch_execz .LBB63_194
; %bb.185:
	v_cvt_f32_f16_sdwa v29, v29 dst_sel:DWORD dst_unused:UNUSED_PAD src0_sel:WORD_1
	v_cmp_ne_u64_e32 vcc, 1, v[26:27]
                                        ; implicit-def: $vgpr32
	s_and_saveexec_b64 s[20:21], vcc
	s_xor_b64 s[20:21], exec, s[20:21]
	s_cbranch_execz .LBB63_191
; %bb.186:
	s_mov_b64 s[22:23], 0x81
	v_cmp_gt_u64_e32 vcc, s[22:23], v[26:27]
	v_mov_b32_e32 v32, 0x7fc00000
	s_and_saveexec_b64 s[22:23], vcc
	s_cbranch_execz .LBB63_190
; %bb.187:
	s_mov_b64 s[26:27], 1
	s_mov_b64 s[24:25], 0
	v_mov_b32_e32 v33, 1.0
	v_mov_b32_e32 v32, v29
.LBB63_188:                             ; =>This Inner Loop Header: Depth=1
	s_flbit_i32_b32 s28, s27
	s_min_u32 s30, s28, 32
	s_lshl_b64 s[28:29], s[26:27], s30
	s_min_u32 s28, s28, 1
	s_or_b32 s28, s29, s28
	v_cvt_f32_u32_e32 v34, s28
	s_sub_i32 s30, 32, s30
	s_add_u32 s26, s26, 1
	s_addc_u32 s27, s27, 0
	v_ldexp_f32 v34, v34, s30
	v_cmp_eq_u64_e32 vcc, s[26:27], v[26:27]
	v_mul_f32_e32 v34, v33, v34
	s_or_b64 s[24:25], vcc, s[24:25]
	v_mov_b32_e32 v33, v32
	v_fma_f32 v32, v32, v29, -v34
	s_andn2_b64 exec, exec, s[24:25]
	s_cbranch_execnz .LBB63_188
; %bb.189:
	s_or_b64 exec, exec, s[24:25]
.LBB63_190:
	s_or_b64 exec, exec, s[22:23]
                                        ; implicit-def: $vgpr29
.LBB63_191:
	s_andn2_saveexec_b64 s[20:21], s[20:21]
; %bb.192:
	v_mov_b32_e32 v32, v29
; %bb.193:
	s_or_b64 exec, exec, s[20:21]
.LBB63_194:
	s_or_b64 exec, exec, s[14:15]
.LBB63_195:
	s_or_b64 exec, exec, s[10:11]
	s_waitcnt vmcnt(2)
	v_cvt_f16_f32_e32 v22, v22
	v_mov_b32_e32 v29, 0
	v_cvt_f32_f16_e32 v22, v22
	v_cvt_i32_f32_e32 v26, v22
	v_ashrrev_i32_e32 v27, 31, v26
	v_cmp_lt_i64_e32 vcc, -1, v[26:27]
	s_and_saveexec_b64 s[10:11], vcc
	s_cbranch_execz .LBB63_207
; %bb.196:
	v_cmp_lt_i64_e32 vcc, 0, v[26:27]
	v_mov_b32_e32 v29, 1.0
	s_and_saveexec_b64 s[14:15], vcc
	s_cbranch_execz .LBB63_206
; %bb.197:
	v_cvt_f32_f16_e32 v22, v14
	v_cmp_ne_u64_e32 vcc, 1, v[26:27]
                                        ; implicit-def: $vgpr29
	s_and_saveexec_b64 s[20:21], vcc
	s_xor_b64 s[20:21], exec, s[20:21]
	s_cbranch_execz .LBB63_203
; %bb.198:
	s_mov_b64 s[22:23], 0x81
	v_cmp_gt_u64_e32 vcc, s[22:23], v[26:27]
	v_mov_b32_e32 v29, 0x7fc00000
	s_and_saveexec_b64 s[22:23], vcc
	s_cbranch_execz .LBB63_202
; %bb.199:
	s_mov_b64 s[26:27], 1
	s_mov_b64 s[24:25], 0
	v_mov_b32_e32 v33, 1.0
	v_mov_b32_e32 v29, v22
.LBB63_200:                             ; =>This Inner Loop Header: Depth=1
	s_flbit_i32_b32 s28, s27
	s_min_u32 s30, s28, 32
	s_lshl_b64 s[28:29], s[26:27], s30
	s_min_u32 s28, s28, 1
	s_or_b32 s28, s29, s28
	v_cvt_f32_u32_e32 v34, s28
	s_sub_i32 s30, 32, s30
	s_add_u32 s26, s26, 1
	s_addc_u32 s27, s27, 0
	v_ldexp_f32 v34, v34, s30
	v_cmp_eq_u64_e32 vcc, s[26:27], v[26:27]
	v_mul_f32_e32 v34, v33, v34
	s_or_b64 s[24:25], vcc, s[24:25]
	v_mov_b32_e32 v33, v29
	v_fma_f32 v29, v29, v22, -v34
	s_andn2_b64 exec, exec, s[24:25]
	s_cbranch_execnz .LBB63_200
; %bb.201:
	s_or_b64 exec, exec, s[24:25]
.LBB63_202:
	s_or_b64 exec, exec, s[22:23]
                                        ; implicit-def: $vgpr22
.LBB63_203:
	s_andn2_saveexec_b64 s[20:21], s[20:21]
; %bb.204:
	v_mov_b32_e32 v29, v22
; %bb.205:
	s_or_b64 exec, exec, s[20:21]
.LBB63_206:
	s_or_b64 exec, exec, s[14:15]
.LBB63_207:
	s_or_b64 exec, exec, s[10:11]
	v_cvt_f16_f32_e32 v22, v23
	v_mov_b32_e32 v26, 0
	v_cvt_f32_f16_e32 v22, v22
	v_cvt_i32_f32_e32 v22, v22
	v_ashrrev_i32_e32 v23, 31, v22
	v_cmp_lt_i64_e32 vcc, -1, v[22:23]
	s_and_saveexec_b64 s[10:11], vcc
	s_cbranch_execz .LBB63_219
; %bb.208:
	v_cmp_lt_i64_e32 vcc, 0, v[22:23]
	v_mov_b32_e32 v26, 1.0
	s_and_saveexec_b64 s[14:15], vcc
	s_cbranch_execz .LBB63_218
; %bb.209:
	v_cvt_f32_f16_sdwa v14, v14 dst_sel:DWORD dst_unused:UNUSED_PAD src0_sel:WORD_1
	v_cmp_ne_u64_e32 vcc, 1, v[22:23]
                                        ; implicit-def: $vgpr26
	s_and_saveexec_b64 s[20:21], vcc
	s_xor_b64 s[20:21], exec, s[20:21]
	s_cbranch_execz .LBB63_215
; %bb.210:
	s_mov_b64 s[22:23], 0x81
	v_cmp_gt_u64_e32 vcc, s[22:23], v[22:23]
	v_mov_b32_e32 v26, 0x7fc00000
	s_and_saveexec_b64 s[22:23], vcc
	s_cbranch_execz .LBB63_214
; %bb.211:
	s_mov_b64 s[26:27], 1
	s_mov_b64 s[24:25], 0
	v_mov_b32_e32 v27, 1.0
	v_mov_b32_e32 v26, v14
.LBB63_212:                             ; =>This Inner Loop Header: Depth=1
	s_flbit_i32_b32 s28, s27
	s_min_u32 s30, s28, 32
	s_lshl_b64 s[28:29], s[26:27], s30
	s_min_u32 s28, s28, 1
	s_or_b32 s28, s29, s28
	v_cvt_f32_u32_e32 v33, s28
	s_sub_i32 s30, 32, s30
	s_add_u32 s26, s26, 1
	s_addc_u32 s27, s27, 0
	v_ldexp_f32 v33, v33, s30
	v_cmp_eq_u64_e32 vcc, s[26:27], v[22:23]
	v_mul_f32_e32 v33, v27, v33
	s_or_b64 s[24:25], vcc, s[24:25]
	v_mov_b32_e32 v27, v26
	v_fma_f32 v26, v26, v14, -v33
	s_andn2_b64 exec, exec, s[24:25]
	s_cbranch_execnz .LBB63_212
; %bb.213:
	s_or_b64 exec, exec, s[24:25]
.LBB63_214:
	s_or_b64 exec, exec, s[22:23]
                                        ; implicit-def: $vgpr14
.LBB63_215:
	s_andn2_saveexec_b64 s[20:21], s[20:21]
; %bb.216:
	v_mov_b32_e32 v26, v14
; %bb.217:
	s_or_b64 exec, exec, s[20:21]
.LBB63_218:
	s_or_b64 exec, exec, s[14:15]
.LBB63_219:
	s_or_b64 exec, exec, s[10:11]
	v_cvt_f16_f32_e32 v14, v24
	v_mov_b32_e32 v24, 0
	v_cvt_f32_f16_e32 v14, v14
	v_cvt_i32_f32_e32 v22, v14
	v_ashrrev_i32_e32 v23, 31, v22
	v_cmp_lt_i64_e32 vcc, -1, v[22:23]
	s_and_saveexec_b64 s[10:11], vcc
	s_cbranch_execz .LBB63_231
; %bb.220:
	v_cmp_lt_i64_e32 vcc, 0, v[22:23]
	v_mov_b32_e32 v24, 1.0
	s_and_saveexec_b64 s[14:15], vcc
	s_cbranch_execz .LBB63_230
; %bb.221:
	v_cvt_f32_f16_e32 v14, v15
	v_cmp_ne_u64_e32 vcc, 1, v[22:23]
                                        ; implicit-def: $vgpr24
	s_and_saveexec_b64 s[20:21], vcc
	s_xor_b64 s[20:21], exec, s[20:21]
	s_cbranch_execz .LBB63_227
; %bb.222:
	s_mov_b64 s[22:23], 0x81
	v_cmp_gt_u64_e32 vcc, s[22:23], v[22:23]
	v_mov_b32_e32 v24, 0x7fc00000
	s_and_saveexec_b64 s[22:23], vcc
	s_cbranch_execz .LBB63_226
; %bb.223:
	s_mov_b64 s[26:27], 1
	s_mov_b64 s[24:25], 0
	v_mov_b32_e32 v27, 1.0
	v_mov_b32_e32 v24, v14
.LBB63_224:                             ; =>This Inner Loop Header: Depth=1
	s_flbit_i32_b32 s28, s27
	s_min_u32 s30, s28, 32
	s_lshl_b64 s[28:29], s[26:27], s30
	s_min_u32 s28, s28, 1
	s_or_b32 s28, s29, s28
	v_cvt_f32_u32_e32 v33, s28
	s_sub_i32 s30, 32, s30
	s_add_u32 s26, s26, 1
	s_addc_u32 s27, s27, 0
	v_ldexp_f32 v33, v33, s30
	v_cmp_eq_u64_e32 vcc, s[26:27], v[22:23]
	v_mul_f32_e32 v33, v27, v33
	s_or_b64 s[24:25], vcc, s[24:25]
	v_mov_b32_e32 v27, v24
	v_fma_f32 v24, v24, v14, -v33
	s_andn2_b64 exec, exec, s[24:25]
	s_cbranch_execnz .LBB63_224
; %bb.225:
	s_or_b64 exec, exec, s[24:25]
.LBB63_226:
	s_or_b64 exec, exec, s[22:23]
                                        ; implicit-def: $vgpr14
.LBB63_227:
	s_andn2_saveexec_b64 s[20:21], s[20:21]
; %bb.228:
	v_mov_b32_e32 v24, v14
; %bb.229:
	s_or_b64 exec, exec, s[20:21]
.LBB63_230:
	s_or_b64 exec, exec, s[14:15]
.LBB63_231:
	s_or_b64 exec, exec, s[10:11]
	v_cvt_f16_f32_e32 v14, v25
	v_mov_b32_e32 v25, 0
	v_cvt_f32_f16_e32 v14, v14
	v_cvt_i32_f32_e32 v22, v14
	v_ashrrev_i32_e32 v23, 31, v22
	v_cmp_lt_i64_e32 vcc, -1, v[22:23]
	s_and_saveexec_b64 s[10:11], vcc
	s_cbranch_execz .LBB63_243
; %bb.232:
	v_cmp_lt_i64_e32 vcc, 0, v[22:23]
	v_mov_b32_e32 v25, 1.0
	s_and_saveexec_b64 s[14:15], vcc
	s_cbranch_execz .LBB63_242
; %bb.233:
	v_cvt_f32_f16_sdwa v14, v15 dst_sel:DWORD dst_unused:UNUSED_PAD src0_sel:WORD_1
	v_cmp_ne_u64_e32 vcc, 1, v[22:23]
                                        ; implicit-def: $vgpr25
	s_and_saveexec_b64 s[20:21], vcc
	s_xor_b64 s[20:21], exec, s[20:21]
	s_cbranch_execz .LBB63_239
; %bb.234:
	s_mov_b64 s[22:23], 0x81
	v_cmp_gt_u64_e32 vcc, s[22:23], v[22:23]
	v_mov_b32_e32 v25, 0x7fc00000
	s_and_saveexec_b64 s[22:23], vcc
	s_cbranch_execz .LBB63_238
; %bb.235:
	s_mov_b64 s[26:27], 1
	s_mov_b64 s[24:25], 0
	v_mov_b32_e32 v15, 1.0
	v_mov_b32_e32 v25, v14
.LBB63_236:                             ; =>This Inner Loop Header: Depth=1
	s_flbit_i32_b32 s28, s27
	s_min_u32 s30, s28, 32
	s_lshl_b64 s[28:29], s[26:27], s30
	s_min_u32 s28, s28, 1
	s_or_b32 s28, s29, s28
	v_cvt_f32_u32_e32 v27, s28
	s_sub_i32 s30, 32, s30
	s_add_u32 s26, s26, 1
	s_addc_u32 s27, s27, 0
	v_ldexp_f32 v27, v27, s30
	v_cmp_eq_u64_e32 vcc, s[26:27], v[22:23]
	v_mul_f32_e32 v27, v15, v27
	s_or_b64 s[24:25], vcc, s[24:25]
	v_mov_b32_e32 v15, v25
	v_fma_f32 v25, v25, v14, -v27
	s_andn2_b64 exec, exec, s[24:25]
	s_cbranch_execnz .LBB63_236
; %bb.237:
	s_or_b64 exec, exec, s[24:25]
.LBB63_238:
	s_or_b64 exec, exec, s[22:23]
                                        ; implicit-def: $vgpr14
.LBB63_239:
	s_andn2_saveexec_b64 s[20:21], s[20:21]
; %bb.240:
	v_mov_b32_e32 v25, v14
; %bb.241:
	s_or_b64 exec, exec, s[20:21]
.LBB63_242:
	s_or_b64 exec, exec, s[14:15]
.LBB63_243:
	s_or_b64 exec, exec, s[10:11]
	v_cvt_f16_f32_e32 v14, v18
	v_mov_b32_e32 v18, 0
	v_cvt_f32_f16_e32 v14, v14
	v_cvt_i32_f32_e32 v14, v14
	v_ashrrev_i32_e32 v15, 31, v14
	v_cmp_lt_i64_e32 vcc, -1, v[14:15]
	s_and_saveexec_b64 s[10:11], vcc
	s_cbranch_execz .LBB63_255
; %bb.244:
	v_cmp_lt_i64_e32 vcc, 0, v[14:15]
	v_mov_b32_e32 v18, 1.0
	s_and_saveexec_b64 s[14:15], vcc
	s_cbranch_execz .LBB63_254
; %bb.245:
	v_cvt_f32_f16_e32 v22, v16
	v_cmp_ne_u64_e32 vcc, 1, v[14:15]
                                        ; implicit-def: $vgpr18
	s_and_saveexec_b64 s[20:21], vcc
	s_xor_b64 s[20:21], exec, s[20:21]
	s_cbranch_execz .LBB63_251
; %bb.246:
	s_mov_b64 s[22:23], 0x81
	v_cmp_gt_u64_e32 vcc, s[22:23], v[14:15]
	v_mov_b32_e32 v18, 0x7fc00000
	s_and_saveexec_b64 s[22:23], vcc
	s_cbranch_execz .LBB63_250
; %bb.247:
	s_mov_b64 s[26:27], 1
	s_mov_b64 s[24:25], 0
	v_mov_b32_e32 v23, 1.0
	v_mov_b32_e32 v18, v22
.LBB63_248:                             ; =>This Inner Loop Header: Depth=1
	s_flbit_i32_b32 s28, s27
	s_min_u32 s30, s28, 32
	s_lshl_b64 s[28:29], s[26:27], s30
	s_min_u32 s28, s28, 1
	s_or_b32 s28, s29, s28
	v_cvt_f32_u32_e32 v27, s28
	s_sub_i32 s30, 32, s30
	s_add_u32 s26, s26, 1
	s_addc_u32 s27, s27, 0
	v_ldexp_f32 v27, v27, s30
	v_cmp_eq_u64_e32 vcc, s[26:27], v[14:15]
	v_mul_f32_e32 v27, v23, v27
	s_or_b64 s[24:25], vcc, s[24:25]
	v_mov_b32_e32 v23, v18
	v_fma_f32 v18, v18, v22, -v27
	s_andn2_b64 exec, exec, s[24:25]
	s_cbranch_execnz .LBB63_248
; %bb.249:
	s_or_b64 exec, exec, s[24:25]
.LBB63_250:
	s_or_b64 exec, exec, s[22:23]
                                        ; implicit-def: $vgpr22
.LBB63_251:
	s_andn2_saveexec_b64 s[20:21], s[20:21]
; %bb.252:
	v_mov_b32_e32 v18, v22
; %bb.253:
	s_or_b64 exec, exec, s[20:21]
.LBB63_254:
	s_or_b64 exec, exec, s[14:15]
.LBB63_255:
	s_or_b64 exec, exec, s[10:11]
	v_cvt_f16_f32_e32 v14, v19
	v_mov_b32_e32 v19, 0
	v_cvt_f32_f16_e32 v14, v14
	v_cvt_i32_f32_e32 v14, v14
	v_ashrrev_i32_e32 v15, 31, v14
	v_cmp_lt_i64_e32 vcc, -1, v[14:15]
	s_and_saveexec_b64 s[10:11], vcc
	s_cbranch_execz .LBB63_267
; %bb.256:
	v_cmp_lt_i64_e32 vcc, 0, v[14:15]
	v_mov_b32_e32 v19, 1.0
	s_and_saveexec_b64 s[14:15], vcc
	s_cbranch_execz .LBB63_266
; %bb.257:
	v_cvt_f32_f16_sdwa v16, v16 dst_sel:DWORD dst_unused:UNUSED_PAD src0_sel:WORD_1
	v_cmp_ne_u64_e32 vcc, 1, v[14:15]
                                        ; implicit-def: $vgpr19
	s_and_saveexec_b64 s[20:21], vcc
	s_xor_b64 s[20:21], exec, s[20:21]
	s_cbranch_execz .LBB63_263
; %bb.258:
	s_mov_b64 s[22:23], 0x81
	v_cmp_gt_u64_e32 vcc, s[22:23], v[14:15]
	v_mov_b32_e32 v19, 0x7fc00000
	s_and_saveexec_b64 s[22:23], vcc
	s_cbranch_execz .LBB63_262
; %bb.259:
	s_mov_b64 s[26:27], 1
	s_mov_b64 s[24:25], 0
	v_mov_b32_e32 v22, 1.0
	v_mov_b32_e32 v19, v16
.LBB63_260:                             ; =>This Inner Loop Header: Depth=1
	s_flbit_i32_b32 s28, s27
	s_min_u32 s30, s28, 32
	s_lshl_b64 s[28:29], s[26:27], s30
	s_min_u32 s28, s28, 1
	s_or_b32 s28, s29, s28
	v_cvt_f32_u32_e32 v23, s28
	s_sub_i32 s30, 32, s30
	s_add_u32 s26, s26, 1
	s_addc_u32 s27, s27, 0
	v_ldexp_f32 v23, v23, s30
	v_cmp_eq_u64_e32 vcc, s[26:27], v[14:15]
	v_mul_f32_e32 v23, v22, v23
	s_or_b64 s[24:25], vcc, s[24:25]
	v_mov_b32_e32 v22, v19
	v_fma_f32 v19, v19, v16, -v23
	s_andn2_b64 exec, exec, s[24:25]
	s_cbranch_execnz .LBB63_260
; %bb.261:
	s_or_b64 exec, exec, s[24:25]
.LBB63_262:
	s_or_b64 exec, exec, s[22:23]
                                        ; implicit-def: $vgpr16
.LBB63_263:
	s_andn2_saveexec_b64 s[20:21], s[20:21]
; %bb.264:
	v_mov_b32_e32 v19, v16
; %bb.265:
	s_or_b64 exec, exec, s[20:21]
.LBB63_266:
	s_or_b64 exec, exec, s[14:15]
.LBB63_267:
	s_or_b64 exec, exec, s[10:11]
	v_cvt_f16_f32_e32 v14, v20
	v_mov_b32_e32 v16, 0
	v_cvt_f32_f16_e32 v14, v14
	v_cvt_i32_f32_e32 v14, v14
	v_ashrrev_i32_e32 v15, 31, v14
	v_cmp_lt_i64_e32 vcc, -1, v[14:15]
	s_and_saveexec_b64 s[10:11], vcc
	s_cbranch_execz .LBB63_279
; %bb.268:
	v_cmp_lt_i64_e32 vcc, 0, v[14:15]
	v_mov_b32_e32 v16, 1.0
	s_and_saveexec_b64 s[14:15], vcc
	s_cbranch_execz .LBB63_278
; %bb.269:
	v_cvt_f32_f16_e32 v20, v17
	v_cmp_ne_u64_e32 vcc, 1, v[14:15]
                                        ; implicit-def: $vgpr16
	s_and_saveexec_b64 s[20:21], vcc
	s_xor_b64 s[20:21], exec, s[20:21]
	s_cbranch_execz .LBB63_275
; %bb.270:
	s_mov_b64 s[22:23], 0x81
	v_cmp_gt_u64_e32 vcc, s[22:23], v[14:15]
	v_mov_b32_e32 v16, 0x7fc00000
	s_and_saveexec_b64 s[22:23], vcc
	s_cbranch_execz .LBB63_274
; %bb.271:
	s_mov_b64 s[26:27], 1
	s_mov_b64 s[24:25], 0
	v_mov_b32_e32 v22, 1.0
	v_mov_b32_e32 v16, v20
.LBB63_272:                             ; =>This Inner Loop Header: Depth=1
	s_flbit_i32_b32 s28, s27
	s_min_u32 s30, s28, 32
	s_lshl_b64 s[28:29], s[26:27], s30
	s_min_u32 s28, s28, 1
	s_or_b32 s28, s29, s28
	v_cvt_f32_u32_e32 v23, s28
	s_sub_i32 s30, 32, s30
	s_add_u32 s26, s26, 1
	s_addc_u32 s27, s27, 0
	v_ldexp_f32 v23, v23, s30
	v_cmp_eq_u64_e32 vcc, s[26:27], v[14:15]
	v_mul_f32_e32 v23, v22, v23
	s_or_b64 s[24:25], vcc, s[24:25]
	v_mov_b32_e32 v22, v16
	v_fma_f32 v16, v16, v20, -v23
	s_andn2_b64 exec, exec, s[24:25]
	s_cbranch_execnz .LBB63_272
; %bb.273:
	s_or_b64 exec, exec, s[24:25]
.LBB63_274:
	s_or_b64 exec, exec, s[22:23]
                                        ; implicit-def: $vgpr20
.LBB63_275:
	s_andn2_saveexec_b64 s[20:21], s[20:21]
; %bb.276:
	v_mov_b32_e32 v16, v20
; %bb.277:
	s_or_b64 exec, exec, s[20:21]
.LBB63_278:
	s_or_b64 exec, exec, s[14:15]
.LBB63_279:
	s_or_b64 exec, exec, s[10:11]
	v_cvt_f16_f32_e32 v14, v21
	v_mov_b32_e32 v20, 0
	v_cvt_f32_f16_e32 v14, v14
	v_cvt_i32_f32_e32 v14, v14
	v_ashrrev_i32_e32 v15, 31, v14
	v_cmp_lt_i64_e32 vcc, -1, v[14:15]
	s_and_saveexec_b64 s[10:11], vcc
	s_cbranch_execz .LBB63_291
; %bb.280:
	v_cmp_lt_i64_e32 vcc, 0, v[14:15]
	v_mov_b32_e32 v20, 1.0
	s_and_saveexec_b64 s[14:15], vcc
	s_cbranch_execz .LBB63_290
; %bb.281:
	v_cvt_f32_f16_sdwa v17, v17 dst_sel:DWORD dst_unused:UNUSED_PAD src0_sel:WORD_1
	v_cmp_ne_u64_e32 vcc, 1, v[14:15]
                                        ; implicit-def: $vgpr20
	s_and_saveexec_b64 s[20:21], vcc
	s_xor_b64 s[20:21], exec, s[20:21]
	s_cbranch_execz .LBB63_287
; %bb.282:
	s_mov_b64 s[22:23], 0x81
	v_cmp_gt_u64_e32 vcc, s[22:23], v[14:15]
	v_mov_b32_e32 v20, 0x7fc00000
	s_and_saveexec_b64 s[22:23], vcc
	s_cbranch_execz .LBB63_286
; %bb.283:
	s_mov_b64 s[26:27], 1
	s_mov_b64 s[24:25], 0
	v_mov_b32_e32 v21, 1.0
	v_mov_b32_e32 v20, v17
.LBB63_284:                             ; =>This Inner Loop Header: Depth=1
	s_flbit_i32_b32 s28, s27
	s_min_u32 s30, s28, 32
	s_lshl_b64 s[28:29], s[26:27], s30
	s_min_u32 s28, s28, 1
	s_or_b32 s28, s29, s28
	v_cvt_f32_u32_e32 v22, s28
	s_sub_i32 s30, 32, s30
	s_add_u32 s26, s26, 1
	s_addc_u32 s27, s27, 0
	v_ldexp_f32 v22, v22, s30
	v_cmp_eq_u64_e32 vcc, s[26:27], v[14:15]
	v_mul_f32_e32 v22, v21, v22
	s_or_b64 s[24:25], vcc, s[24:25]
	v_mov_b32_e32 v21, v20
	v_fma_f32 v20, v20, v17, -v22
	s_andn2_b64 exec, exec, s[24:25]
	s_cbranch_execnz .LBB63_284
; %bb.285:
	s_or_b64 exec, exec, s[24:25]
.LBB63_286:
	s_or_b64 exec, exec, s[22:23]
                                        ; implicit-def: $vgpr17
.LBB63_287:
	s_andn2_saveexec_b64 s[20:21], s[20:21]
; %bb.288:
	v_mov_b32_e32 v20, v17
; %bb.289:
	s_or_b64 exec, exec, s[20:21]
.LBB63_290:
	s_or_b64 exec, exec, s[14:15]
.LBB63_291:
	s_or_b64 exec, exec, s[10:11]
	s_waitcnt vmcnt(1)
	v_cvt_f16_f32_e32 v10, v10
	v_mov_b32_e32 v17, 0
	v_cvt_f32_f16_e32 v10, v10
	v_cvt_i32_f32_e32 v14, v10
	v_ashrrev_i32_e32 v15, 31, v14
	v_cmp_lt_i64_e32 vcc, -1, v[14:15]
	s_and_saveexec_b64 s[10:11], vcc
	s_cbranch_execz .LBB63_303
; %bb.292:
	v_cmp_lt_i64_e32 vcc, 0, v[14:15]
	v_mov_b32_e32 v17, 1.0
	s_and_saveexec_b64 s[14:15], vcc
	s_cbranch_execz .LBB63_302
; %bb.293:
	v_cvt_f32_f16_e32 v10, v2
	v_cmp_ne_u64_e32 vcc, 1, v[14:15]
                                        ; implicit-def: $vgpr17
	s_and_saveexec_b64 s[20:21], vcc
	s_xor_b64 s[20:21], exec, s[20:21]
	s_cbranch_execz .LBB63_299
; %bb.294:
	s_mov_b64 s[22:23], 0x81
	v_cmp_gt_u64_e32 vcc, s[22:23], v[14:15]
	v_mov_b32_e32 v17, 0x7fc00000
	s_and_saveexec_b64 s[22:23], vcc
	s_cbranch_execz .LBB63_298
; %bb.295:
	s_mov_b64 s[26:27], 1
	s_mov_b64 s[24:25], 0
	v_mov_b32_e32 v21, 1.0
	v_mov_b32_e32 v17, v10
.LBB63_296:                             ; =>This Inner Loop Header: Depth=1
	s_flbit_i32_b32 s28, s27
	s_min_u32 s30, s28, 32
	s_lshl_b64 s[28:29], s[26:27], s30
	s_min_u32 s28, s28, 1
	s_or_b32 s28, s29, s28
	v_cvt_f32_u32_e32 v22, s28
	s_sub_i32 s30, 32, s30
	s_add_u32 s26, s26, 1
	s_addc_u32 s27, s27, 0
	v_ldexp_f32 v22, v22, s30
	v_cmp_eq_u64_e32 vcc, s[26:27], v[14:15]
	v_mul_f32_e32 v22, v21, v22
	s_or_b64 s[24:25], vcc, s[24:25]
	v_mov_b32_e32 v21, v17
	v_fma_f32 v17, v17, v10, -v22
	s_andn2_b64 exec, exec, s[24:25]
	s_cbranch_execnz .LBB63_296
; %bb.297:
	s_or_b64 exec, exec, s[24:25]
.LBB63_298:
	s_or_b64 exec, exec, s[22:23]
                                        ; implicit-def: $vgpr10
.LBB63_299:
	s_andn2_saveexec_b64 s[20:21], s[20:21]
; %bb.300:
	v_mov_b32_e32 v17, v10
; %bb.301:
	s_or_b64 exec, exec, s[20:21]
.LBB63_302:
	s_or_b64 exec, exec, s[14:15]
.LBB63_303:
	s_or_b64 exec, exec, s[10:11]
	v_cvt_f16_f32_e32 v10, v11
	v_mov_b32_e32 v14, 0
	v_cvt_f32_f16_e32 v10, v10
	v_cvt_i32_f32_e32 v10, v10
	v_ashrrev_i32_e32 v11, 31, v10
	v_cmp_lt_i64_e32 vcc, -1, v[10:11]
	s_and_saveexec_b64 s[10:11], vcc
	s_cbranch_execz .LBB63_315
; %bb.304:
	v_cmp_lt_i64_e32 vcc, 0, v[10:11]
	v_mov_b32_e32 v14, 1.0
	s_and_saveexec_b64 s[14:15], vcc
	s_cbranch_execz .LBB63_314
; %bb.305:
	v_cvt_f32_f16_sdwa v2, v2 dst_sel:DWORD dst_unused:UNUSED_PAD src0_sel:WORD_1
	v_cmp_ne_u64_e32 vcc, 1, v[10:11]
                                        ; implicit-def: $vgpr14
	s_and_saveexec_b64 s[20:21], vcc
	s_xor_b64 s[20:21], exec, s[20:21]
	s_cbranch_execz .LBB63_311
; %bb.306:
	s_mov_b64 s[22:23], 0x81
	v_cmp_gt_u64_e32 vcc, s[22:23], v[10:11]
	v_mov_b32_e32 v14, 0x7fc00000
	s_and_saveexec_b64 s[22:23], vcc
	s_cbranch_execz .LBB63_310
; %bb.307:
	s_mov_b64 s[26:27], 1
	s_mov_b64 s[24:25], 0
	v_mov_b32_e32 v15, 1.0
	v_mov_b32_e32 v14, v2
.LBB63_308:                             ; =>This Inner Loop Header: Depth=1
	s_flbit_i32_b32 s28, s27
	s_min_u32 s30, s28, 32
	s_lshl_b64 s[28:29], s[26:27], s30
	s_min_u32 s28, s28, 1
	s_or_b32 s28, s29, s28
	v_cvt_f32_u32_e32 v21, s28
	s_sub_i32 s30, 32, s30
	s_add_u32 s26, s26, 1
	s_addc_u32 s27, s27, 0
	v_ldexp_f32 v21, v21, s30
	v_cmp_eq_u64_e32 vcc, s[26:27], v[10:11]
	v_mul_f32_e32 v21, v15, v21
	s_or_b64 s[24:25], vcc, s[24:25]
	v_mov_b32_e32 v15, v14
	v_fma_f32 v14, v14, v2, -v21
	s_andn2_b64 exec, exec, s[24:25]
	s_cbranch_execnz .LBB63_308
; %bb.309:
	s_or_b64 exec, exec, s[24:25]
.LBB63_310:
	s_or_b64 exec, exec, s[22:23]
                                        ; implicit-def: $vgpr2
.LBB63_311:
	s_andn2_saveexec_b64 s[20:21], s[20:21]
; %bb.312:
	v_mov_b32_e32 v14, v2
; %bb.313:
	s_or_b64 exec, exec, s[20:21]
.LBB63_314:
	s_or_b64 exec, exec, s[14:15]
.LBB63_315:
	s_or_b64 exec, exec, s[10:11]
	v_cvt_f16_f32_e32 v2, v12
	v_mov_b32_e32 v12, 0
	v_cvt_f32_f16_e32 v2, v2
	v_cvt_i32_f32_e32 v10, v2
	v_ashrrev_i32_e32 v11, 31, v10
	v_cmp_lt_i64_e32 vcc, -1, v[10:11]
	s_and_saveexec_b64 s[10:11], vcc
	s_cbranch_execz .LBB63_327
; %bb.316:
	v_cmp_lt_i64_e32 vcc, 0, v[10:11]
	v_mov_b32_e32 v12, 1.0
	s_and_saveexec_b64 s[14:15], vcc
	s_cbranch_execz .LBB63_326
; %bb.317:
	v_cvt_f32_f16_e32 v2, v3
	v_cmp_ne_u64_e32 vcc, 1, v[10:11]
                                        ; implicit-def: $vgpr12
	s_and_saveexec_b64 s[20:21], vcc
	s_xor_b64 s[20:21], exec, s[20:21]
	s_cbranch_execz .LBB63_323
; %bb.318:
	s_mov_b64 s[22:23], 0x81
	v_cmp_gt_u64_e32 vcc, s[22:23], v[10:11]
	v_mov_b32_e32 v12, 0x7fc00000
	s_and_saveexec_b64 s[22:23], vcc
	s_cbranch_execz .LBB63_322
; %bb.319:
	s_mov_b64 s[26:27], 1
	s_mov_b64 s[24:25], 0
	v_mov_b32_e32 v15, 1.0
	v_mov_b32_e32 v12, v2
.LBB63_320:                             ; =>This Inner Loop Header: Depth=1
	s_flbit_i32_b32 s28, s27
	s_min_u32 s30, s28, 32
	s_lshl_b64 s[28:29], s[26:27], s30
	s_min_u32 s28, s28, 1
	s_or_b32 s28, s29, s28
	v_cvt_f32_u32_e32 v21, s28
	s_sub_i32 s30, 32, s30
	s_add_u32 s26, s26, 1
	s_addc_u32 s27, s27, 0
	v_ldexp_f32 v21, v21, s30
	v_cmp_eq_u64_e32 vcc, s[26:27], v[10:11]
	v_mul_f32_e32 v21, v15, v21
	s_or_b64 s[24:25], vcc, s[24:25]
	v_mov_b32_e32 v15, v12
	v_fma_f32 v12, v12, v2, -v21
	s_andn2_b64 exec, exec, s[24:25]
	s_cbranch_execnz .LBB63_320
; %bb.321:
	s_or_b64 exec, exec, s[24:25]
.LBB63_322:
	s_or_b64 exec, exec, s[22:23]
                                        ; implicit-def: $vgpr2
.LBB63_323:
	s_andn2_saveexec_b64 s[20:21], s[20:21]
; %bb.324:
	v_mov_b32_e32 v12, v2
; %bb.325:
	s_or_b64 exec, exec, s[20:21]
.LBB63_326:
	s_or_b64 exec, exec, s[14:15]
.LBB63_327:
	s_or_b64 exec, exec, s[10:11]
	v_cvt_f16_f32_e32 v2, v13
	v_mov_b32_e32 v13, 0
	v_cvt_f32_f16_e32 v2, v2
	v_cvt_i32_f32_e32 v10, v2
	v_ashrrev_i32_e32 v11, 31, v10
	v_cmp_lt_i64_e32 vcc, -1, v[10:11]
	s_and_saveexec_b64 s[10:11], vcc
	s_cbranch_execz .LBB63_339
; %bb.328:
	v_cmp_lt_i64_e32 vcc, 0, v[10:11]
	v_mov_b32_e32 v13, 0x3c00
	s_and_saveexec_b64 s[14:15], vcc
	s_cbranch_execz .LBB63_338
; %bb.329:
	v_lshrrev_b32_e32 v2, 16, v3
	v_cmp_ne_u64_e32 vcc, 1, v[10:11]
                                        ; implicit-def: $vgpr13
	s_and_saveexec_b64 s[20:21], vcc
	s_xor_b64 s[20:21], exec, s[20:21]
	s_cbranch_execz .LBB63_335
; %bb.330:
	s_mov_b64 s[22:23], 0x81
	v_cmp_gt_u64_e32 vcc, s[22:23], v[10:11]
	v_mov_b32_e32 v13, 0x7e00
	s_and_saveexec_b64 s[22:23], vcc
	s_cbranch_execz .LBB63_334
; %bb.331:
	v_cvt_f32_f16_e32 v2, v2
	s_mov_b64 s[26:27], 1
	s_mov_b64 s[24:25], 0
	v_mov_b32_e32 v3, 1.0
	v_mov_b32_e32 v13, v2
.LBB63_332:                             ; =>This Inner Loop Header: Depth=1
	s_flbit_i32_b32 s28, s27
	s_min_u32 s30, s28, 32
	s_lshl_b64 s[28:29], s[26:27], s30
	s_min_u32 s28, s28, 1
	s_or_b32 s28, s29, s28
	v_cvt_f32_u32_e32 v15, s28
	s_sub_i32 s30, 32, s30
	s_add_u32 s26, s26, 1
	s_addc_u32 s27, s27, 0
	v_ldexp_f32 v15, v15, s30
	v_cmp_eq_u64_e32 vcc, s[26:27], v[10:11]
	v_mul_f32_e32 v15, v3, v15
	s_or_b64 s[24:25], vcc, s[24:25]
	v_mov_b32_e32 v3, v13
	v_fma_f32 v13, v13, v2, -v15
	s_andn2_b64 exec, exec, s[24:25]
	s_cbranch_execnz .LBB63_332
; %bb.333:
	s_or_b64 exec, exec, s[24:25]
	v_cvt_f16_f32_e32 v13, v13
.LBB63_334:
	s_or_b64 exec, exec, s[22:23]
                                        ; implicit-def: $vgpr2
.LBB63_335:
	s_andn2_saveexec_b64 s[20:21], s[20:21]
; %bb.336:
	v_mov_b32_e32 v13, v2
; %bb.337:
	s_or_b64 exec, exec, s[20:21]
.LBB63_338:
	s_or_b64 exec, exec, s[14:15]
.LBB63_339:
	s_or_b64 exec, exec, s[10:11]
	s_waitcnt vmcnt(0)
	v_cvt_f16_f32_e32 v2, v6
	v_mov_b32_e32 v6, 0
	v_cvt_f32_f16_e32 v2, v2
	v_cvt_i32_f32_e32 v2, v2
	v_ashrrev_i32_e32 v3, 31, v2
	v_cmp_lt_i64_e32 vcc, -1, v[2:3]
	s_and_saveexec_b64 s[10:11], vcc
	s_cbranch_execz .LBB63_351
; %bb.340:
	v_cmp_lt_i64_e32 vcc, 0, v[2:3]
	v_mov_b32_e32 v6, 0x3c00
	s_and_saveexec_b64 s[14:15], vcc
	s_cbranch_execz .LBB63_350
; %bb.341:
	v_cmp_ne_u64_e32 vcc, 1, v[2:3]
                                        ; implicit-def: $vgpr6
	s_and_saveexec_b64 s[20:21], vcc
	s_xor_b64 s[20:21], exec, s[20:21]
	s_cbranch_execz .LBB63_347
; %bb.342:
	s_mov_b64 s[22:23], 0x81
	v_cmp_gt_u64_e32 vcc, s[22:23], v[2:3]
	v_mov_b32_e32 v6, 0x7e00
	s_and_saveexec_b64 s[22:23], vcc
	s_cbranch_execz .LBB63_346
; %bb.343:
	v_cvt_f32_f16_e32 v6, v4
	s_mov_b64 s[26:27], 1
	s_mov_b64 s[24:25], 0
	v_mov_b32_e32 v10, 1.0
	v_mov_b32_e32 v11, v6
.LBB63_344:                             ; =>This Inner Loop Header: Depth=1
	s_flbit_i32_b32 s28, s27
	s_min_u32 s30, s28, 32
	s_lshl_b64 s[28:29], s[26:27], s30
	s_min_u32 s28, s28, 1
	s_or_b32 s28, s29, s28
	v_cvt_f32_u32_e32 v15, s28
	s_sub_i32 s30, 32, s30
	s_add_u32 s26, s26, 1
	s_addc_u32 s27, s27, 0
	v_ldexp_f32 v15, v15, s30
	v_cmp_eq_u64_e32 vcc, s[26:27], v[2:3]
	v_mul_f32_e32 v15, v10, v15
	s_or_b64 s[24:25], vcc, s[24:25]
	v_mov_b32_e32 v10, v11
	v_fma_f32 v11, v11, v6, -v15
	s_andn2_b64 exec, exec, s[24:25]
	s_cbranch_execnz .LBB63_344
; %bb.345:
	s_or_b64 exec, exec, s[24:25]
	v_cvt_f16_f32_e32 v6, v11
.LBB63_346:
	s_or_b64 exec, exec, s[22:23]
.LBB63_347:
	s_andn2_saveexec_b64 s[20:21], s[20:21]
; %bb.348:
	v_mov_b32_e32 v6, v4
; %bb.349:
	s_or_b64 exec, exec, s[20:21]
.LBB63_350:
	s_or_b64 exec, exec, s[14:15]
.LBB63_351:
	s_or_b64 exec, exec, s[10:11]
	v_cvt_f16_f32_e32 v2, v7
	v_mov_b32_e32 v7, 0
	v_cvt_f32_f16_e32 v2, v2
	v_cvt_i32_f32_e32 v2, v2
	v_ashrrev_i32_e32 v3, 31, v2
	v_cmp_lt_i64_e32 vcc, -1, v[2:3]
	s_and_saveexec_b64 s[10:11], vcc
	s_cbranch_execz .LBB63_363
; %bb.352:
	v_cmp_lt_i64_e32 vcc, 0, v[2:3]
	v_mov_b32_e32 v7, 0x3c00
	s_and_saveexec_b64 s[14:15], vcc
	s_cbranch_execz .LBB63_362
; %bb.353:
	v_lshrrev_b32_e32 v4, 16, v4
	v_cmp_ne_u64_e32 vcc, 1, v[2:3]
                                        ; implicit-def: $vgpr7
	s_and_saveexec_b64 s[20:21], vcc
	s_xor_b64 s[20:21], exec, s[20:21]
	s_cbranch_execz .LBB63_359
; %bb.354:
	s_mov_b64 s[22:23], 0x81
	v_cmp_gt_u64_e32 vcc, s[22:23], v[2:3]
	v_mov_b32_e32 v7, 0x7e00
	s_and_saveexec_b64 s[22:23], vcc
	s_cbranch_execz .LBB63_358
; %bb.355:
	v_cvt_f32_f16_e32 v4, v4
	s_mov_b64 s[26:27], 1
	s_mov_b64 s[24:25], 0
	v_mov_b32_e32 v7, 1.0
	v_mov_b32_e32 v10, v4
.LBB63_356:                             ; =>This Inner Loop Header: Depth=1
	s_flbit_i32_b32 s28, s27
	s_min_u32 s30, s28, 32
	s_lshl_b64 s[28:29], s[26:27], s30
	s_min_u32 s28, s28, 1
	s_or_b32 s28, s29, s28
	v_cvt_f32_u32_e32 v11, s28
	s_sub_i32 s30, 32, s30
	s_add_u32 s26, s26, 1
	s_addc_u32 s27, s27, 0
	v_ldexp_f32 v11, v11, s30
	v_cmp_eq_u64_e32 vcc, s[26:27], v[2:3]
	v_mul_f32_e32 v11, v7, v11
	s_or_b64 s[24:25], vcc, s[24:25]
	v_mov_b32_e32 v7, v10
	v_fma_f32 v10, v10, v4, -v11
	s_andn2_b64 exec, exec, s[24:25]
	s_cbranch_execnz .LBB63_356
; %bb.357:
	s_or_b64 exec, exec, s[24:25]
	v_cvt_f16_f32_e32 v7, v10
.LBB63_358:
	s_or_b64 exec, exec, s[22:23]
                                        ; implicit-def: $vgpr4
.LBB63_359:
	s_andn2_saveexec_b64 s[20:21], s[20:21]
; %bb.360:
	v_mov_b32_e32 v7, v4
; %bb.361:
	s_or_b64 exec, exec, s[20:21]
.LBB63_362:
	s_or_b64 exec, exec, s[14:15]
.LBB63_363:
	s_or_b64 exec, exec, s[10:11]
	v_cvt_f16_f32_e32 v2, v8
	v_mov_b32_e32 v4, 0
	v_cvt_f32_f16_e32 v2, v2
	v_cvt_i32_f32_e32 v2, v2
	v_ashrrev_i32_e32 v3, 31, v2
	v_cmp_lt_i64_e32 vcc, -1, v[2:3]
	s_and_saveexec_b64 s[10:11], vcc
	s_cbranch_execz .LBB63_375
; %bb.364:
	v_cmp_lt_i64_e32 vcc, 0, v[2:3]
	v_mov_b32_e32 v4, 0x3c00
	s_and_saveexec_b64 s[14:15], vcc
	s_cbranch_execz .LBB63_374
; %bb.365:
	v_cmp_ne_u64_e32 vcc, 1, v[2:3]
                                        ; implicit-def: $vgpr4
	s_and_saveexec_b64 s[20:21], vcc
	s_xor_b64 s[20:21], exec, s[20:21]
	s_cbranch_execz .LBB63_371
; %bb.366:
	s_mov_b64 s[22:23], 0x81
	v_cmp_gt_u64_e32 vcc, s[22:23], v[2:3]
	v_mov_b32_e32 v4, 0x7e00
	s_and_saveexec_b64 s[22:23], vcc
	s_cbranch_execz .LBB63_370
; %bb.367:
	v_cvt_f32_f16_e32 v4, v5
	s_mov_b64 s[26:27], 1
	s_mov_b64 s[24:25], 0
	v_mov_b32_e32 v8, 1.0
	v_mov_b32_e32 v10, v4
.LBB63_368:                             ; =>This Inner Loop Header: Depth=1
	s_flbit_i32_b32 s28, s27
	s_min_u32 s30, s28, 32
	s_lshl_b64 s[28:29], s[26:27], s30
	s_min_u32 s28, s28, 1
	s_or_b32 s28, s29, s28
	v_cvt_f32_u32_e32 v11, s28
	s_sub_i32 s30, 32, s30
	s_add_u32 s26, s26, 1
	s_addc_u32 s27, s27, 0
	v_ldexp_f32 v11, v11, s30
	v_cmp_eq_u64_e32 vcc, s[26:27], v[2:3]
	v_mul_f32_e32 v11, v8, v11
	s_or_b64 s[24:25], vcc, s[24:25]
	v_mov_b32_e32 v8, v10
	v_fma_f32 v10, v10, v4, -v11
	s_andn2_b64 exec, exec, s[24:25]
	s_cbranch_execnz .LBB63_368
; %bb.369:
	s_or_b64 exec, exec, s[24:25]
	v_cvt_f16_f32_e32 v4, v10
.LBB63_370:
	s_or_b64 exec, exec, s[22:23]
.LBB63_371:
	s_andn2_saveexec_b64 s[20:21], s[20:21]
; %bb.372:
	v_mov_b32_e32 v4, v5
; %bb.373:
	s_or_b64 exec, exec, s[20:21]
.LBB63_374:
	s_or_b64 exec, exec, s[14:15]
.LBB63_375:
	s_or_b64 exec, exec, s[10:11]
	v_cvt_f16_f32_e32 v2, v9
	v_mov_b32_e32 v8, 0
	v_cvt_f32_f16_e32 v2, v2
	v_cvt_i32_f32_e32 v2, v2
	v_ashrrev_i32_e32 v3, 31, v2
	v_cmp_lt_i64_e32 vcc, -1, v[2:3]
	s_and_saveexec_b64 s[10:11], vcc
	s_cbranch_execz .LBB63_387
; %bb.376:
	v_cmp_lt_i64_e32 vcc, 0, v[2:3]
	v_mov_b32_e32 v8, 0x3c00
	s_and_saveexec_b64 s[14:15], vcc
	s_cbranch_execz .LBB63_386
; %bb.377:
	v_lshrrev_b32_e32 v5, 16, v5
	v_cmp_ne_u64_e32 vcc, 1, v[2:3]
                                        ; implicit-def: $vgpr8
	s_and_saveexec_b64 s[20:21], vcc
	s_xor_b64 s[20:21], exec, s[20:21]
	s_cbranch_execz .LBB63_383
; %bb.378:
	s_mov_b64 s[22:23], 0x81
	v_cmp_gt_u64_e32 vcc, s[22:23], v[2:3]
	v_mov_b32_e32 v8, 0x7e00
	s_and_saveexec_b64 s[22:23], vcc
	s_cbranch_execz .LBB63_382
; %bb.379:
	v_cvt_f32_f16_e32 v5, v5
	s_mov_b64 s[26:27], 1
	s_mov_b64 s[24:25], 0
	v_mov_b32_e32 v8, 1.0
	v_mov_b32_e32 v9, v5
.LBB63_380:                             ; =>This Inner Loop Header: Depth=1
	s_flbit_i32_b32 s28, s27
	s_min_u32 s30, s28, 32
	s_lshl_b64 s[28:29], s[26:27], s30
	s_min_u32 s28, s28, 1
	s_or_b32 s28, s29, s28
	v_cvt_f32_u32_e32 v10, s28
	s_sub_i32 s30, 32, s30
	s_add_u32 s26, s26, 1
	s_addc_u32 s27, s27, 0
	v_ldexp_f32 v10, v10, s30
	v_cmp_eq_u64_e32 vcc, s[26:27], v[2:3]
	v_mul_f32_e32 v10, v8, v10
	s_or_b64 s[24:25], vcc, s[24:25]
	v_mov_b32_e32 v8, v9
	v_fma_f32 v9, v9, v5, -v10
	s_andn2_b64 exec, exec, s[24:25]
	s_cbranch_execnz .LBB63_380
; %bb.381:
	s_or_b64 exec, exec, s[24:25]
	v_cvt_f16_f32_e32 v8, v9
.LBB63_382:
	s_or_b64 exec, exec, s[22:23]
                                        ; implicit-def: $vgpr5
.LBB63_383:
	s_andn2_saveexec_b64 s[20:21], s[20:21]
; %bb.384:
	v_mov_b32_e32 v8, v5
; %bb.385:
	s_or_b64 exec, exec, s[20:21]
.LBB63_386:
	s_or_b64 exec, exec, s[14:15]
.LBB63_387:
	s_or_b64 exec, exec, s[10:11]
	v_cvt_f16_f32_e32 v2, v53
	v_cvt_f16_f32_e32 v3, v50
	;; [unrolled: 1-line block ×8, first 2 shown]
	s_add_u32 s8, s16, s8
	v_pack_b32_f16 v45, v15, v21
	v_pack_b32_f16 v42, v2, v3
	v_cvt_f16_f32_e32 v2, v41
	v_cvt_f16_f32_e32 v21, v38
	s_addc_u32 s9, s17, s9
	v_pack_b32_f16 v44, v10, v11
	v_pack_b32_f16 v43, v5, v9
	v_cvt_f16_f32_e32 v3, v36
	v_cvt_f16_f32_e32 v5, v30
	;; [unrolled: 1-line block ×6, first 2 shown]
	v_mov_b32_e32 v22, s9
	v_add_co_u32_e32 v23, vcc, s8, v52
	v_addc_co_u32_e32 v22, vcc, 0, v22, vcc
	s_movk_i32 s10, 0x2000
	v_pack_b32_f16 v30, v2, v21
	v_add_co_u32_e32 v2, vcc, s10, v23
	v_pack_b32_f16 v33, v9, v10
	v_pack_b32_f16 v32, v5, v11
	;; [unrolled: 1-line block ×3, first 2 shown]
	v_addc_co_u32_e32 v3, vcc, 0, v22, vcc
	global_store_dwordx4 v[2:3], v[30:33], off
	v_cvt_f16_f32_e32 v2, v29
	v_cvt_f16_f32_e32 v3, v24
	;; [unrolled: 1-line block ×8, first 2 shown]
	v_pack_b32_f16 v21, v9, v10
	v_pack_b32_f16 v20, v5, v11
	;; [unrolled: 1-line block ×4, first 2 shown]
	global_store_dwordx4 v1, v[18:21], s[8:9]
	v_cvt_f16_f32_e32 v1, v17
	v_cvt_f16_f32_e32 v2, v14
	;; [unrolled: 1-line block ×3, first 2 shown]
	global_store_dwordx4 v52, v[42:45], s[8:9]
	s_mov_b32 s8, 0x5040100
	v_perm_b32 v5, v8, v4, s8
	v_perm_b32 v4, v7, v6, s8
	v_add_co_u32_e32 v6, vcc, 0x6000, v23
	v_perm_b32 v3, v13, v3, s8
	v_pack_b32_f16 v2, v1, v2
	v_addc_co_u32_e32 v7, vcc, 0, v22, vcc
	global_store_dwordx4 v[6:7], v[2:5], off
	s_branch .LBB63_2
.LBB63_388:
	s_load_dword s10, s[4:5], 0x24
	s_load_dwordx4 s[20:23], s[4:5], 0x28
	s_add_u32 s8, s4, 56
	s_addc_u32 s9, s5, 0
	v_mov_b32_e32 v31, v0
	s_waitcnt lgkmcnt(0)
	v_lshrrev_b16_e64 v8, 8, s10
	v_mov_b32_e32 v0, s16
	v_mov_b32_e32 v1, s17
	;; [unrolled: 1-line block ×12, first 2 shown]
	s_getpc_b64 s[4:5]
	s_add_u32 s4, s4, _ZN2at6native25elementwise_kernel_helperILb1ENS0_13BinaryFunctorIfffZZZNS0_12_GLOBAL__N_133hermite_polynomial_he_kernel_cudaERNS_18TensorIteratorBaseEENKUlvE_clEvENKUlvE0_clEvEUlffE_EENS0_6memory8policies11unroll_baseILi512ESt5arrayIPcLm3EE23TrivialOffsetCalculatorILi2EjESG_ILi1EjENSA_12LoadWithCastILi2EEENSA_13StoreWithCastILi1EEELi32ELi1EEEEEvT0_T1_@rel32@lo+4
	s_addc_u32 s5, s5, _ZN2at6native25elementwise_kernel_helperILb1ENS0_13BinaryFunctorIfffZZZNS0_12_GLOBAL__N_133hermite_polynomial_he_kernel_cudaERNS_18TensorIteratorBaseEENKUlvE_clEvENKUlvE0_clEvEUlffE_EENS0_6memory8policies11unroll_baseILi512ESt5arrayIPcLm3EE23TrivialOffsetCalculatorILi2EjESG_ILi1EjENSA_12LoadWithCastILi2EEENSA_13StoreWithCastILi1EEELi32ELi1EEEEEvT0_T1_@rel32@hi+12
	s_swappc_b64 s[30:31], s[4:5]
	s_endpgm
	.section	.rodata,"a",@progbits
	.p2align	6, 0x0
	.amdhsa_kernel _ZN2at6native39vectorized_templated_elementwise_kernelILi8ENS0_13BinaryFunctorIfffZZZNS0_12_GLOBAL__N_133hermite_polynomial_he_kernel_cudaERNS_18TensorIteratorBaseEENKUlvE_clEvENKUlvE0_clEvEUlffE_EESt5arrayIPcLm3EE23TrivialOffsetCalculatorILi2EjESD_ILi1EjENS0_6memory12LoadWithCastILi2EEENSG_13StoreWithCastILi1EEEN3c104HalfEJSM_fEEEviT0_T1_T2_T3_T4_T5_
		.amdhsa_group_segment_fixed_size 0
		.amdhsa_private_segment_fixed_size 288
		.amdhsa_kernarg_size 312
		.amdhsa_user_sgpr_count 8
		.amdhsa_user_sgpr_private_segment_buffer 1
		.amdhsa_user_sgpr_dispatch_ptr 0
		.amdhsa_user_sgpr_queue_ptr 0
		.amdhsa_user_sgpr_kernarg_segment_ptr 1
		.amdhsa_user_sgpr_dispatch_id 0
		.amdhsa_user_sgpr_flat_scratch_init 1
		.amdhsa_user_sgpr_kernarg_preload_length 0
		.amdhsa_user_sgpr_kernarg_preload_offset 0
		.amdhsa_user_sgpr_private_segment_size 0
		.amdhsa_uses_dynamic_stack 0
		.amdhsa_system_sgpr_private_segment_wavefront_offset 1
		.amdhsa_system_sgpr_workgroup_id_x 1
		.amdhsa_system_sgpr_workgroup_id_y 0
		.amdhsa_system_sgpr_workgroup_id_z 0
		.amdhsa_system_sgpr_workgroup_info 0
		.amdhsa_system_vgpr_workitem_id 0
		.amdhsa_next_free_vgpr 120
		.amdhsa_next_free_sgpr 98
		.amdhsa_accum_offset 120
		.amdhsa_reserve_vcc 1
		.amdhsa_reserve_flat_scratch 1
		.amdhsa_float_round_mode_32 0
		.amdhsa_float_round_mode_16_64 0
		.amdhsa_float_denorm_mode_32 3
		.amdhsa_float_denorm_mode_16_64 3
		.amdhsa_dx10_clamp 1
		.amdhsa_ieee_mode 1
		.amdhsa_fp16_overflow 0
		.amdhsa_tg_split 0
		.amdhsa_exception_fp_ieee_invalid_op 0
		.amdhsa_exception_fp_denorm_src 0
		.amdhsa_exception_fp_ieee_div_zero 0
		.amdhsa_exception_fp_ieee_overflow 0
		.amdhsa_exception_fp_ieee_underflow 0
		.amdhsa_exception_fp_ieee_inexact 0
		.amdhsa_exception_int_div_zero 0
	.end_amdhsa_kernel
	.section	.text._ZN2at6native39vectorized_templated_elementwise_kernelILi8ENS0_13BinaryFunctorIfffZZZNS0_12_GLOBAL__N_133hermite_polynomial_he_kernel_cudaERNS_18TensorIteratorBaseEENKUlvE_clEvENKUlvE0_clEvEUlffE_EESt5arrayIPcLm3EE23TrivialOffsetCalculatorILi2EjESD_ILi1EjENS0_6memory12LoadWithCastILi2EEENSG_13StoreWithCastILi1EEEN3c104HalfEJSM_fEEEviT0_T1_T2_T3_T4_T5_,"axG",@progbits,_ZN2at6native39vectorized_templated_elementwise_kernelILi8ENS0_13BinaryFunctorIfffZZZNS0_12_GLOBAL__N_133hermite_polynomial_he_kernel_cudaERNS_18TensorIteratorBaseEENKUlvE_clEvENKUlvE0_clEvEUlffE_EESt5arrayIPcLm3EE23TrivialOffsetCalculatorILi2EjESD_ILi1EjENS0_6memory12LoadWithCastILi2EEENSG_13StoreWithCastILi1EEEN3c104HalfEJSM_fEEEviT0_T1_T2_T3_T4_T5_,comdat
.Lfunc_end63:
	.size	_ZN2at6native39vectorized_templated_elementwise_kernelILi8ENS0_13BinaryFunctorIfffZZZNS0_12_GLOBAL__N_133hermite_polynomial_he_kernel_cudaERNS_18TensorIteratorBaseEENKUlvE_clEvENKUlvE0_clEvEUlffE_EESt5arrayIPcLm3EE23TrivialOffsetCalculatorILi2EjESD_ILi1EjENS0_6memory12LoadWithCastILi2EEENSG_13StoreWithCastILi1EEEN3c104HalfEJSM_fEEEviT0_T1_T2_T3_T4_T5_, .Lfunc_end63-_ZN2at6native39vectorized_templated_elementwise_kernelILi8ENS0_13BinaryFunctorIfffZZZNS0_12_GLOBAL__N_133hermite_polynomial_he_kernel_cudaERNS_18TensorIteratorBaseEENKUlvE_clEvENKUlvE0_clEvEUlffE_EESt5arrayIPcLm3EE23TrivialOffsetCalculatorILi2EjESD_ILi1EjENS0_6memory12LoadWithCastILi2EEENSG_13StoreWithCastILi1EEEN3c104HalfEJSM_fEEEviT0_T1_T2_T3_T4_T5_
                                        ; -- End function
	.section	.AMDGPU.csdata,"",@progbits
; Kernel info:
; codeLenInByte = 7804
; NumSgprs: 104
; NumVgprs: 120
; NumAgprs: 0
; TotalNumVgprs: 120
; ScratchSize: 288
; MemoryBound: 0
; FloatMode: 240
; IeeeMode: 1
; LDSByteSize: 0 bytes/workgroup (compile time only)
; SGPRBlocks: 12
; VGPRBlocks: 14
; NumSGPRsForWavesPerEU: 104
; NumVGPRsForWavesPerEU: 120
; AccumOffset: 120
; Occupancy: 4
; WaveLimiterHint : 0
; COMPUTE_PGM_RSRC2:SCRATCH_EN: 1
; COMPUTE_PGM_RSRC2:USER_SGPR: 8
; COMPUTE_PGM_RSRC2:TRAP_HANDLER: 0
; COMPUTE_PGM_RSRC2:TGID_X_EN: 1
; COMPUTE_PGM_RSRC2:TGID_Y_EN: 0
; COMPUTE_PGM_RSRC2:TGID_Z_EN: 0
; COMPUTE_PGM_RSRC2:TIDIG_COMP_CNT: 0
; COMPUTE_PGM_RSRC3_GFX90A:ACCUM_OFFSET: 29
; COMPUTE_PGM_RSRC3_GFX90A:TG_SPLIT: 0
	.section	.text._ZN2at6native39vectorized_templated_elementwise_kernelILi4ENS0_13BinaryFunctorIfffZZZNS0_12_GLOBAL__N_133hermite_polynomial_he_kernel_cudaERNS_18TensorIteratorBaseEENKUlvE_clEvENKUlvE0_clEvEUlffE_EESt5arrayIPcLm3EE23TrivialOffsetCalculatorILi2EjESD_ILi1EjENS0_6memory12LoadWithCastILi2EEENSG_13StoreWithCastILi1EEEN3c104HalfEJSM_fEEEviT0_T1_T2_T3_T4_T5_,"axG",@progbits,_ZN2at6native39vectorized_templated_elementwise_kernelILi4ENS0_13BinaryFunctorIfffZZZNS0_12_GLOBAL__N_133hermite_polynomial_he_kernel_cudaERNS_18TensorIteratorBaseEENKUlvE_clEvENKUlvE0_clEvEUlffE_EESt5arrayIPcLm3EE23TrivialOffsetCalculatorILi2EjESD_ILi1EjENS0_6memory12LoadWithCastILi2EEENSG_13StoreWithCastILi1EEEN3c104HalfEJSM_fEEEviT0_T1_T2_T3_T4_T5_,comdat
	.globl	_ZN2at6native39vectorized_templated_elementwise_kernelILi4ENS0_13BinaryFunctorIfffZZZNS0_12_GLOBAL__N_133hermite_polynomial_he_kernel_cudaERNS_18TensorIteratorBaseEENKUlvE_clEvENKUlvE0_clEvEUlffE_EESt5arrayIPcLm3EE23TrivialOffsetCalculatorILi2EjESD_ILi1EjENS0_6memory12LoadWithCastILi2EEENSG_13StoreWithCastILi1EEEN3c104HalfEJSM_fEEEviT0_T1_T2_T3_T4_T5_ ; -- Begin function _ZN2at6native39vectorized_templated_elementwise_kernelILi4ENS0_13BinaryFunctorIfffZZZNS0_12_GLOBAL__N_133hermite_polynomial_he_kernel_cudaERNS_18TensorIteratorBaseEENKUlvE_clEvENKUlvE0_clEvEUlffE_EESt5arrayIPcLm3EE23TrivialOffsetCalculatorILi2EjESD_ILi1EjENS0_6memory12LoadWithCastILi2EEENSG_13StoreWithCastILi1EEEN3c104HalfEJSM_fEEEviT0_T1_T2_T3_T4_T5_
	.p2align	8
	.type	_ZN2at6native39vectorized_templated_elementwise_kernelILi4ENS0_13BinaryFunctorIfffZZZNS0_12_GLOBAL__N_133hermite_polynomial_he_kernel_cudaERNS_18TensorIteratorBaseEENKUlvE_clEvENKUlvE0_clEvEUlffE_EESt5arrayIPcLm3EE23TrivialOffsetCalculatorILi2EjESD_ILi1EjENS0_6memory12LoadWithCastILi2EEENSG_13StoreWithCastILi1EEEN3c104HalfEJSM_fEEEviT0_T1_T2_T3_T4_T5_,@function
_ZN2at6native39vectorized_templated_elementwise_kernelILi4ENS0_13BinaryFunctorIfffZZZNS0_12_GLOBAL__N_133hermite_polynomial_he_kernel_cudaERNS_18TensorIteratorBaseEENKUlvE_clEvENKUlvE0_clEvEUlffE_EESt5arrayIPcLm3EE23TrivialOffsetCalculatorILi2EjESD_ILi1EjENS0_6memory12LoadWithCastILi2EEENSG_13StoreWithCastILi1EEEN3c104HalfEJSM_fEEEviT0_T1_T2_T3_T4_T5_: ; @_ZN2at6native39vectorized_templated_elementwise_kernelILi4ENS0_13BinaryFunctorIfffZZZNS0_12_GLOBAL__N_133hermite_polynomial_he_kernel_cudaERNS_18TensorIteratorBaseEENKUlvE_clEvENKUlvE0_clEvEUlffE_EESt5arrayIPcLm3EE23TrivialOffsetCalculatorILi2EjESD_ILi1EjENS0_6memory12LoadWithCastILi2EEENSG_13StoreWithCastILi1EEEN3c104HalfEJSM_fEEEviT0_T1_T2_T3_T4_T5_
; %bb.0:
	s_add_u32 flat_scratch_lo, s6, s9
	s_addc_u32 flat_scratch_hi, s7, 0
	s_add_u32 s0, s0, s9
	s_mov_b32 s12, s8
	s_load_dword s8, s[4:5], 0x38
	s_load_dwordx2 s[6:7], s[4:5], 0x18
	s_load_dword s9, s[4:5], 0x0
	s_load_dwordx4 s[16:19], s[4:5], 0x8
	s_addc_u32 s1, s1, 0
	s_not_b32 s10, s12
	s_waitcnt lgkmcnt(0)
	s_add_i32 s8, s8, s10
	s_lshl_b32 s10, s8, 14
	s_sub_i32 s13, s9, s10
	s_cmpk_gt_i32 s13, 0x3fff
	s_mov_b64 s[8:9], -1
	s_mov_b32 s32, 0
	s_cbranch_scc1 .LBB64_3
; %bb.1:
	s_and_b64 vcc, exec, s[8:9]
	s_cbranch_vccnz .LBB64_388
.LBB64_2:
	s_endpgm
.LBB64_3:
	s_ashr_i32 s11, s10, 31
	s_lshl_b64 s[8:9], s[10:11], 1
	s_add_u32 s14, s18, s8
	s_addc_u32 s15, s19, s9
	v_lshlrev_b32_e32 v54, 3, v0
	v_mov_b32_e32 v1, s15
	v_add_co_u32_e32 v6, vcc, s14, v54
	v_addc_co_u32_e32 v7, vcc, 0, v1, vcc
	v_add_co_u32_e32 v2, vcc, 0x1000, v6
	v_addc_co_u32_e32 v3, vcc, 0, v7, vcc
	v_add_co_u32_e32 v4, vcc, 0x3000, v6
	v_or_b32_e32 v8, 0x400, v0
	v_addc_co_u32_e32 v5, vcc, 0, v7, vcc
	v_lshlrev_b32_e32 v53, 3, v8
	global_load_dwordx2 v[48:49], v54, s[14:15]
	global_load_dwordx2 v[46:47], v[2:3], off
	global_load_dwordx2 v[44:45], v53, s[14:15]
	global_load_dwordx2 v[42:43], v[4:5], off
	v_add_co_u32_e32 v2, vcc, 0x5000, v6
	v_or_b32_e32 v9, 0x800, v0
	v_addc_co_u32_e32 v3, vcc, 0, v7, vcc
	s_lshl_b64 s[10:11], s[10:11], 2
	v_lshlrev_b32_e32 v52, 3, v9
	v_or_b32_e32 v50, 0xc00, v0
	v_add_co_u32_e32 v4, vcc, 0x7000, v6
	s_add_u32 s10, s6, s10
	v_lshlrev_b32_e32 v1, 3, v50
	v_addc_co_u32_e32 v5, vcc, 0, v7, vcc
	global_load_dwordx2 v[40:41], v52, s[14:15]
	global_load_dwordx2 v[38:39], v[2:3], off
	global_load_dwordx2 v[36:37], v1, s[14:15]
	global_load_dwordx2 v[34:35], v[4:5], off
	s_addc_u32 s11, s7, s11
	v_lshlrev_b32_e32 v4, 4, v0
	v_mov_b32_e32 v2, s11
	v_add_co_u32_e32 v5, vcc, s10, v4
	v_addc_co_u32_e32 v6, vcc, 0, v2, vcc
	v_add_co_u32_e32 v2, vcc, 0x2000, v5
	v_addc_co_u32_e32 v3, vcc, 0, v6, vcc
	global_load_dwordx4 v[30:33], v4, s[10:11]
	global_load_dwordx4 v[26:29], v[2:3], off
	v_add_co_u32_e32 v2, vcc, 0x6000, v5
	v_lshlrev_b32_e32 v4, 4, v8
	v_addc_co_u32_e32 v3, vcc, 0, v6, vcc
	global_load_dwordx4 v[22:25], v4, s[10:11]
	global_load_dwordx4 v[18:21], v[2:3], off
	v_add_co_u32_e32 v2, vcc, 0xa000, v5
	v_addc_co_u32_e32 v3, vcc, 0, v6, vcc
	v_lshlrev_b32_e32 v4, 4, v9
	v_lshlrev_b32_e32 v55, 4, v50
	v_add_co_u32_e32 v50, vcc, 0xe000, v5
	global_load_dwordx4 v[14:17], v4, s[10:11]
	global_load_dwordx4 v[10:13], v[2:3], off
	v_addc_co_u32_e32 v51, vcc, 0, v6, vcc
	global_load_dwordx4 v[6:9], v55, s[10:11]
	global_load_dwordx4 v[2:5], v[50:51], off
	v_mov_b32_e32 v55, 0
	s_waitcnt vmcnt(7)
	v_cvt_f16_f32_e32 v30, v30
	v_cvt_f32_f16_e32 v30, v30
	v_cvt_i32_f32_e32 v50, v30
	v_ashrrev_i32_e32 v51, 31, v50
	v_cmp_lt_i64_e32 vcc, -1, v[50:51]
	s_and_saveexec_b64 s[10:11], vcc
	s_cbranch_execz .LBB64_15
; %bb.4:
	v_cmp_lt_i64_e32 vcc, 0, v[50:51]
	v_mov_b32_e32 v55, 1.0
	s_and_saveexec_b64 s[14:15], vcc
	s_cbranch_execz .LBB64_14
; %bb.5:
	v_cvt_f32_f16_e32 v30, v48
	v_cmp_ne_u64_e32 vcc, 1, v[50:51]
                                        ; implicit-def: $vgpr55
	s_and_saveexec_b64 s[20:21], vcc
	s_xor_b64 s[20:21], exec, s[20:21]
	s_cbranch_execz .LBB64_11
; %bb.6:
	s_mov_b64 s[22:23], 0x81
	v_cmp_gt_u64_e32 vcc, s[22:23], v[50:51]
	v_mov_b32_e32 v55, 0x7fc00000
	s_and_saveexec_b64 s[22:23], vcc
	s_cbranch_execz .LBB64_10
; %bb.7:
	s_mov_b64 s[26:27], 1
	s_mov_b64 s[24:25], 0
	v_mov_b32_e32 v56, 1.0
	v_mov_b32_e32 v55, v30
.LBB64_8:                               ; =>This Inner Loop Header: Depth=1
	s_flbit_i32_b32 s28, s27
	s_min_u32 s30, s28, 32
	s_lshl_b64 s[28:29], s[26:27], s30
	s_min_u32 s28, s28, 1
	s_or_b32 s28, s29, s28
	v_cvt_f32_u32_e32 v57, s28
	s_sub_i32 s30, 32, s30
	s_add_u32 s26, s26, 1
	s_addc_u32 s27, s27, 0
	v_ldexp_f32 v57, v57, s30
	v_cmp_eq_u64_e32 vcc, s[26:27], v[50:51]
	v_mul_f32_e32 v57, v56, v57
	s_or_b64 s[24:25], vcc, s[24:25]
	v_mov_b32_e32 v56, v55
	v_fma_f32 v55, v55, v30, -v57
	s_andn2_b64 exec, exec, s[24:25]
	s_cbranch_execnz .LBB64_8
; %bb.9:
	s_or_b64 exec, exec, s[24:25]
.LBB64_10:
	s_or_b64 exec, exec, s[22:23]
                                        ; implicit-def: $vgpr30
.LBB64_11:
	s_andn2_saveexec_b64 s[20:21], s[20:21]
; %bb.12:
	v_mov_b32_e32 v55, v30
; %bb.13:
	s_or_b64 exec, exec, s[20:21]
.LBB64_14:
	s_or_b64 exec, exec, s[14:15]
.LBB64_15:
	s_or_b64 exec, exec, s[10:11]
	v_cvt_f16_f32_e32 v30, v31
	v_mov_b32_e32 v50, 0
	v_cvt_f32_f16_e32 v30, v30
	v_cvt_i32_f32_e32 v30, v30
	v_ashrrev_i32_e32 v31, 31, v30
	v_cmp_lt_i64_e32 vcc, -1, v[30:31]
	s_and_saveexec_b64 s[10:11], vcc
	s_cbranch_execz .LBB64_27
; %bb.16:
	v_cmp_lt_i64_e32 vcc, 0, v[30:31]
	v_mov_b32_e32 v50, 1.0
	s_and_saveexec_b64 s[14:15], vcc
	s_cbranch_execz .LBB64_26
; %bb.17:
	v_cvt_f32_f16_sdwa v48, v48 dst_sel:DWORD dst_unused:UNUSED_PAD src0_sel:WORD_1
	v_cmp_ne_u64_e32 vcc, 1, v[30:31]
                                        ; implicit-def: $vgpr50
	s_and_saveexec_b64 s[20:21], vcc
	s_xor_b64 s[20:21], exec, s[20:21]
	s_cbranch_execz .LBB64_23
; %bb.18:
	s_mov_b64 s[22:23], 0x81
	v_cmp_gt_u64_e32 vcc, s[22:23], v[30:31]
	v_mov_b32_e32 v50, 0x7fc00000
	s_and_saveexec_b64 s[22:23], vcc
	s_cbranch_execz .LBB64_22
; %bb.19:
	s_mov_b64 s[26:27], 1
	s_mov_b64 s[24:25], 0
	v_mov_b32_e32 v51, 1.0
	v_mov_b32_e32 v50, v48
.LBB64_20:                              ; =>This Inner Loop Header: Depth=1
	s_flbit_i32_b32 s28, s27
	s_min_u32 s30, s28, 32
	s_lshl_b64 s[28:29], s[26:27], s30
	s_min_u32 s28, s28, 1
	s_or_b32 s28, s29, s28
	v_cvt_f32_u32_e32 v56, s28
	s_sub_i32 s30, 32, s30
	s_add_u32 s26, s26, 1
	s_addc_u32 s27, s27, 0
	v_ldexp_f32 v56, v56, s30
	v_cmp_eq_u64_e32 vcc, s[26:27], v[30:31]
	v_mul_f32_e32 v56, v51, v56
	s_or_b64 s[24:25], vcc, s[24:25]
	v_mov_b32_e32 v51, v50
	v_fma_f32 v50, v50, v48, -v56
	s_andn2_b64 exec, exec, s[24:25]
	s_cbranch_execnz .LBB64_20
; %bb.21:
	s_or_b64 exec, exec, s[24:25]
.LBB64_22:
	s_or_b64 exec, exec, s[22:23]
                                        ; implicit-def: $vgpr48
.LBB64_23:
	s_andn2_saveexec_b64 s[20:21], s[20:21]
; %bb.24:
	v_mov_b32_e32 v50, v48
; %bb.25:
	s_or_b64 exec, exec, s[20:21]
.LBB64_26:
	s_or_b64 exec, exec, s[14:15]
.LBB64_27:
	s_or_b64 exec, exec, s[10:11]
	v_cvt_f16_f32_e32 v30, v32
	v_mov_b32_e32 v32, 0
	v_cvt_f32_f16_e32 v30, v30
	v_cvt_i32_f32_e32 v30, v30
	v_ashrrev_i32_e32 v31, 31, v30
	v_cmp_lt_i64_e32 vcc, -1, v[30:31]
	s_and_saveexec_b64 s[10:11], vcc
	s_cbranch_execz .LBB64_39
; %bb.28:
	v_cmp_lt_i64_e32 vcc, 0, v[30:31]
	v_mov_b32_e32 v32, 1.0
	s_and_saveexec_b64 s[14:15], vcc
	s_cbranch_execz .LBB64_38
; %bb.29:
	v_cvt_f32_f16_e32 v48, v49
	v_cmp_ne_u64_e32 vcc, 1, v[30:31]
                                        ; implicit-def: $vgpr32
	s_and_saveexec_b64 s[20:21], vcc
	s_xor_b64 s[20:21], exec, s[20:21]
	s_cbranch_execz .LBB64_35
; %bb.30:
	s_mov_b64 s[22:23], 0x81
	v_cmp_gt_u64_e32 vcc, s[22:23], v[30:31]
	v_mov_b32_e32 v32, 0x7fc00000
	s_and_saveexec_b64 s[22:23], vcc
	s_cbranch_execz .LBB64_34
; %bb.31:
	s_mov_b64 s[26:27], 1
	s_mov_b64 s[24:25], 0
	v_mov_b32_e32 v51, 1.0
	v_mov_b32_e32 v32, v48
.LBB64_32:                              ; =>This Inner Loop Header: Depth=1
	s_flbit_i32_b32 s28, s27
	s_min_u32 s30, s28, 32
	s_lshl_b64 s[28:29], s[26:27], s30
	s_min_u32 s28, s28, 1
	s_or_b32 s28, s29, s28
	v_cvt_f32_u32_e32 v56, s28
	s_sub_i32 s30, 32, s30
	s_add_u32 s26, s26, 1
	s_addc_u32 s27, s27, 0
	v_ldexp_f32 v56, v56, s30
	v_cmp_eq_u64_e32 vcc, s[26:27], v[30:31]
	v_mul_f32_e32 v56, v51, v56
	s_or_b64 s[24:25], vcc, s[24:25]
	v_mov_b32_e32 v51, v32
	v_fma_f32 v32, v32, v48, -v56
	s_andn2_b64 exec, exec, s[24:25]
	s_cbranch_execnz .LBB64_32
; %bb.33:
	s_or_b64 exec, exec, s[24:25]
.LBB64_34:
	s_or_b64 exec, exec, s[22:23]
                                        ; implicit-def: $vgpr48
.LBB64_35:
	s_andn2_saveexec_b64 s[20:21], s[20:21]
; %bb.36:
	v_mov_b32_e32 v32, v48
; %bb.37:
	s_or_b64 exec, exec, s[20:21]
.LBB64_38:
	s_or_b64 exec, exec, s[14:15]
.LBB64_39:
	s_or_b64 exec, exec, s[10:11]
	v_cvt_f16_f32_e32 v30, v33
	v_mov_b32_e32 v33, 0
	v_cvt_f32_f16_e32 v30, v30
	v_cvt_i32_f32_e32 v30, v30
	v_ashrrev_i32_e32 v31, 31, v30
	v_cmp_lt_i64_e32 vcc, -1, v[30:31]
	s_and_saveexec_b64 s[10:11], vcc
	s_cbranch_execz .LBB64_51
; %bb.40:
	v_cmp_lt_i64_e32 vcc, 0, v[30:31]
	v_mov_b32_e32 v33, 1.0
	s_and_saveexec_b64 s[14:15], vcc
	s_cbranch_execz .LBB64_50
; %bb.41:
	v_cvt_f32_f16_sdwa v48, v49 dst_sel:DWORD dst_unused:UNUSED_PAD src0_sel:WORD_1
	v_cmp_ne_u64_e32 vcc, 1, v[30:31]
                                        ; implicit-def: $vgpr33
	s_and_saveexec_b64 s[20:21], vcc
	s_xor_b64 s[20:21], exec, s[20:21]
	s_cbranch_execz .LBB64_47
; %bb.42:
	s_mov_b64 s[22:23], 0x81
	v_cmp_gt_u64_e32 vcc, s[22:23], v[30:31]
	v_mov_b32_e32 v33, 0x7fc00000
	s_and_saveexec_b64 s[22:23], vcc
	s_cbranch_execz .LBB64_46
; %bb.43:
	s_mov_b64 s[26:27], 1
	s_mov_b64 s[24:25], 0
	v_mov_b32_e32 v49, 1.0
	v_mov_b32_e32 v33, v48
.LBB64_44:                              ; =>This Inner Loop Header: Depth=1
	s_flbit_i32_b32 s28, s27
	s_min_u32 s30, s28, 32
	s_lshl_b64 s[28:29], s[26:27], s30
	s_min_u32 s28, s28, 1
	s_or_b32 s28, s29, s28
	v_cvt_f32_u32_e32 v51, s28
	s_sub_i32 s30, 32, s30
	s_add_u32 s26, s26, 1
	s_addc_u32 s27, s27, 0
	v_ldexp_f32 v51, v51, s30
	v_cmp_eq_u64_e32 vcc, s[26:27], v[30:31]
	v_mul_f32_e32 v51, v49, v51
	s_or_b64 s[24:25], vcc, s[24:25]
	v_mov_b32_e32 v49, v33
	v_fma_f32 v33, v33, v48, -v51
	s_andn2_b64 exec, exec, s[24:25]
	s_cbranch_execnz .LBB64_44
; %bb.45:
	s_or_b64 exec, exec, s[24:25]
.LBB64_46:
	s_or_b64 exec, exec, s[22:23]
                                        ; implicit-def: $vgpr48
.LBB64_47:
	s_andn2_saveexec_b64 s[20:21], s[20:21]
; %bb.48:
	v_mov_b32_e32 v33, v48
; %bb.49:
	s_or_b64 exec, exec, s[20:21]
.LBB64_50:
	s_or_b64 exec, exec, s[14:15]
.LBB64_51:
	s_or_b64 exec, exec, s[10:11]
	s_waitcnt vmcnt(6)
	v_cvt_f16_f32_e32 v26, v26
	v_mov_b32_e32 v48, 0
	v_cvt_f32_f16_e32 v26, v26
	v_cvt_i32_f32_e32 v30, v26
	v_ashrrev_i32_e32 v31, 31, v30
	v_cmp_lt_i64_e32 vcc, -1, v[30:31]
	s_and_saveexec_b64 s[10:11], vcc
	s_cbranch_execz .LBB64_63
; %bb.52:
	v_cmp_lt_i64_e32 vcc, 0, v[30:31]
	v_mov_b32_e32 v48, 1.0
	s_and_saveexec_b64 s[14:15], vcc
	s_cbranch_execz .LBB64_62
; %bb.53:
	v_cvt_f32_f16_e32 v26, v46
	v_cmp_ne_u64_e32 vcc, 1, v[30:31]
                                        ; implicit-def: $vgpr48
	s_and_saveexec_b64 s[20:21], vcc
	s_xor_b64 s[20:21], exec, s[20:21]
	s_cbranch_execz .LBB64_59
; %bb.54:
	s_mov_b64 s[22:23], 0x81
	v_cmp_gt_u64_e32 vcc, s[22:23], v[30:31]
	v_mov_b32_e32 v48, 0x7fc00000
	s_and_saveexec_b64 s[22:23], vcc
	s_cbranch_execz .LBB64_58
; %bb.55:
	s_mov_b64 s[26:27], 1
	s_mov_b64 s[24:25], 0
	v_mov_b32_e32 v49, 1.0
	v_mov_b32_e32 v48, v26
.LBB64_56:                              ; =>This Inner Loop Header: Depth=1
	s_flbit_i32_b32 s28, s27
	s_min_u32 s30, s28, 32
	s_lshl_b64 s[28:29], s[26:27], s30
	s_min_u32 s28, s28, 1
	s_or_b32 s28, s29, s28
	v_cvt_f32_u32_e32 v51, s28
	s_sub_i32 s30, 32, s30
	s_add_u32 s26, s26, 1
	s_addc_u32 s27, s27, 0
	v_ldexp_f32 v51, v51, s30
	v_cmp_eq_u64_e32 vcc, s[26:27], v[30:31]
	v_mul_f32_e32 v51, v49, v51
	s_or_b64 s[24:25], vcc, s[24:25]
	v_mov_b32_e32 v49, v48
	v_fma_f32 v48, v48, v26, -v51
	s_andn2_b64 exec, exec, s[24:25]
	s_cbranch_execnz .LBB64_56
; %bb.57:
	s_or_b64 exec, exec, s[24:25]
.LBB64_58:
	s_or_b64 exec, exec, s[22:23]
                                        ; implicit-def: $vgpr26
.LBB64_59:
	s_andn2_saveexec_b64 s[20:21], s[20:21]
; %bb.60:
	v_mov_b32_e32 v48, v26
; %bb.61:
	s_or_b64 exec, exec, s[20:21]
.LBB64_62:
	s_or_b64 exec, exec, s[14:15]
.LBB64_63:
	s_or_b64 exec, exec, s[10:11]
	v_cvt_f16_f32_e32 v26, v27
	v_mov_b32_e32 v30, 0
	v_cvt_f32_f16_e32 v26, v26
	v_cvt_i32_f32_e32 v26, v26
	v_ashrrev_i32_e32 v27, 31, v26
	v_cmp_lt_i64_e32 vcc, -1, v[26:27]
	s_and_saveexec_b64 s[10:11], vcc
	s_cbranch_execz .LBB64_75
; %bb.64:
	v_cmp_lt_i64_e32 vcc, 0, v[26:27]
	v_mov_b32_e32 v30, 1.0
	s_and_saveexec_b64 s[14:15], vcc
	s_cbranch_execz .LBB64_74
; %bb.65:
	v_cvt_f32_f16_sdwa v31, v46 dst_sel:DWORD dst_unused:UNUSED_PAD src0_sel:WORD_1
	v_cmp_ne_u64_e32 vcc, 1, v[26:27]
                                        ; implicit-def: $vgpr30
	s_and_saveexec_b64 s[20:21], vcc
	s_xor_b64 s[20:21], exec, s[20:21]
	s_cbranch_execz .LBB64_71
; %bb.66:
	s_mov_b64 s[22:23], 0x81
	v_cmp_gt_u64_e32 vcc, s[22:23], v[26:27]
	v_mov_b32_e32 v30, 0x7fc00000
	s_and_saveexec_b64 s[22:23], vcc
	s_cbranch_execz .LBB64_70
; %bb.67:
	s_mov_b64 s[26:27], 1
	s_mov_b64 s[24:25], 0
	v_mov_b32_e32 v46, 1.0
	v_mov_b32_e32 v30, v31
.LBB64_68:                              ; =>This Inner Loop Header: Depth=1
	s_flbit_i32_b32 s28, s27
	s_min_u32 s30, s28, 32
	s_lshl_b64 s[28:29], s[26:27], s30
	s_min_u32 s28, s28, 1
	s_or_b32 s28, s29, s28
	v_cvt_f32_u32_e32 v49, s28
	s_sub_i32 s30, 32, s30
	s_add_u32 s26, s26, 1
	s_addc_u32 s27, s27, 0
	v_ldexp_f32 v49, v49, s30
	v_cmp_eq_u64_e32 vcc, s[26:27], v[26:27]
	v_mul_f32_e32 v49, v46, v49
	s_or_b64 s[24:25], vcc, s[24:25]
	v_mov_b32_e32 v46, v30
	v_fma_f32 v30, v30, v31, -v49
	s_andn2_b64 exec, exec, s[24:25]
	s_cbranch_execnz .LBB64_68
; %bb.69:
	s_or_b64 exec, exec, s[24:25]
.LBB64_70:
	s_or_b64 exec, exec, s[22:23]
                                        ; implicit-def: $vgpr31
.LBB64_71:
	s_andn2_saveexec_b64 s[20:21], s[20:21]
; %bb.72:
	v_mov_b32_e32 v30, v31
; %bb.73:
	s_or_b64 exec, exec, s[20:21]
.LBB64_74:
	s_or_b64 exec, exec, s[14:15]
.LBB64_75:
	s_or_b64 exec, exec, s[10:11]
	v_cvt_f16_f32_e32 v26, v28
	v_mov_b32_e32 v28, 0
	v_cvt_f32_f16_e32 v26, v26
	v_cvt_i32_f32_e32 v26, v26
	v_ashrrev_i32_e32 v27, 31, v26
	v_cmp_lt_i64_e32 vcc, -1, v[26:27]
	s_and_saveexec_b64 s[10:11], vcc
	s_cbranch_execz .LBB64_87
; %bb.76:
	v_cmp_lt_i64_e32 vcc, 0, v[26:27]
	v_mov_b32_e32 v28, 1.0
	s_and_saveexec_b64 s[14:15], vcc
	s_cbranch_execz .LBB64_86
; %bb.77:
	v_cvt_f32_f16_e32 v31, v47
	v_cmp_ne_u64_e32 vcc, 1, v[26:27]
                                        ; implicit-def: $vgpr28
	s_and_saveexec_b64 s[20:21], vcc
	s_xor_b64 s[20:21], exec, s[20:21]
	s_cbranch_execz .LBB64_83
; %bb.78:
	s_mov_b64 s[22:23], 0x81
	v_cmp_gt_u64_e32 vcc, s[22:23], v[26:27]
	v_mov_b32_e32 v28, 0x7fc00000
	s_and_saveexec_b64 s[22:23], vcc
	s_cbranch_execz .LBB64_82
; %bb.79:
	s_mov_b64 s[26:27], 1
	s_mov_b64 s[24:25], 0
	v_mov_b32_e32 v46, 1.0
	v_mov_b32_e32 v28, v31
.LBB64_80:                              ; =>This Inner Loop Header: Depth=1
	s_flbit_i32_b32 s28, s27
	s_min_u32 s30, s28, 32
	s_lshl_b64 s[28:29], s[26:27], s30
	s_min_u32 s28, s28, 1
	s_or_b32 s28, s29, s28
	v_cvt_f32_u32_e32 v49, s28
	s_sub_i32 s30, 32, s30
	s_add_u32 s26, s26, 1
	s_addc_u32 s27, s27, 0
	v_ldexp_f32 v49, v49, s30
	v_cmp_eq_u64_e32 vcc, s[26:27], v[26:27]
	v_mul_f32_e32 v49, v46, v49
	s_or_b64 s[24:25], vcc, s[24:25]
	v_mov_b32_e32 v46, v28
	v_fma_f32 v28, v28, v31, -v49
	s_andn2_b64 exec, exec, s[24:25]
	s_cbranch_execnz .LBB64_80
; %bb.81:
	s_or_b64 exec, exec, s[24:25]
.LBB64_82:
	s_or_b64 exec, exec, s[22:23]
                                        ; implicit-def: $vgpr31
.LBB64_83:
	s_andn2_saveexec_b64 s[20:21], s[20:21]
; %bb.84:
	v_mov_b32_e32 v28, v31
; %bb.85:
	s_or_b64 exec, exec, s[20:21]
.LBB64_86:
	s_or_b64 exec, exec, s[14:15]
.LBB64_87:
	s_or_b64 exec, exec, s[10:11]
	v_cvt_f16_f32_e32 v26, v29
	v_mov_b32_e32 v29, 0
	v_cvt_f32_f16_e32 v26, v26
	v_cvt_i32_f32_e32 v26, v26
	v_ashrrev_i32_e32 v27, 31, v26
	v_cmp_lt_i64_e32 vcc, -1, v[26:27]
	s_and_saveexec_b64 s[10:11], vcc
	s_cbranch_execz .LBB64_99
; %bb.88:
	v_cmp_lt_i64_e32 vcc, 0, v[26:27]
	v_mov_b32_e32 v29, 1.0
	s_and_saveexec_b64 s[14:15], vcc
	s_cbranch_execz .LBB64_98
; %bb.89:
	v_cvt_f32_f16_sdwa v31, v47 dst_sel:DWORD dst_unused:UNUSED_PAD src0_sel:WORD_1
	v_cmp_ne_u64_e32 vcc, 1, v[26:27]
                                        ; implicit-def: $vgpr29
	s_and_saveexec_b64 s[20:21], vcc
	s_xor_b64 s[20:21], exec, s[20:21]
	s_cbranch_execz .LBB64_95
; %bb.90:
	s_mov_b64 s[22:23], 0x81
	v_cmp_gt_u64_e32 vcc, s[22:23], v[26:27]
	v_mov_b32_e32 v29, 0x7fc00000
	s_and_saveexec_b64 s[22:23], vcc
	s_cbranch_execz .LBB64_94
; %bb.91:
	s_mov_b64 s[26:27], 1
	s_mov_b64 s[24:25], 0
	v_mov_b32_e32 v46, 1.0
	v_mov_b32_e32 v29, v31
.LBB64_92:                              ; =>This Inner Loop Header: Depth=1
	s_flbit_i32_b32 s28, s27
	s_min_u32 s30, s28, 32
	s_lshl_b64 s[28:29], s[26:27], s30
	s_min_u32 s28, s28, 1
	s_or_b32 s28, s29, s28
	v_cvt_f32_u32_e32 v47, s28
	s_sub_i32 s30, 32, s30
	s_add_u32 s26, s26, 1
	s_addc_u32 s27, s27, 0
	v_ldexp_f32 v47, v47, s30
	v_cmp_eq_u64_e32 vcc, s[26:27], v[26:27]
	v_mul_f32_e32 v47, v46, v47
	s_or_b64 s[24:25], vcc, s[24:25]
	v_mov_b32_e32 v46, v29
	v_fma_f32 v29, v29, v31, -v47
	s_andn2_b64 exec, exec, s[24:25]
	s_cbranch_execnz .LBB64_92
; %bb.93:
	s_or_b64 exec, exec, s[24:25]
.LBB64_94:
	s_or_b64 exec, exec, s[22:23]
                                        ; implicit-def: $vgpr31
.LBB64_95:
	s_andn2_saveexec_b64 s[20:21], s[20:21]
; %bb.96:
	v_mov_b32_e32 v29, v31
; %bb.97:
	s_or_b64 exec, exec, s[20:21]
.LBB64_98:
	s_or_b64 exec, exec, s[14:15]
.LBB64_99:
	s_or_b64 exec, exec, s[10:11]
	s_waitcnt vmcnt(5)
	v_cvt_f16_f32_e32 v22, v22
	v_mov_b32_e32 v31, 0
	v_cvt_f32_f16_e32 v22, v22
	v_cvt_i32_f32_e32 v26, v22
	v_ashrrev_i32_e32 v27, 31, v26
	v_cmp_lt_i64_e32 vcc, -1, v[26:27]
	s_and_saveexec_b64 s[10:11], vcc
	s_cbranch_execz .LBB64_111
; %bb.100:
	v_cmp_lt_i64_e32 vcc, 0, v[26:27]
	v_mov_b32_e32 v31, 1.0
	s_and_saveexec_b64 s[14:15], vcc
	s_cbranch_execz .LBB64_110
; %bb.101:
	v_cvt_f32_f16_e32 v22, v44
	v_cmp_ne_u64_e32 vcc, 1, v[26:27]
                                        ; implicit-def: $vgpr31
	s_and_saveexec_b64 s[20:21], vcc
	s_xor_b64 s[20:21], exec, s[20:21]
	s_cbranch_execz .LBB64_107
; %bb.102:
	s_mov_b64 s[22:23], 0x81
	v_cmp_gt_u64_e32 vcc, s[22:23], v[26:27]
	v_mov_b32_e32 v31, 0x7fc00000
	s_and_saveexec_b64 s[22:23], vcc
	s_cbranch_execz .LBB64_106
; %bb.103:
	s_mov_b64 s[26:27], 1
	s_mov_b64 s[24:25], 0
	v_mov_b32_e32 v46, 1.0
	v_mov_b32_e32 v31, v22
.LBB64_104:                             ; =>This Inner Loop Header: Depth=1
	s_flbit_i32_b32 s28, s27
	s_min_u32 s30, s28, 32
	s_lshl_b64 s[28:29], s[26:27], s30
	s_min_u32 s28, s28, 1
	s_or_b32 s28, s29, s28
	v_cvt_f32_u32_e32 v47, s28
	s_sub_i32 s30, 32, s30
	s_add_u32 s26, s26, 1
	s_addc_u32 s27, s27, 0
	v_ldexp_f32 v47, v47, s30
	v_cmp_eq_u64_e32 vcc, s[26:27], v[26:27]
	v_mul_f32_e32 v47, v46, v47
	s_or_b64 s[24:25], vcc, s[24:25]
	v_mov_b32_e32 v46, v31
	v_fma_f32 v31, v31, v22, -v47
	s_andn2_b64 exec, exec, s[24:25]
	s_cbranch_execnz .LBB64_104
; %bb.105:
	s_or_b64 exec, exec, s[24:25]
.LBB64_106:
	s_or_b64 exec, exec, s[22:23]
                                        ; implicit-def: $vgpr22
.LBB64_107:
	s_andn2_saveexec_b64 s[20:21], s[20:21]
; %bb.108:
	v_mov_b32_e32 v31, v22
; %bb.109:
	s_or_b64 exec, exec, s[20:21]
.LBB64_110:
	s_or_b64 exec, exec, s[14:15]
.LBB64_111:
	s_or_b64 exec, exec, s[10:11]
	v_cvt_f16_f32_e32 v22, v23
	v_mov_b32_e32 v26, 0
	v_cvt_f32_f16_e32 v22, v22
	v_cvt_i32_f32_e32 v22, v22
	v_ashrrev_i32_e32 v23, 31, v22
	v_cmp_lt_i64_e32 vcc, -1, v[22:23]
	s_and_saveexec_b64 s[10:11], vcc
	s_cbranch_execz .LBB64_123
; %bb.112:
	v_cmp_lt_i64_e32 vcc, 0, v[22:23]
	v_mov_b32_e32 v26, 1.0
	s_and_saveexec_b64 s[14:15], vcc
	s_cbranch_execz .LBB64_122
; %bb.113:
	v_cvt_f32_f16_sdwa v27, v44 dst_sel:DWORD dst_unused:UNUSED_PAD src0_sel:WORD_1
	v_cmp_ne_u64_e32 vcc, 1, v[22:23]
                                        ; implicit-def: $vgpr26
	s_and_saveexec_b64 s[20:21], vcc
	s_xor_b64 s[20:21], exec, s[20:21]
	s_cbranch_execz .LBB64_119
; %bb.114:
	s_mov_b64 s[22:23], 0x81
	v_cmp_gt_u64_e32 vcc, s[22:23], v[22:23]
	v_mov_b32_e32 v26, 0x7fc00000
	s_and_saveexec_b64 s[22:23], vcc
	s_cbranch_execz .LBB64_118
; %bb.115:
	s_mov_b64 s[26:27], 1
	s_mov_b64 s[24:25], 0
	v_mov_b32_e32 v44, 1.0
	v_mov_b32_e32 v26, v27
.LBB64_116:                             ; =>This Inner Loop Header: Depth=1
	s_flbit_i32_b32 s28, s27
	s_min_u32 s30, s28, 32
	s_lshl_b64 s[28:29], s[26:27], s30
	s_min_u32 s28, s28, 1
	s_or_b32 s28, s29, s28
	v_cvt_f32_u32_e32 v46, s28
	s_sub_i32 s30, 32, s30
	s_add_u32 s26, s26, 1
	s_addc_u32 s27, s27, 0
	v_ldexp_f32 v46, v46, s30
	v_cmp_eq_u64_e32 vcc, s[26:27], v[22:23]
	v_mul_f32_e32 v46, v44, v46
	s_or_b64 s[24:25], vcc, s[24:25]
	v_mov_b32_e32 v44, v26
	v_fma_f32 v26, v26, v27, -v46
	s_andn2_b64 exec, exec, s[24:25]
	s_cbranch_execnz .LBB64_116
; %bb.117:
	s_or_b64 exec, exec, s[24:25]
.LBB64_118:
	s_or_b64 exec, exec, s[22:23]
                                        ; implicit-def: $vgpr27
.LBB64_119:
	s_andn2_saveexec_b64 s[20:21], s[20:21]
; %bb.120:
	v_mov_b32_e32 v26, v27
; %bb.121:
	s_or_b64 exec, exec, s[20:21]
.LBB64_122:
	s_or_b64 exec, exec, s[14:15]
.LBB64_123:
	s_or_b64 exec, exec, s[10:11]
	v_cvt_f16_f32_e32 v22, v24
	v_mov_b32_e32 v24, 0
	v_cvt_f32_f16_e32 v22, v22
	v_cvt_i32_f32_e32 v22, v22
	v_ashrrev_i32_e32 v23, 31, v22
	v_cmp_lt_i64_e32 vcc, -1, v[22:23]
	s_and_saveexec_b64 s[10:11], vcc
	s_cbranch_execz .LBB64_135
; %bb.124:
	v_cmp_lt_i64_e32 vcc, 0, v[22:23]
	v_mov_b32_e32 v24, 1.0
	s_and_saveexec_b64 s[14:15], vcc
	s_cbranch_execz .LBB64_134
; %bb.125:
	v_cvt_f32_f16_e32 v27, v45
	v_cmp_ne_u64_e32 vcc, 1, v[22:23]
                                        ; implicit-def: $vgpr24
	s_and_saveexec_b64 s[20:21], vcc
	s_xor_b64 s[20:21], exec, s[20:21]
	s_cbranch_execz .LBB64_131
; %bb.126:
	s_mov_b64 s[22:23], 0x81
	v_cmp_gt_u64_e32 vcc, s[22:23], v[22:23]
	v_mov_b32_e32 v24, 0x7fc00000
	s_and_saveexec_b64 s[22:23], vcc
	s_cbranch_execz .LBB64_130
; %bb.127:
	s_mov_b64 s[26:27], 1
	s_mov_b64 s[24:25], 0
	v_mov_b32_e32 v44, 1.0
	v_mov_b32_e32 v24, v27
.LBB64_128:                             ; =>This Inner Loop Header: Depth=1
	s_flbit_i32_b32 s28, s27
	s_min_u32 s30, s28, 32
	s_lshl_b64 s[28:29], s[26:27], s30
	s_min_u32 s28, s28, 1
	s_or_b32 s28, s29, s28
	v_cvt_f32_u32_e32 v46, s28
	s_sub_i32 s30, 32, s30
	s_add_u32 s26, s26, 1
	s_addc_u32 s27, s27, 0
	v_ldexp_f32 v46, v46, s30
	v_cmp_eq_u64_e32 vcc, s[26:27], v[22:23]
	v_mul_f32_e32 v46, v44, v46
	s_or_b64 s[24:25], vcc, s[24:25]
	v_mov_b32_e32 v44, v24
	v_fma_f32 v24, v24, v27, -v46
	s_andn2_b64 exec, exec, s[24:25]
	s_cbranch_execnz .LBB64_128
; %bb.129:
	s_or_b64 exec, exec, s[24:25]
.LBB64_130:
	s_or_b64 exec, exec, s[22:23]
                                        ; implicit-def: $vgpr27
.LBB64_131:
	s_andn2_saveexec_b64 s[20:21], s[20:21]
; %bb.132:
	v_mov_b32_e32 v24, v27
; %bb.133:
	s_or_b64 exec, exec, s[20:21]
.LBB64_134:
	s_or_b64 exec, exec, s[14:15]
.LBB64_135:
	s_or_b64 exec, exec, s[10:11]
	v_cvt_f16_f32_e32 v22, v25
	v_mov_b32_e32 v25, 0
	v_cvt_f32_f16_e32 v22, v22
	v_cvt_i32_f32_e32 v22, v22
	v_ashrrev_i32_e32 v23, 31, v22
	v_cmp_lt_i64_e32 vcc, -1, v[22:23]
	s_and_saveexec_b64 s[10:11], vcc
	s_cbranch_execz .LBB64_147
; %bb.136:
	v_cmp_lt_i64_e32 vcc, 0, v[22:23]
	v_mov_b32_e32 v25, 1.0
	s_and_saveexec_b64 s[14:15], vcc
	s_cbranch_execz .LBB64_146
; %bb.137:
	v_cvt_f32_f16_sdwa v27, v45 dst_sel:DWORD dst_unused:UNUSED_PAD src0_sel:WORD_1
	v_cmp_ne_u64_e32 vcc, 1, v[22:23]
                                        ; implicit-def: $vgpr25
	s_and_saveexec_b64 s[20:21], vcc
	s_xor_b64 s[20:21], exec, s[20:21]
	s_cbranch_execz .LBB64_143
; %bb.138:
	s_mov_b64 s[22:23], 0x81
	v_cmp_gt_u64_e32 vcc, s[22:23], v[22:23]
	v_mov_b32_e32 v25, 0x7fc00000
	s_and_saveexec_b64 s[22:23], vcc
	s_cbranch_execz .LBB64_142
; %bb.139:
	s_mov_b64 s[26:27], 1
	s_mov_b64 s[24:25], 0
	v_mov_b32_e32 v44, 1.0
	v_mov_b32_e32 v25, v27
.LBB64_140:                             ; =>This Inner Loop Header: Depth=1
	s_flbit_i32_b32 s28, s27
	s_min_u32 s30, s28, 32
	s_lshl_b64 s[28:29], s[26:27], s30
	s_min_u32 s28, s28, 1
	s_or_b32 s28, s29, s28
	v_cvt_f32_u32_e32 v45, s28
	s_sub_i32 s30, 32, s30
	s_add_u32 s26, s26, 1
	s_addc_u32 s27, s27, 0
	v_ldexp_f32 v45, v45, s30
	v_cmp_eq_u64_e32 vcc, s[26:27], v[22:23]
	v_mul_f32_e32 v45, v44, v45
	s_or_b64 s[24:25], vcc, s[24:25]
	v_mov_b32_e32 v44, v25
	v_fma_f32 v25, v25, v27, -v45
	s_andn2_b64 exec, exec, s[24:25]
	s_cbranch_execnz .LBB64_140
; %bb.141:
	s_or_b64 exec, exec, s[24:25]
.LBB64_142:
	s_or_b64 exec, exec, s[22:23]
                                        ; implicit-def: $vgpr27
.LBB64_143:
	s_andn2_saveexec_b64 s[20:21], s[20:21]
; %bb.144:
	v_mov_b32_e32 v25, v27
; %bb.145:
	s_or_b64 exec, exec, s[20:21]
.LBB64_146:
	s_or_b64 exec, exec, s[14:15]
.LBB64_147:
	s_or_b64 exec, exec, s[10:11]
	s_waitcnt vmcnt(4)
	v_cvt_f16_f32_e32 v18, v18
	v_mov_b32_e32 v27, 0
	v_cvt_f32_f16_e32 v18, v18
	v_cvt_i32_f32_e32 v22, v18
	v_ashrrev_i32_e32 v23, 31, v22
	v_cmp_lt_i64_e32 vcc, -1, v[22:23]
	s_and_saveexec_b64 s[10:11], vcc
	s_cbranch_execz .LBB64_159
; %bb.148:
	v_cmp_lt_i64_e32 vcc, 0, v[22:23]
	v_mov_b32_e32 v27, 1.0
	s_and_saveexec_b64 s[14:15], vcc
	s_cbranch_execz .LBB64_158
; %bb.149:
	v_cvt_f32_f16_e32 v18, v42
	v_cmp_ne_u64_e32 vcc, 1, v[22:23]
                                        ; implicit-def: $vgpr27
	s_and_saveexec_b64 s[20:21], vcc
	s_xor_b64 s[20:21], exec, s[20:21]
	s_cbranch_execz .LBB64_155
; %bb.150:
	s_mov_b64 s[22:23], 0x81
	v_cmp_gt_u64_e32 vcc, s[22:23], v[22:23]
	v_mov_b32_e32 v27, 0x7fc00000
	s_and_saveexec_b64 s[22:23], vcc
	s_cbranch_execz .LBB64_154
; %bb.151:
	s_mov_b64 s[26:27], 1
	s_mov_b64 s[24:25], 0
	v_mov_b32_e32 v44, 1.0
	v_mov_b32_e32 v27, v18
.LBB64_152:                             ; =>This Inner Loop Header: Depth=1
	s_flbit_i32_b32 s28, s27
	s_min_u32 s30, s28, 32
	s_lshl_b64 s[28:29], s[26:27], s30
	s_min_u32 s28, s28, 1
	s_or_b32 s28, s29, s28
	v_cvt_f32_u32_e32 v45, s28
	s_sub_i32 s30, 32, s30
	s_add_u32 s26, s26, 1
	s_addc_u32 s27, s27, 0
	v_ldexp_f32 v45, v45, s30
	v_cmp_eq_u64_e32 vcc, s[26:27], v[22:23]
	v_mul_f32_e32 v45, v44, v45
	s_or_b64 s[24:25], vcc, s[24:25]
	v_mov_b32_e32 v44, v27
	v_fma_f32 v27, v27, v18, -v45
	s_andn2_b64 exec, exec, s[24:25]
	s_cbranch_execnz .LBB64_152
; %bb.153:
	s_or_b64 exec, exec, s[24:25]
.LBB64_154:
	s_or_b64 exec, exec, s[22:23]
                                        ; implicit-def: $vgpr18
.LBB64_155:
	s_andn2_saveexec_b64 s[20:21], s[20:21]
; %bb.156:
	v_mov_b32_e32 v27, v18
; %bb.157:
	s_or_b64 exec, exec, s[20:21]
.LBB64_158:
	s_or_b64 exec, exec, s[14:15]
.LBB64_159:
	s_or_b64 exec, exec, s[10:11]
	v_cvt_f16_f32_e32 v18, v19
	v_mov_b32_e32 v22, 0
	v_cvt_f32_f16_e32 v18, v18
	v_cvt_i32_f32_e32 v18, v18
	v_ashrrev_i32_e32 v19, 31, v18
	v_cmp_lt_i64_e32 vcc, -1, v[18:19]
	s_and_saveexec_b64 s[10:11], vcc
	s_cbranch_execz .LBB64_171
; %bb.160:
	v_cmp_lt_i64_e32 vcc, 0, v[18:19]
	v_mov_b32_e32 v22, 1.0
	s_and_saveexec_b64 s[14:15], vcc
	s_cbranch_execz .LBB64_170
; %bb.161:
	v_cvt_f32_f16_sdwa v23, v42 dst_sel:DWORD dst_unused:UNUSED_PAD src0_sel:WORD_1
	v_cmp_ne_u64_e32 vcc, 1, v[18:19]
                                        ; implicit-def: $vgpr22
	s_and_saveexec_b64 s[20:21], vcc
	s_xor_b64 s[20:21], exec, s[20:21]
	s_cbranch_execz .LBB64_167
; %bb.162:
	s_mov_b64 s[22:23], 0x81
	v_cmp_gt_u64_e32 vcc, s[22:23], v[18:19]
	v_mov_b32_e32 v22, 0x7fc00000
	s_and_saveexec_b64 s[22:23], vcc
	s_cbranch_execz .LBB64_166
; %bb.163:
	s_mov_b64 s[26:27], 1
	s_mov_b64 s[24:25], 0
	v_mov_b32_e32 v42, 1.0
	v_mov_b32_e32 v22, v23
.LBB64_164:                             ; =>This Inner Loop Header: Depth=1
	s_flbit_i32_b32 s28, s27
	s_min_u32 s30, s28, 32
	s_lshl_b64 s[28:29], s[26:27], s30
	s_min_u32 s28, s28, 1
	s_or_b32 s28, s29, s28
	v_cvt_f32_u32_e32 v44, s28
	s_sub_i32 s30, 32, s30
	s_add_u32 s26, s26, 1
	s_addc_u32 s27, s27, 0
	v_ldexp_f32 v44, v44, s30
	v_cmp_eq_u64_e32 vcc, s[26:27], v[18:19]
	v_mul_f32_e32 v44, v42, v44
	s_or_b64 s[24:25], vcc, s[24:25]
	v_mov_b32_e32 v42, v22
	v_fma_f32 v22, v22, v23, -v44
	s_andn2_b64 exec, exec, s[24:25]
	s_cbranch_execnz .LBB64_164
; %bb.165:
	s_or_b64 exec, exec, s[24:25]
.LBB64_166:
	s_or_b64 exec, exec, s[22:23]
                                        ; implicit-def: $vgpr23
.LBB64_167:
	s_andn2_saveexec_b64 s[20:21], s[20:21]
; %bb.168:
	v_mov_b32_e32 v22, v23
; %bb.169:
	s_or_b64 exec, exec, s[20:21]
.LBB64_170:
	s_or_b64 exec, exec, s[14:15]
.LBB64_171:
	s_or_b64 exec, exec, s[10:11]
	v_cvt_f16_f32_e32 v18, v20
	v_mov_b32_e32 v20, 0
	v_cvt_f32_f16_e32 v18, v18
	v_cvt_i32_f32_e32 v18, v18
	v_ashrrev_i32_e32 v19, 31, v18
	v_cmp_lt_i64_e32 vcc, -1, v[18:19]
	s_and_saveexec_b64 s[10:11], vcc
	s_cbranch_execz .LBB64_183
; %bb.172:
	v_cmp_lt_i64_e32 vcc, 0, v[18:19]
	v_mov_b32_e32 v20, 1.0
	s_and_saveexec_b64 s[14:15], vcc
	s_cbranch_execz .LBB64_182
; %bb.173:
	v_cvt_f32_f16_e32 v23, v43
	v_cmp_ne_u64_e32 vcc, 1, v[18:19]
                                        ; implicit-def: $vgpr20
	s_and_saveexec_b64 s[20:21], vcc
	s_xor_b64 s[20:21], exec, s[20:21]
	s_cbranch_execz .LBB64_179
; %bb.174:
	s_mov_b64 s[22:23], 0x81
	v_cmp_gt_u64_e32 vcc, s[22:23], v[18:19]
	v_mov_b32_e32 v20, 0x7fc00000
	s_and_saveexec_b64 s[22:23], vcc
	s_cbranch_execz .LBB64_178
; %bb.175:
	s_mov_b64 s[26:27], 1
	s_mov_b64 s[24:25], 0
	v_mov_b32_e32 v42, 1.0
	v_mov_b32_e32 v20, v23
.LBB64_176:                             ; =>This Inner Loop Header: Depth=1
	s_flbit_i32_b32 s28, s27
	s_min_u32 s30, s28, 32
	s_lshl_b64 s[28:29], s[26:27], s30
	s_min_u32 s28, s28, 1
	s_or_b32 s28, s29, s28
	v_cvt_f32_u32_e32 v44, s28
	s_sub_i32 s30, 32, s30
	s_add_u32 s26, s26, 1
	s_addc_u32 s27, s27, 0
	v_ldexp_f32 v44, v44, s30
	v_cmp_eq_u64_e32 vcc, s[26:27], v[18:19]
	v_mul_f32_e32 v44, v42, v44
	s_or_b64 s[24:25], vcc, s[24:25]
	v_mov_b32_e32 v42, v20
	v_fma_f32 v20, v20, v23, -v44
	s_andn2_b64 exec, exec, s[24:25]
	s_cbranch_execnz .LBB64_176
; %bb.177:
	s_or_b64 exec, exec, s[24:25]
.LBB64_178:
	s_or_b64 exec, exec, s[22:23]
                                        ; implicit-def: $vgpr23
.LBB64_179:
	s_andn2_saveexec_b64 s[20:21], s[20:21]
; %bb.180:
	v_mov_b32_e32 v20, v23
; %bb.181:
	s_or_b64 exec, exec, s[20:21]
.LBB64_182:
	s_or_b64 exec, exec, s[14:15]
.LBB64_183:
	s_or_b64 exec, exec, s[10:11]
	v_cvt_f16_f32_e32 v18, v21
	v_mov_b32_e32 v21, 0
	v_cvt_f32_f16_e32 v18, v18
	v_cvt_i32_f32_e32 v18, v18
	v_ashrrev_i32_e32 v19, 31, v18
	v_cmp_lt_i64_e32 vcc, -1, v[18:19]
	s_and_saveexec_b64 s[10:11], vcc
	s_cbranch_execz .LBB64_195
; %bb.184:
	v_cmp_lt_i64_e32 vcc, 0, v[18:19]
	v_mov_b32_e32 v21, 1.0
	s_and_saveexec_b64 s[14:15], vcc
	s_cbranch_execz .LBB64_194
; %bb.185:
	v_cvt_f32_f16_sdwa v23, v43 dst_sel:DWORD dst_unused:UNUSED_PAD src0_sel:WORD_1
	v_cmp_ne_u64_e32 vcc, 1, v[18:19]
                                        ; implicit-def: $vgpr21
	s_and_saveexec_b64 s[20:21], vcc
	s_xor_b64 s[20:21], exec, s[20:21]
	s_cbranch_execz .LBB64_191
; %bb.186:
	s_mov_b64 s[22:23], 0x81
	v_cmp_gt_u64_e32 vcc, s[22:23], v[18:19]
	v_mov_b32_e32 v21, 0x7fc00000
	s_and_saveexec_b64 s[22:23], vcc
	s_cbranch_execz .LBB64_190
; %bb.187:
	s_mov_b64 s[26:27], 1
	s_mov_b64 s[24:25], 0
	v_mov_b32_e32 v42, 1.0
	v_mov_b32_e32 v21, v23
.LBB64_188:                             ; =>This Inner Loop Header: Depth=1
	s_flbit_i32_b32 s28, s27
	s_min_u32 s30, s28, 32
	s_lshl_b64 s[28:29], s[26:27], s30
	s_min_u32 s28, s28, 1
	s_or_b32 s28, s29, s28
	v_cvt_f32_u32_e32 v43, s28
	s_sub_i32 s30, 32, s30
	s_add_u32 s26, s26, 1
	s_addc_u32 s27, s27, 0
	v_ldexp_f32 v43, v43, s30
	v_cmp_eq_u64_e32 vcc, s[26:27], v[18:19]
	v_mul_f32_e32 v43, v42, v43
	s_or_b64 s[24:25], vcc, s[24:25]
	v_mov_b32_e32 v42, v21
	v_fma_f32 v21, v21, v23, -v43
	s_andn2_b64 exec, exec, s[24:25]
	s_cbranch_execnz .LBB64_188
; %bb.189:
	s_or_b64 exec, exec, s[24:25]
.LBB64_190:
	s_or_b64 exec, exec, s[22:23]
                                        ; implicit-def: $vgpr23
.LBB64_191:
	s_andn2_saveexec_b64 s[20:21], s[20:21]
; %bb.192:
	v_mov_b32_e32 v21, v23
; %bb.193:
	s_or_b64 exec, exec, s[20:21]
.LBB64_194:
	s_or_b64 exec, exec, s[14:15]
.LBB64_195:
	s_or_b64 exec, exec, s[10:11]
	s_waitcnt vmcnt(3)
	v_cvt_f16_f32_e32 v14, v14
	v_mov_b32_e32 v23, 0
	v_cvt_f32_f16_e32 v14, v14
	v_cvt_i32_f32_e32 v18, v14
	v_ashrrev_i32_e32 v19, 31, v18
	v_cmp_lt_i64_e32 vcc, -1, v[18:19]
	s_and_saveexec_b64 s[10:11], vcc
	s_cbranch_execz .LBB64_207
; %bb.196:
	v_cmp_lt_i64_e32 vcc, 0, v[18:19]
	v_mov_b32_e32 v23, 1.0
	s_and_saveexec_b64 s[14:15], vcc
	s_cbranch_execz .LBB64_206
; %bb.197:
	v_cvt_f32_f16_e32 v14, v40
	v_cmp_ne_u64_e32 vcc, 1, v[18:19]
                                        ; implicit-def: $vgpr23
	s_and_saveexec_b64 s[20:21], vcc
	s_xor_b64 s[20:21], exec, s[20:21]
	s_cbranch_execz .LBB64_203
; %bb.198:
	s_mov_b64 s[22:23], 0x81
	v_cmp_gt_u64_e32 vcc, s[22:23], v[18:19]
	v_mov_b32_e32 v23, 0x7fc00000
	s_and_saveexec_b64 s[22:23], vcc
	s_cbranch_execz .LBB64_202
; %bb.199:
	s_mov_b64 s[26:27], 1
	s_mov_b64 s[24:25], 0
	v_mov_b32_e32 v42, 1.0
	v_mov_b32_e32 v23, v14
.LBB64_200:                             ; =>This Inner Loop Header: Depth=1
	s_flbit_i32_b32 s28, s27
	s_min_u32 s30, s28, 32
	s_lshl_b64 s[28:29], s[26:27], s30
	s_min_u32 s28, s28, 1
	s_or_b32 s28, s29, s28
	v_cvt_f32_u32_e32 v43, s28
	s_sub_i32 s30, 32, s30
	s_add_u32 s26, s26, 1
	s_addc_u32 s27, s27, 0
	v_ldexp_f32 v43, v43, s30
	v_cmp_eq_u64_e32 vcc, s[26:27], v[18:19]
	v_mul_f32_e32 v43, v42, v43
	s_or_b64 s[24:25], vcc, s[24:25]
	v_mov_b32_e32 v42, v23
	v_fma_f32 v23, v23, v14, -v43
	s_andn2_b64 exec, exec, s[24:25]
	s_cbranch_execnz .LBB64_200
; %bb.201:
	s_or_b64 exec, exec, s[24:25]
.LBB64_202:
	s_or_b64 exec, exec, s[22:23]
                                        ; implicit-def: $vgpr14
.LBB64_203:
	s_andn2_saveexec_b64 s[20:21], s[20:21]
; %bb.204:
	v_mov_b32_e32 v23, v14
; %bb.205:
	s_or_b64 exec, exec, s[20:21]
.LBB64_206:
	s_or_b64 exec, exec, s[14:15]
.LBB64_207:
	s_or_b64 exec, exec, s[10:11]
	v_cvt_f16_f32_e32 v14, v15
	v_mov_b32_e32 v18, 0
	v_cvt_f32_f16_e32 v14, v14
	v_cvt_i32_f32_e32 v14, v14
	v_ashrrev_i32_e32 v15, 31, v14
	v_cmp_lt_i64_e32 vcc, -1, v[14:15]
	s_and_saveexec_b64 s[10:11], vcc
	s_cbranch_execz .LBB64_219
; %bb.208:
	v_cmp_lt_i64_e32 vcc, 0, v[14:15]
	v_mov_b32_e32 v18, 1.0
	s_and_saveexec_b64 s[14:15], vcc
	s_cbranch_execz .LBB64_218
; %bb.209:
	v_cvt_f32_f16_sdwa v19, v40 dst_sel:DWORD dst_unused:UNUSED_PAD src0_sel:WORD_1
	v_cmp_ne_u64_e32 vcc, 1, v[14:15]
                                        ; implicit-def: $vgpr18
	s_and_saveexec_b64 s[20:21], vcc
	s_xor_b64 s[20:21], exec, s[20:21]
	s_cbranch_execz .LBB64_215
; %bb.210:
	s_mov_b64 s[22:23], 0x81
	v_cmp_gt_u64_e32 vcc, s[22:23], v[14:15]
	v_mov_b32_e32 v18, 0x7fc00000
	s_and_saveexec_b64 s[22:23], vcc
	s_cbranch_execz .LBB64_214
; %bb.211:
	s_mov_b64 s[26:27], 1
	s_mov_b64 s[24:25], 0
	v_mov_b32_e32 v40, 1.0
	v_mov_b32_e32 v18, v19
.LBB64_212:                             ; =>This Inner Loop Header: Depth=1
	s_flbit_i32_b32 s28, s27
	s_min_u32 s30, s28, 32
	s_lshl_b64 s[28:29], s[26:27], s30
	s_min_u32 s28, s28, 1
	s_or_b32 s28, s29, s28
	v_cvt_f32_u32_e32 v42, s28
	s_sub_i32 s30, 32, s30
	s_add_u32 s26, s26, 1
	s_addc_u32 s27, s27, 0
	v_ldexp_f32 v42, v42, s30
	v_cmp_eq_u64_e32 vcc, s[26:27], v[14:15]
	v_mul_f32_e32 v42, v40, v42
	s_or_b64 s[24:25], vcc, s[24:25]
	v_mov_b32_e32 v40, v18
	v_fma_f32 v18, v18, v19, -v42
	s_andn2_b64 exec, exec, s[24:25]
	s_cbranch_execnz .LBB64_212
; %bb.213:
	s_or_b64 exec, exec, s[24:25]
.LBB64_214:
	s_or_b64 exec, exec, s[22:23]
                                        ; implicit-def: $vgpr19
.LBB64_215:
	s_andn2_saveexec_b64 s[20:21], s[20:21]
; %bb.216:
	v_mov_b32_e32 v18, v19
; %bb.217:
	s_or_b64 exec, exec, s[20:21]
.LBB64_218:
	s_or_b64 exec, exec, s[14:15]
.LBB64_219:
	s_or_b64 exec, exec, s[10:11]
	v_cvt_f16_f32_e32 v14, v16
	v_mov_b32_e32 v16, 0
	v_cvt_f32_f16_e32 v14, v14
	v_cvt_i32_f32_e32 v14, v14
	v_ashrrev_i32_e32 v15, 31, v14
	v_cmp_lt_i64_e32 vcc, -1, v[14:15]
	s_and_saveexec_b64 s[10:11], vcc
	s_cbranch_execz .LBB64_231
; %bb.220:
	v_cmp_lt_i64_e32 vcc, 0, v[14:15]
	v_mov_b32_e32 v16, 1.0
	s_and_saveexec_b64 s[14:15], vcc
	s_cbranch_execz .LBB64_230
; %bb.221:
	v_cvt_f32_f16_e32 v19, v41
	v_cmp_ne_u64_e32 vcc, 1, v[14:15]
                                        ; implicit-def: $vgpr16
	s_and_saveexec_b64 s[20:21], vcc
	s_xor_b64 s[20:21], exec, s[20:21]
	s_cbranch_execz .LBB64_227
; %bb.222:
	s_mov_b64 s[22:23], 0x81
	v_cmp_gt_u64_e32 vcc, s[22:23], v[14:15]
	v_mov_b32_e32 v16, 0x7fc00000
	s_and_saveexec_b64 s[22:23], vcc
	s_cbranch_execz .LBB64_226
; %bb.223:
	s_mov_b64 s[26:27], 1
	s_mov_b64 s[24:25], 0
	v_mov_b32_e32 v40, 1.0
	v_mov_b32_e32 v16, v19
.LBB64_224:                             ; =>This Inner Loop Header: Depth=1
	s_flbit_i32_b32 s28, s27
	s_min_u32 s30, s28, 32
	s_lshl_b64 s[28:29], s[26:27], s30
	s_min_u32 s28, s28, 1
	s_or_b32 s28, s29, s28
	v_cvt_f32_u32_e32 v42, s28
	s_sub_i32 s30, 32, s30
	s_add_u32 s26, s26, 1
	s_addc_u32 s27, s27, 0
	v_ldexp_f32 v42, v42, s30
	v_cmp_eq_u64_e32 vcc, s[26:27], v[14:15]
	v_mul_f32_e32 v42, v40, v42
	s_or_b64 s[24:25], vcc, s[24:25]
	v_mov_b32_e32 v40, v16
	v_fma_f32 v16, v16, v19, -v42
	s_andn2_b64 exec, exec, s[24:25]
	s_cbranch_execnz .LBB64_224
; %bb.225:
	s_or_b64 exec, exec, s[24:25]
.LBB64_226:
	s_or_b64 exec, exec, s[22:23]
                                        ; implicit-def: $vgpr19
.LBB64_227:
	s_andn2_saveexec_b64 s[20:21], s[20:21]
; %bb.228:
	v_mov_b32_e32 v16, v19
; %bb.229:
	s_or_b64 exec, exec, s[20:21]
.LBB64_230:
	s_or_b64 exec, exec, s[14:15]
.LBB64_231:
	s_or_b64 exec, exec, s[10:11]
	v_cvt_f16_f32_e32 v14, v17
	v_mov_b32_e32 v17, 0
	v_cvt_f32_f16_e32 v14, v14
	v_cvt_i32_f32_e32 v14, v14
	v_ashrrev_i32_e32 v15, 31, v14
	v_cmp_lt_i64_e32 vcc, -1, v[14:15]
	s_and_saveexec_b64 s[10:11], vcc
	s_cbranch_execz .LBB64_243
; %bb.232:
	v_cmp_lt_i64_e32 vcc, 0, v[14:15]
	v_mov_b32_e32 v17, 1.0
	s_and_saveexec_b64 s[14:15], vcc
	s_cbranch_execz .LBB64_242
; %bb.233:
	v_cvt_f32_f16_sdwa v19, v41 dst_sel:DWORD dst_unused:UNUSED_PAD src0_sel:WORD_1
	v_cmp_ne_u64_e32 vcc, 1, v[14:15]
                                        ; implicit-def: $vgpr17
	s_and_saveexec_b64 s[20:21], vcc
	s_xor_b64 s[20:21], exec, s[20:21]
	s_cbranch_execz .LBB64_239
; %bb.234:
	s_mov_b64 s[22:23], 0x81
	v_cmp_gt_u64_e32 vcc, s[22:23], v[14:15]
	v_mov_b32_e32 v17, 0x7fc00000
	s_and_saveexec_b64 s[22:23], vcc
	s_cbranch_execz .LBB64_238
; %bb.235:
	s_mov_b64 s[26:27], 1
	s_mov_b64 s[24:25], 0
	v_mov_b32_e32 v40, 1.0
	v_mov_b32_e32 v17, v19
.LBB64_236:                             ; =>This Inner Loop Header: Depth=1
	s_flbit_i32_b32 s28, s27
	s_min_u32 s30, s28, 32
	s_lshl_b64 s[28:29], s[26:27], s30
	s_min_u32 s28, s28, 1
	s_or_b32 s28, s29, s28
	v_cvt_f32_u32_e32 v41, s28
	s_sub_i32 s30, 32, s30
	s_add_u32 s26, s26, 1
	s_addc_u32 s27, s27, 0
	v_ldexp_f32 v41, v41, s30
	v_cmp_eq_u64_e32 vcc, s[26:27], v[14:15]
	v_mul_f32_e32 v41, v40, v41
	s_or_b64 s[24:25], vcc, s[24:25]
	v_mov_b32_e32 v40, v17
	v_fma_f32 v17, v17, v19, -v41
	s_andn2_b64 exec, exec, s[24:25]
	s_cbranch_execnz .LBB64_236
; %bb.237:
	s_or_b64 exec, exec, s[24:25]
.LBB64_238:
	s_or_b64 exec, exec, s[22:23]
                                        ; implicit-def: $vgpr19
.LBB64_239:
	s_andn2_saveexec_b64 s[20:21], s[20:21]
; %bb.240:
	v_mov_b32_e32 v17, v19
; %bb.241:
	s_or_b64 exec, exec, s[20:21]
.LBB64_242:
	s_or_b64 exec, exec, s[14:15]
.LBB64_243:
	s_or_b64 exec, exec, s[10:11]
	s_waitcnt vmcnt(2)
	v_cvt_f16_f32_e32 v10, v10
	v_mov_b32_e32 v19, 0
	v_cvt_f32_f16_e32 v10, v10
	v_cvt_i32_f32_e32 v14, v10
	v_ashrrev_i32_e32 v15, 31, v14
	v_cmp_lt_i64_e32 vcc, -1, v[14:15]
	s_and_saveexec_b64 s[10:11], vcc
	s_cbranch_execz .LBB64_255
; %bb.244:
	v_cmp_lt_i64_e32 vcc, 0, v[14:15]
	v_mov_b32_e32 v19, 1.0
	s_and_saveexec_b64 s[14:15], vcc
	s_cbranch_execz .LBB64_254
; %bb.245:
	v_cvt_f32_f16_e32 v10, v38
	v_cmp_ne_u64_e32 vcc, 1, v[14:15]
                                        ; implicit-def: $vgpr19
	s_and_saveexec_b64 s[20:21], vcc
	s_xor_b64 s[20:21], exec, s[20:21]
	s_cbranch_execz .LBB64_251
; %bb.246:
	s_mov_b64 s[22:23], 0x81
	v_cmp_gt_u64_e32 vcc, s[22:23], v[14:15]
	v_mov_b32_e32 v19, 0x7fc00000
	s_and_saveexec_b64 s[22:23], vcc
	s_cbranch_execz .LBB64_250
; %bb.247:
	s_mov_b64 s[26:27], 1
	s_mov_b64 s[24:25], 0
	v_mov_b32_e32 v40, 1.0
	v_mov_b32_e32 v19, v10
.LBB64_248:                             ; =>This Inner Loop Header: Depth=1
	s_flbit_i32_b32 s28, s27
	s_min_u32 s30, s28, 32
	s_lshl_b64 s[28:29], s[26:27], s30
	s_min_u32 s28, s28, 1
	s_or_b32 s28, s29, s28
	v_cvt_f32_u32_e32 v41, s28
	s_sub_i32 s30, 32, s30
	s_add_u32 s26, s26, 1
	s_addc_u32 s27, s27, 0
	v_ldexp_f32 v41, v41, s30
	v_cmp_eq_u64_e32 vcc, s[26:27], v[14:15]
	v_mul_f32_e32 v41, v40, v41
	s_or_b64 s[24:25], vcc, s[24:25]
	v_mov_b32_e32 v40, v19
	v_fma_f32 v19, v19, v10, -v41
	s_andn2_b64 exec, exec, s[24:25]
	s_cbranch_execnz .LBB64_248
; %bb.249:
	s_or_b64 exec, exec, s[24:25]
.LBB64_250:
	s_or_b64 exec, exec, s[22:23]
                                        ; implicit-def: $vgpr10
.LBB64_251:
	s_andn2_saveexec_b64 s[20:21], s[20:21]
; %bb.252:
	v_mov_b32_e32 v19, v10
; %bb.253:
	s_or_b64 exec, exec, s[20:21]
.LBB64_254:
	s_or_b64 exec, exec, s[14:15]
.LBB64_255:
	s_or_b64 exec, exec, s[10:11]
	v_cvt_f16_f32_e32 v10, v11
	v_mov_b32_e32 v14, 0
	v_cvt_f32_f16_e32 v10, v10
	v_cvt_i32_f32_e32 v10, v10
	v_ashrrev_i32_e32 v11, 31, v10
	v_cmp_lt_i64_e32 vcc, -1, v[10:11]
	s_and_saveexec_b64 s[10:11], vcc
	s_cbranch_execz .LBB64_267
; %bb.256:
	v_cmp_lt_i64_e32 vcc, 0, v[10:11]
	v_mov_b32_e32 v14, 1.0
	s_and_saveexec_b64 s[14:15], vcc
	s_cbranch_execz .LBB64_266
; %bb.257:
	v_cvt_f32_f16_sdwa v15, v38 dst_sel:DWORD dst_unused:UNUSED_PAD src0_sel:WORD_1
	v_cmp_ne_u64_e32 vcc, 1, v[10:11]
                                        ; implicit-def: $vgpr14
	s_and_saveexec_b64 s[20:21], vcc
	s_xor_b64 s[20:21], exec, s[20:21]
	s_cbranch_execz .LBB64_263
; %bb.258:
	s_mov_b64 s[22:23], 0x81
	v_cmp_gt_u64_e32 vcc, s[22:23], v[10:11]
	v_mov_b32_e32 v14, 0x7fc00000
	s_and_saveexec_b64 s[22:23], vcc
	s_cbranch_execz .LBB64_262
; %bb.259:
	s_mov_b64 s[26:27], 1
	s_mov_b64 s[24:25], 0
	v_mov_b32_e32 v38, 1.0
	v_mov_b32_e32 v14, v15
.LBB64_260:                             ; =>This Inner Loop Header: Depth=1
	s_flbit_i32_b32 s28, s27
	s_min_u32 s30, s28, 32
	s_lshl_b64 s[28:29], s[26:27], s30
	s_min_u32 s28, s28, 1
	s_or_b32 s28, s29, s28
	v_cvt_f32_u32_e32 v40, s28
	s_sub_i32 s30, 32, s30
	s_add_u32 s26, s26, 1
	s_addc_u32 s27, s27, 0
	v_ldexp_f32 v40, v40, s30
	v_cmp_eq_u64_e32 vcc, s[26:27], v[10:11]
	v_mul_f32_e32 v40, v38, v40
	s_or_b64 s[24:25], vcc, s[24:25]
	v_mov_b32_e32 v38, v14
	v_fma_f32 v14, v14, v15, -v40
	s_andn2_b64 exec, exec, s[24:25]
	s_cbranch_execnz .LBB64_260
; %bb.261:
	s_or_b64 exec, exec, s[24:25]
.LBB64_262:
	s_or_b64 exec, exec, s[22:23]
                                        ; implicit-def: $vgpr15
.LBB64_263:
	s_andn2_saveexec_b64 s[20:21], s[20:21]
; %bb.264:
	v_mov_b32_e32 v14, v15
; %bb.265:
	s_or_b64 exec, exec, s[20:21]
.LBB64_266:
	s_or_b64 exec, exec, s[14:15]
.LBB64_267:
	s_or_b64 exec, exec, s[10:11]
	v_cvt_f16_f32_e32 v10, v12
	v_mov_b32_e32 v12, 0
	v_cvt_f32_f16_e32 v10, v10
	v_cvt_i32_f32_e32 v10, v10
	v_ashrrev_i32_e32 v11, 31, v10
	v_cmp_lt_i64_e32 vcc, -1, v[10:11]
	s_and_saveexec_b64 s[10:11], vcc
	s_cbranch_execz .LBB64_279
; %bb.268:
	v_cmp_lt_i64_e32 vcc, 0, v[10:11]
	v_mov_b32_e32 v12, 1.0
	s_and_saveexec_b64 s[14:15], vcc
	s_cbranch_execz .LBB64_278
; %bb.269:
	v_cvt_f32_f16_e32 v15, v39
	v_cmp_ne_u64_e32 vcc, 1, v[10:11]
                                        ; implicit-def: $vgpr12
	s_and_saveexec_b64 s[20:21], vcc
	s_xor_b64 s[20:21], exec, s[20:21]
	s_cbranch_execz .LBB64_275
; %bb.270:
	s_mov_b64 s[22:23], 0x81
	v_cmp_gt_u64_e32 vcc, s[22:23], v[10:11]
	v_mov_b32_e32 v12, 0x7fc00000
	s_and_saveexec_b64 s[22:23], vcc
	s_cbranch_execz .LBB64_274
; %bb.271:
	s_mov_b64 s[26:27], 1
	s_mov_b64 s[24:25], 0
	v_mov_b32_e32 v38, 1.0
	v_mov_b32_e32 v12, v15
.LBB64_272:                             ; =>This Inner Loop Header: Depth=1
	s_flbit_i32_b32 s28, s27
	s_min_u32 s30, s28, 32
	s_lshl_b64 s[28:29], s[26:27], s30
	s_min_u32 s28, s28, 1
	s_or_b32 s28, s29, s28
	v_cvt_f32_u32_e32 v40, s28
	s_sub_i32 s30, 32, s30
	s_add_u32 s26, s26, 1
	s_addc_u32 s27, s27, 0
	v_ldexp_f32 v40, v40, s30
	v_cmp_eq_u64_e32 vcc, s[26:27], v[10:11]
	v_mul_f32_e32 v40, v38, v40
	s_or_b64 s[24:25], vcc, s[24:25]
	v_mov_b32_e32 v38, v12
	v_fma_f32 v12, v12, v15, -v40
	s_andn2_b64 exec, exec, s[24:25]
	s_cbranch_execnz .LBB64_272
; %bb.273:
	s_or_b64 exec, exec, s[24:25]
.LBB64_274:
	s_or_b64 exec, exec, s[22:23]
                                        ; implicit-def: $vgpr15
.LBB64_275:
	s_andn2_saveexec_b64 s[20:21], s[20:21]
; %bb.276:
	v_mov_b32_e32 v12, v15
; %bb.277:
	s_or_b64 exec, exec, s[20:21]
.LBB64_278:
	s_or_b64 exec, exec, s[14:15]
.LBB64_279:
	s_or_b64 exec, exec, s[10:11]
	v_cvt_f16_f32_e32 v10, v13
	v_mov_b32_e32 v13, 0
	v_cvt_f32_f16_e32 v10, v10
	v_cvt_i32_f32_e32 v10, v10
	v_ashrrev_i32_e32 v11, 31, v10
	v_cmp_lt_i64_e32 vcc, -1, v[10:11]
	s_and_saveexec_b64 s[10:11], vcc
	s_cbranch_execz .LBB64_291
; %bb.280:
	v_cmp_lt_i64_e32 vcc, 0, v[10:11]
	v_mov_b32_e32 v13, 1.0
	s_and_saveexec_b64 s[14:15], vcc
	s_cbranch_execz .LBB64_290
; %bb.281:
	v_cvt_f32_f16_sdwa v15, v39 dst_sel:DWORD dst_unused:UNUSED_PAD src0_sel:WORD_1
	v_cmp_ne_u64_e32 vcc, 1, v[10:11]
                                        ; implicit-def: $vgpr13
	s_and_saveexec_b64 s[20:21], vcc
	s_xor_b64 s[20:21], exec, s[20:21]
	s_cbranch_execz .LBB64_287
; %bb.282:
	s_mov_b64 s[22:23], 0x81
	v_cmp_gt_u64_e32 vcc, s[22:23], v[10:11]
	v_mov_b32_e32 v13, 0x7fc00000
	s_and_saveexec_b64 s[22:23], vcc
	s_cbranch_execz .LBB64_286
; %bb.283:
	s_mov_b64 s[26:27], 1
	s_mov_b64 s[24:25], 0
	v_mov_b32_e32 v38, 1.0
	v_mov_b32_e32 v13, v15
.LBB64_284:                             ; =>This Inner Loop Header: Depth=1
	s_flbit_i32_b32 s28, s27
	s_min_u32 s30, s28, 32
	s_lshl_b64 s[28:29], s[26:27], s30
	s_min_u32 s28, s28, 1
	s_or_b32 s28, s29, s28
	v_cvt_f32_u32_e32 v39, s28
	s_sub_i32 s30, 32, s30
	s_add_u32 s26, s26, 1
	s_addc_u32 s27, s27, 0
	v_ldexp_f32 v39, v39, s30
	v_cmp_eq_u64_e32 vcc, s[26:27], v[10:11]
	v_mul_f32_e32 v39, v38, v39
	s_or_b64 s[24:25], vcc, s[24:25]
	v_mov_b32_e32 v38, v13
	v_fma_f32 v13, v13, v15, -v39
	s_andn2_b64 exec, exec, s[24:25]
	s_cbranch_execnz .LBB64_284
; %bb.285:
	s_or_b64 exec, exec, s[24:25]
.LBB64_286:
	s_or_b64 exec, exec, s[22:23]
                                        ; implicit-def: $vgpr15
.LBB64_287:
	s_andn2_saveexec_b64 s[20:21], s[20:21]
; %bb.288:
	v_mov_b32_e32 v13, v15
; %bb.289:
	s_or_b64 exec, exec, s[20:21]
.LBB64_290:
	s_or_b64 exec, exec, s[14:15]
.LBB64_291:
	s_or_b64 exec, exec, s[10:11]
	s_waitcnt vmcnt(1)
	v_cvt_f16_f32_e32 v6, v6
	v_mov_b32_e32 v15, 0
	v_cvt_f32_f16_e32 v6, v6
	v_cvt_i32_f32_e32 v10, v6
	v_ashrrev_i32_e32 v11, 31, v10
	v_cmp_lt_i64_e32 vcc, -1, v[10:11]
	s_and_saveexec_b64 s[10:11], vcc
	s_cbranch_execz .LBB64_303
; %bb.292:
	v_cmp_lt_i64_e32 vcc, 0, v[10:11]
	v_mov_b32_e32 v15, 1.0
	s_and_saveexec_b64 s[14:15], vcc
	s_cbranch_execz .LBB64_302
; %bb.293:
	v_cvt_f32_f16_e32 v6, v36
	v_cmp_ne_u64_e32 vcc, 1, v[10:11]
                                        ; implicit-def: $vgpr15
	s_and_saveexec_b64 s[20:21], vcc
	s_xor_b64 s[20:21], exec, s[20:21]
	s_cbranch_execz .LBB64_299
; %bb.294:
	s_mov_b64 s[22:23], 0x81
	v_cmp_gt_u64_e32 vcc, s[22:23], v[10:11]
	v_mov_b32_e32 v15, 0x7fc00000
	s_and_saveexec_b64 s[22:23], vcc
	s_cbranch_execz .LBB64_298
; %bb.295:
	s_mov_b64 s[26:27], 1
	s_mov_b64 s[24:25], 0
	v_mov_b32_e32 v38, 1.0
	v_mov_b32_e32 v15, v6
.LBB64_296:                             ; =>This Inner Loop Header: Depth=1
	s_flbit_i32_b32 s28, s27
	s_min_u32 s30, s28, 32
	s_lshl_b64 s[28:29], s[26:27], s30
	s_min_u32 s28, s28, 1
	s_or_b32 s28, s29, s28
	v_cvt_f32_u32_e32 v39, s28
	s_sub_i32 s30, 32, s30
	s_add_u32 s26, s26, 1
	s_addc_u32 s27, s27, 0
	v_ldexp_f32 v39, v39, s30
	v_cmp_eq_u64_e32 vcc, s[26:27], v[10:11]
	v_mul_f32_e32 v39, v38, v39
	s_or_b64 s[24:25], vcc, s[24:25]
	v_mov_b32_e32 v38, v15
	v_fma_f32 v15, v15, v6, -v39
	s_andn2_b64 exec, exec, s[24:25]
	s_cbranch_execnz .LBB64_296
; %bb.297:
	s_or_b64 exec, exec, s[24:25]
.LBB64_298:
	s_or_b64 exec, exec, s[22:23]
                                        ; implicit-def: $vgpr6
.LBB64_299:
	s_andn2_saveexec_b64 s[20:21], s[20:21]
; %bb.300:
	v_mov_b32_e32 v15, v6
; %bb.301:
	s_or_b64 exec, exec, s[20:21]
.LBB64_302:
	s_or_b64 exec, exec, s[14:15]
.LBB64_303:
	s_or_b64 exec, exec, s[10:11]
	v_cvt_f16_f32_e32 v6, v7
	v_mov_b32_e32 v10, 0
	v_cvt_f32_f16_e32 v6, v6
	v_cvt_i32_f32_e32 v6, v6
	v_ashrrev_i32_e32 v7, 31, v6
	v_cmp_lt_i64_e32 vcc, -1, v[6:7]
	s_and_saveexec_b64 s[10:11], vcc
	s_cbranch_execz .LBB64_315
; %bb.304:
	v_cmp_lt_i64_e32 vcc, 0, v[6:7]
	v_mov_b32_e32 v10, 1.0
	s_and_saveexec_b64 s[14:15], vcc
	s_cbranch_execz .LBB64_314
; %bb.305:
	v_cvt_f32_f16_sdwa v11, v36 dst_sel:DWORD dst_unused:UNUSED_PAD src0_sel:WORD_1
	v_cmp_ne_u64_e32 vcc, 1, v[6:7]
                                        ; implicit-def: $vgpr10
	s_and_saveexec_b64 s[20:21], vcc
	s_xor_b64 s[20:21], exec, s[20:21]
	s_cbranch_execz .LBB64_311
; %bb.306:
	s_mov_b64 s[22:23], 0x81
	v_cmp_gt_u64_e32 vcc, s[22:23], v[6:7]
	v_mov_b32_e32 v10, 0x7fc00000
	s_and_saveexec_b64 s[22:23], vcc
	s_cbranch_execz .LBB64_310
; %bb.307:
	s_mov_b64 s[26:27], 1
	s_mov_b64 s[24:25], 0
	v_mov_b32_e32 v36, 1.0
	v_mov_b32_e32 v10, v11
.LBB64_308:                             ; =>This Inner Loop Header: Depth=1
	s_flbit_i32_b32 s28, s27
	s_min_u32 s30, s28, 32
	s_lshl_b64 s[28:29], s[26:27], s30
	s_min_u32 s28, s28, 1
	s_or_b32 s28, s29, s28
	v_cvt_f32_u32_e32 v38, s28
	s_sub_i32 s30, 32, s30
	s_add_u32 s26, s26, 1
	s_addc_u32 s27, s27, 0
	v_ldexp_f32 v38, v38, s30
	v_cmp_eq_u64_e32 vcc, s[26:27], v[6:7]
	v_mul_f32_e32 v38, v36, v38
	s_or_b64 s[24:25], vcc, s[24:25]
	v_mov_b32_e32 v36, v10
	v_fma_f32 v10, v10, v11, -v38
	s_andn2_b64 exec, exec, s[24:25]
	s_cbranch_execnz .LBB64_308
; %bb.309:
	s_or_b64 exec, exec, s[24:25]
.LBB64_310:
	s_or_b64 exec, exec, s[22:23]
                                        ; implicit-def: $vgpr11
.LBB64_311:
	s_andn2_saveexec_b64 s[20:21], s[20:21]
; %bb.312:
	v_mov_b32_e32 v10, v11
; %bb.313:
	s_or_b64 exec, exec, s[20:21]
.LBB64_314:
	s_or_b64 exec, exec, s[14:15]
.LBB64_315:
	s_or_b64 exec, exec, s[10:11]
	v_cvt_f16_f32_e32 v6, v8
	v_mov_b32_e32 v8, 0
	v_cvt_f32_f16_e32 v6, v6
	v_cvt_i32_f32_e32 v6, v6
	v_ashrrev_i32_e32 v7, 31, v6
	v_cmp_lt_i64_e32 vcc, -1, v[6:7]
	s_and_saveexec_b64 s[10:11], vcc
	s_cbranch_execz .LBB64_327
; %bb.316:
	v_cmp_lt_i64_e32 vcc, 0, v[6:7]
	v_mov_b32_e32 v8, 1.0
	s_and_saveexec_b64 s[14:15], vcc
	s_cbranch_execz .LBB64_326
; %bb.317:
	v_cvt_f32_f16_e32 v11, v37
	v_cmp_ne_u64_e32 vcc, 1, v[6:7]
                                        ; implicit-def: $vgpr8
	s_and_saveexec_b64 s[20:21], vcc
	s_xor_b64 s[20:21], exec, s[20:21]
	s_cbranch_execz .LBB64_323
; %bb.318:
	s_mov_b64 s[22:23], 0x81
	v_cmp_gt_u64_e32 vcc, s[22:23], v[6:7]
	v_mov_b32_e32 v8, 0x7fc00000
	s_and_saveexec_b64 s[22:23], vcc
	s_cbranch_execz .LBB64_322
; %bb.319:
	s_mov_b64 s[26:27], 1
	s_mov_b64 s[24:25], 0
	v_mov_b32_e32 v36, 1.0
	v_mov_b32_e32 v8, v11
.LBB64_320:                             ; =>This Inner Loop Header: Depth=1
	s_flbit_i32_b32 s28, s27
	s_min_u32 s30, s28, 32
	s_lshl_b64 s[28:29], s[26:27], s30
	s_min_u32 s28, s28, 1
	s_or_b32 s28, s29, s28
	v_cvt_f32_u32_e32 v38, s28
	s_sub_i32 s30, 32, s30
	s_add_u32 s26, s26, 1
	s_addc_u32 s27, s27, 0
	v_ldexp_f32 v38, v38, s30
	v_cmp_eq_u64_e32 vcc, s[26:27], v[6:7]
	v_mul_f32_e32 v38, v36, v38
	s_or_b64 s[24:25], vcc, s[24:25]
	v_mov_b32_e32 v36, v8
	v_fma_f32 v8, v8, v11, -v38
	s_andn2_b64 exec, exec, s[24:25]
	s_cbranch_execnz .LBB64_320
; %bb.321:
	s_or_b64 exec, exec, s[24:25]
.LBB64_322:
	s_or_b64 exec, exec, s[22:23]
                                        ; implicit-def: $vgpr11
.LBB64_323:
	s_andn2_saveexec_b64 s[20:21], s[20:21]
; %bb.324:
	v_mov_b32_e32 v8, v11
; %bb.325:
	s_or_b64 exec, exec, s[20:21]
.LBB64_326:
	s_or_b64 exec, exec, s[14:15]
.LBB64_327:
	s_or_b64 exec, exec, s[10:11]
	v_cvt_f16_f32_e32 v6, v9
	v_mov_b32_e32 v9, 0
	v_cvt_f32_f16_e32 v6, v6
	v_cvt_i32_f32_e32 v6, v6
	v_ashrrev_i32_e32 v7, 31, v6
	v_cmp_lt_i64_e32 vcc, -1, v[6:7]
	s_and_saveexec_b64 s[10:11], vcc
	s_cbranch_execz .LBB64_339
; %bb.328:
	v_cmp_lt_i64_e32 vcc, 0, v[6:7]
	v_mov_b32_e32 v9, 0x3c00
	s_and_saveexec_b64 s[14:15], vcc
	s_cbranch_execz .LBB64_338
; %bb.329:
	v_lshrrev_b32_e32 v11, 16, v37
	v_cmp_ne_u64_e32 vcc, 1, v[6:7]
                                        ; implicit-def: $vgpr9
	s_and_saveexec_b64 s[20:21], vcc
	s_xor_b64 s[20:21], exec, s[20:21]
	s_cbranch_execz .LBB64_335
; %bb.330:
	s_mov_b64 s[22:23], 0x81
	v_cmp_gt_u64_e32 vcc, s[22:23], v[6:7]
	v_mov_b32_e32 v9, 0x7e00
	s_and_saveexec_b64 s[22:23], vcc
	s_cbranch_execz .LBB64_334
; %bb.331:
	v_cvt_f32_f16_e32 v9, v11
	s_mov_b64 s[26:27], 1
	s_mov_b64 s[24:25], 0
	v_mov_b32_e32 v11, 1.0
	v_mov_b32_e32 v36, v9
.LBB64_332:                             ; =>This Inner Loop Header: Depth=1
	s_flbit_i32_b32 s28, s27
	s_min_u32 s30, s28, 32
	s_lshl_b64 s[28:29], s[26:27], s30
	s_min_u32 s28, s28, 1
	s_or_b32 s28, s29, s28
	v_cvt_f32_u32_e32 v37, s28
	s_sub_i32 s30, 32, s30
	s_add_u32 s26, s26, 1
	s_addc_u32 s27, s27, 0
	v_ldexp_f32 v37, v37, s30
	v_cmp_eq_u64_e32 vcc, s[26:27], v[6:7]
	v_mul_f32_e32 v37, v11, v37
	s_or_b64 s[24:25], vcc, s[24:25]
	v_mov_b32_e32 v11, v36
	v_fma_f32 v36, v36, v9, -v37
	s_andn2_b64 exec, exec, s[24:25]
	s_cbranch_execnz .LBB64_332
; %bb.333:
	s_or_b64 exec, exec, s[24:25]
	v_cvt_f16_f32_e32 v9, v36
.LBB64_334:
	s_or_b64 exec, exec, s[22:23]
                                        ; implicit-def: $vgpr11
.LBB64_335:
	s_andn2_saveexec_b64 s[20:21], s[20:21]
; %bb.336:
	v_mov_b32_e32 v9, v11
; %bb.337:
	s_or_b64 exec, exec, s[20:21]
.LBB64_338:
	s_or_b64 exec, exec, s[14:15]
.LBB64_339:
	s_or_b64 exec, exec, s[10:11]
	s_waitcnt vmcnt(0)
	v_cvt_f16_f32_e32 v2, v2
	v_mov_b32_e32 v11, 0
	v_cvt_f32_f16_e32 v2, v2
	v_cvt_i32_f32_e32 v6, v2
	v_ashrrev_i32_e32 v7, 31, v6
	v_cmp_lt_i64_e32 vcc, -1, v[6:7]
	s_and_saveexec_b64 s[10:11], vcc
	s_cbranch_execz .LBB64_351
; %bb.340:
	v_cmp_lt_i64_e32 vcc, 0, v[6:7]
	v_mov_b32_e32 v11, 0x3c00
	s_and_saveexec_b64 s[14:15], vcc
	s_cbranch_execz .LBB64_350
; %bb.341:
	v_cmp_ne_u64_e32 vcc, 1, v[6:7]
                                        ; implicit-def: $vgpr11
	s_and_saveexec_b64 s[20:21], vcc
	s_xor_b64 s[20:21], exec, s[20:21]
	s_cbranch_execz .LBB64_347
; %bb.342:
	s_mov_b64 s[22:23], 0x81
	v_cmp_gt_u64_e32 vcc, s[22:23], v[6:7]
	v_mov_b32_e32 v11, 0x7e00
	s_and_saveexec_b64 s[22:23], vcc
	s_cbranch_execz .LBB64_346
; %bb.343:
	v_cvt_f32_f16_e32 v2, v34
	s_mov_b64 s[26:27], 1
	s_mov_b64 s[24:25], 0
	v_mov_b32_e32 v11, 1.0
	v_mov_b32_e32 v36, v2
.LBB64_344:                             ; =>This Inner Loop Header: Depth=1
	s_flbit_i32_b32 s28, s27
	s_min_u32 s30, s28, 32
	s_lshl_b64 s[28:29], s[26:27], s30
	s_min_u32 s28, s28, 1
	s_or_b32 s28, s29, s28
	v_cvt_f32_u32_e32 v37, s28
	s_sub_i32 s30, 32, s30
	s_add_u32 s26, s26, 1
	s_addc_u32 s27, s27, 0
	v_ldexp_f32 v37, v37, s30
	v_cmp_eq_u64_e32 vcc, s[26:27], v[6:7]
	v_mul_f32_e32 v37, v11, v37
	s_or_b64 s[24:25], vcc, s[24:25]
	v_mov_b32_e32 v11, v36
	v_fma_f32 v36, v36, v2, -v37
	s_andn2_b64 exec, exec, s[24:25]
	s_cbranch_execnz .LBB64_344
; %bb.345:
	s_or_b64 exec, exec, s[24:25]
	v_cvt_f16_f32_e32 v11, v36
.LBB64_346:
	s_or_b64 exec, exec, s[22:23]
.LBB64_347:
	s_andn2_saveexec_b64 s[20:21], s[20:21]
; %bb.348:
	v_mov_b32_e32 v11, v34
; %bb.349:
	s_or_b64 exec, exec, s[20:21]
.LBB64_350:
	s_or_b64 exec, exec, s[14:15]
.LBB64_351:
	s_or_b64 exec, exec, s[10:11]
	v_cvt_f16_f32_e32 v2, v3
	v_mov_b32_e32 v6, 0
	v_cvt_f32_f16_e32 v2, v2
	v_cvt_i32_f32_e32 v2, v2
	v_ashrrev_i32_e32 v3, 31, v2
	v_cmp_lt_i64_e32 vcc, -1, v[2:3]
	s_and_saveexec_b64 s[10:11], vcc
	s_cbranch_execz .LBB64_363
; %bb.352:
	v_cmp_lt_i64_e32 vcc, 0, v[2:3]
	v_mov_b32_e32 v6, 0x3c00
	s_and_saveexec_b64 s[14:15], vcc
	s_cbranch_execz .LBB64_362
; %bb.353:
	v_lshrrev_b32_e32 v7, 16, v34
	v_cmp_ne_u64_e32 vcc, 1, v[2:3]
                                        ; implicit-def: $vgpr6
	s_and_saveexec_b64 s[20:21], vcc
	s_xor_b64 s[20:21], exec, s[20:21]
	s_cbranch_execz .LBB64_359
; %bb.354:
	s_mov_b64 s[22:23], 0x81
	v_cmp_gt_u64_e32 vcc, s[22:23], v[2:3]
	v_mov_b32_e32 v6, 0x7e00
	s_and_saveexec_b64 s[22:23], vcc
	s_cbranch_execz .LBB64_358
; %bb.355:
	v_cvt_f32_f16_e32 v6, v7
	s_mov_b64 s[26:27], 1
	s_mov_b64 s[24:25], 0
	v_mov_b32_e32 v7, 1.0
	v_mov_b32_e32 v34, v6
.LBB64_356:                             ; =>This Inner Loop Header: Depth=1
	s_flbit_i32_b32 s28, s27
	s_min_u32 s30, s28, 32
	s_lshl_b64 s[28:29], s[26:27], s30
	s_min_u32 s28, s28, 1
	s_or_b32 s28, s29, s28
	v_cvt_f32_u32_e32 v36, s28
	s_sub_i32 s30, 32, s30
	s_add_u32 s26, s26, 1
	s_addc_u32 s27, s27, 0
	v_ldexp_f32 v36, v36, s30
	v_cmp_eq_u64_e32 vcc, s[26:27], v[2:3]
	v_mul_f32_e32 v36, v7, v36
	s_or_b64 s[24:25], vcc, s[24:25]
	v_mov_b32_e32 v7, v34
	v_fma_f32 v34, v34, v6, -v36
	s_andn2_b64 exec, exec, s[24:25]
	s_cbranch_execnz .LBB64_356
; %bb.357:
	s_or_b64 exec, exec, s[24:25]
	v_cvt_f16_f32_e32 v6, v34
.LBB64_358:
	s_or_b64 exec, exec, s[22:23]
                                        ; implicit-def: $vgpr7
.LBB64_359:
	s_andn2_saveexec_b64 s[20:21], s[20:21]
; %bb.360:
	v_mov_b32_e32 v6, v7
; %bb.361:
	s_or_b64 exec, exec, s[20:21]
.LBB64_362:
	s_or_b64 exec, exec, s[14:15]
.LBB64_363:
	s_or_b64 exec, exec, s[10:11]
	v_cvt_f16_f32_e32 v2, v4
	v_mov_b32_e32 v4, 0
	v_cvt_f32_f16_e32 v2, v2
	v_cvt_i32_f32_e32 v2, v2
	v_ashrrev_i32_e32 v3, 31, v2
	v_cmp_lt_i64_e32 vcc, -1, v[2:3]
	s_and_saveexec_b64 s[10:11], vcc
	s_cbranch_execz .LBB64_375
; %bb.364:
	v_cmp_lt_i64_e32 vcc, 0, v[2:3]
	v_mov_b32_e32 v4, 0x3c00
	s_and_saveexec_b64 s[14:15], vcc
	s_cbranch_execz .LBB64_374
; %bb.365:
	v_cmp_ne_u64_e32 vcc, 1, v[2:3]
                                        ; implicit-def: $vgpr4
	s_and_saveexec_b64 s[20:21], vcc
	s_xor_b64 s[20:21], exec, s[20:21]
	s_cbranch_execz .LBB64_371
; %bb.366:
	s_mov_b64 s[22:23], 0x81
	v_cmp_gt_u64_e32 vcc, s[22:23], v[2:3]
	v_mov_b32_e32 v4, 0x7e00
	s_and_saveexec_b64 s[22:23], vcc
	s_cbranch_execz .LBB64_370
; %bb.367:
	v_cvt_f32_f16_e32 v4, v35
	s_mov_b64 s[26:27], 1
	s_mov_b64 s[24:25], 0
	v_mov_b32_e32 v7, 1.0
	v_mov_b32_e32 v34, v4
.LBB64_368:                             ; =>This Inner Loop Header: Depth=1
	s_flbit_i32_b32 s28, s27
	s_min_u32 s30, s28, 32
	s_lshl_b64 s[28:29], s[26:27], s30
	s_min_u32 s28, s28, 1
	s_or_b32 s28, s29, s28
	v_cvt_f32_u32_e32 v36, s28
	s_sub_i32 s30, 32, s30
	s_add_u32 s26, s26, 1
	s_addc_u32 s27, s27, 0
	v_ldexp_f32 v36, v36, s30
	v_cmp_eq_u64_e32 vcc, s[26:27], v[2:3]
	v_mul_f32_e32 v36, v7, v36
	s_or_b64 s[24:25], vcc, s[24:25]
	v_mov_b32_e32 v7, v34
	v_fma_f32 v34, v34, v4, -v36
	s_andn2_b64 exec, exec, s[24:25]
	s_cbranch_execnz .LBB64_368
; %bb.369:
	s_or_b64 exec, exec, s[24:25]
	v_cvt_f16_f32_e32 v4, v34
.LBB64_370:
	s_or_b64 exec, exec, s[22:23]
.LBB64_371:
	s_andn2_saveexec_b64 s[20:21], s[20:21]
; %bb.372:
	v_mov_b32_e32 v4, v35
; %bb.373:
	s_or_b64 exec, exec, s[20:21]
.LBB64_374:
	s_or_b64 exec, exec, s[14:15]
.LBB64_375:
	s_or_b64 exec, exec, s[10:11]
	v_cvt_f16_f32_e32 v2, v5
	v_mov_b32_e32 v5, 0
	v_cvt_f32_f16_e32 v2, v2
	v_cvt_i32_f32_e32 v2, v2
	v_ashrrev_i32_e32 v3, 31, v2
	v_cmp_lt_i64_e32 vcc, -1, v[2:3]
	s_and_saveexec_b64 s[10:11], vcc
	s_cbranch_execz .LBB64_387
; %bb.376:
	v_cmp_lt_i64_e32 vcc, 0, v[2:3]
	v_mov_b32_e32 v5, 0x3c00
	s_and_saveexec_b64 s[14:15], vcc
	s_cbranch_execz .LBB64_386
; %bb.377:
	v_lshrrev_b32_e32 v7, 16, v35
	v_cmp_ne_u64_e32 vcc, 1, v[2:3]
                                        ; implicit-def: $vgpr5
	s_and_saveexec_b64 s[20:21], vcc
	s_xor_b64 s[20:21], exec, s[20:21]
	s_cbranch_execz .LBB64_383
; %bb.378:
	s_mov_b64 s[22:23], 0x81
	v_cmp_gt_u64_e32 vcc, s[22:23], v[2:3]
	v_mov_b32_e32 v5, 0x7e00
	s_and_saveexec_b64 s[22:23], vcc
	s_cbranch_execz .LBB64_382
; %bb.379:
	v_cvt_f32_f16_e32 v5, v7
	s_mov_b64 s[26:27], 1
	s_mov_b64 s[24:25], 0
	v_mov_b32_e32 v7, 1.0
	v_mov_b32_e32 v34, v5
.LBB64_380:                             ; =>This Inner Loop Header: Depth=1
	s_flbit_i32_b32 s28, s27
	s_min_u32 s30, s28, 32
	s_lshl_b64 s[28:29], s[26:27], s30
	s_min_u32 s28, s28, 1
	s_or_b32 s28, s29, s28
	v_cvt_f32_u32_e32 v35, s28
	s_sub_i32 s30, 32, s30
	s_add_u32 s26, s26, 1
	s_addc_u32 s27, s27, 0
	v_ldexp_f32 v35, v35, s30
	v_cmp_eq_u64_e32 vcc, s[26:27], v[2:3]
	v_mul_f32_e32 v35, v7, v35
	s_or_b64 s[24:25], vcc, s[24:25]
	v_mov_b32_e32 v7, v34
	v_fma_f32 v34, v34, v5, -v35
	s_andn2_b64 exec, exec, s[24:25]
	s_cbranch_execnz .LBB64_380
; %bb.381:
	s_or_b64 exec, exec, s[24:25]
	v_cvt_f16_f32_e32 v5, v34
.LBB64_382:
	s_or_b64 exec, exec, s[22:23]
                                        ; implicit-def: $vgpr7
.LBB64_383:
	s_andn2_saveexec_b64 s[20:21], s[20:21]
; %bb.384:
	v_mov_b32_e32 v5, v7
; %bb.385:
	s_or_b64 exec, exec, s[20:21]
.LBB64_386:
	s_or_b64 exec, exec, s[14:15]
.LBB64_387:
	s_or_b64 exec, exec, s[10:11]
	v_cvt_f16_f32_e32 v3, v32
	v_cvt_f16_f32_e32 v32, v33
	;; [unrolled: 1-line block ×4, first 2 shown]
	s_add_u32 s8, s16, s8
	v_cvt_f16_f32_e32 v28, v28
	v_cvt_f16_f32_e32 v29, v29
	s_addc_u32 s9, s17, s9
	v_pack_b32_f16 v3, v3, v32
	v_cvt_f16_f32_e32 v32, v48
	v_cvt_f16_f32_e32 v30, v30
	v_mov_b32_e32 v33, s9
	v_add_co_u32_e32 v34, vcc, s8, v54
	v_addc_co_u32_e32 v33, vcc, 0, v33, vcc
	v_pack_b32_f16 v2, v2, v7
	s_movk_i32 s10, 0x1000
	v_cvt_f16_f32_e32 v7, v24
	v_cvt_f16_f32_e32 v24, v25
	global_store_dwordx2 v54, v[2:3], s[8:9]
	v_pack_b32_f16 v3, v28, v29
	v_add_co_u32_e32 v28, vcc, s10, v34
	v_pack_b32_f16 v2, v32, v30
	v_addc_co_u32_e32 v29, vcc, 0, v33, vcc
	global_store_dwordx2 v[28:29], v[2:3], off
	v_cvt_f16_f32_e32 v2, v31
	v_cvt_f16_f32_e32 v25, v26
	v_pack_b32_f16 v3, v7, v24
	v_cvt_f16_f32_e32 v7, v27
	v_cvt_f16_f32_e32 v22, v22
	;; [unrolled: 1-line block ×4, first 2 shown]
	v_pack_b32_f16 v2, v2, v25
	global_store_dwordx2 v53, v[2:3], s[8:9]
	v_pack_b32_f16 v2, v7, v22
	s_movk_i32 s10, 0x3000
	v_cvt_f16_f32_e32 v7, v16
	v_cvt_f16_f32_e32 v16, v17
	v_pack_b32_f16 v3, v20, v21
	v_add_co_u32_e32 v20, vcc, s10, v34
	v_addc_co_u32_e32 v21, vcc, 0, v33, vcc
	global_store_dwordx2 v[20:21], v[2:3], off
	v_cvt_f16_f32_e32 v2, v23
	v_cvt_f16_f32_e32 v17, v18
	v_pack_b32_f16 v3, v7, v16
	v_cvt_f16_f32_e32 v7, v19
	v_cvt_f16_f32_e32 v14, v14
	;; [unrolled: 1-line block ×4, first 2 shown]
	v_pack_b32_f16 v2, v2, v17
	global_store_dwordx2 v52, v[2:3], s[8:9]
	v_pack_b32_f16 v2, v7, v14
	v_cvt_f16_f32_e32 v7, v15
	v_cvt_f16_f32_e32 v8, v8
	;; [unrolled: 1-line block ×3, first 2 shown]
	s_movk_i32 s10, 0x5000
	v_pack_b32_f16 v3, v12, v13
	v_add_co_u32_e32 v12, vcc, s10, v34
	v_addc_co_u32_e32 v13, vcc, 0, v33, vcc
	s_mov_b32 s10, 0x5040100
	global_store_dwordx2 v[12:13], v[2:3], off
	v_perm_b32 v3, v9, v8, s10
	v_pack_b32_f16 v2, v7, v10
	global_store_dwordx2 v1, v[2:3], s[8:9]
	v_perm_b32 v3, v5, v4, s10
	v_add_co_u32_e32 v4, vcc, 0x7000, v34
	v_perm_b32 v2, v6, v11, s10
	v_addc_co_u32_e32 v5, vcc, 0, v33, vcc
	global_store_dwordx2 v[4:5], v[2:3], off
	s_branch .LBB64_2
.LBB64_388:
	s_load_dword s10, s[4:5], 0x24
	s_load_dwordx4 s[20:23], s[4:5], 0x28
	s_add_u32 s8, s4, 56
	s_addc_u32 s9, s5, 0
	v_mov_b32_e32 v31, v0
	s_waitcnt lgkmcnt(0)
	v_lshrrev_b16_e64 v8, 8, s10
	v_mov_b32_e32 v0, s16
	v_mov_b32_e32 v1, s17
	;; [unrolled: 1-line block ×12, first 2 shown]
	s_getpc_b64 s[4:5]
	s_add_u32 s4, s4, _ZN2at6native25elementwise_kernel_helperILb1ENS0_13BinaryFunctorIfffZZZNS0_12_GLOBAL__N_133hermite_polynomial_he_kernel_cudaERNS_18TensorIteratorBaseEENKUlvE_clEvENKUlvE0_clEvEUlffE_EENS0_6memory8policies11unroll_baseILi512ESt5arrayIPcLm3EE23TrivialOffsetCalculatorILi2EjESG_ILi1EjENSA_12LoadWithCastILi2EEENSA_13StoreWithCastILi1EEELi32ELi1EEEEEvT0_T1_@rel32@lo+4
	s_addc_u32 s5, s5, _ZN2at6native25elementwise_kernel_helperILb1ENS0_13BinaryFunctorIfffZZZNS0_12_GLOBAL__N_133hermite_polynomial_he_kernel_cudaERNS_18TensorIteratorBaseEENKUlvE_clEvENKUlvE0_clEvEUlffE_EENS0_6memory8policies11unroll_baseILi512ESt5arrayIPcLm3EE23TrivialOffsetCalculatorILi2EjESG_ILi1EjENSA_12LoadWithCastILi2EEENSA_13StoreWithCastILi1EEELi32ELi1EEEEEvT0_T1_@rel32@hi+12
	s_swappc_b64 s[30:31], s[4:5]
	s_endpgm
	.section	.rodata,"a",@progbits
	.p2align	6, 0x0
	.amdhsa_kernel _ZN2at6native39vectorized_templated_elementwise_kernelILi4ENS0_13BinaryFunctorIfffZZZNS0_12_GLOBAL__N_133hermite_polynomial_he_kernel_cudaERNS_18TensorIteratorBaseEENKUlvE_clEvENKUlvE0_clEvEUlffE_EESt5arrayIPcLm3EE23TrivialOffsetCalculatorILi2EjESD_ILi1EjENS0_6memory12LoadWithCastILi2EEENSG_13StoreWithCastILi1EEEN3c104HalfEJSM_fEEEviT0_T1_T2_T3_T4_T5_
		.amdhsa_group_segment_fixed_size 0
		.amdhsa_private_segment_fixed_size 288
		.amdhsa_kernarg_size 312
		.amdhsa_user_sgpr_count 8
		.amdhsa_user_sgpr_private_segment_buffer 1
		.amdhsa_user_sgpr_dispatch_ptr 0
		.amdhsa_user_sgpr_queue_ptr 0
		.amdhsa_user_sgpr_kernarg_segment_ptr 1
		.amdhsa_user_sgpr_dispatch_id 0
		.amdhsa_user_sgpr_flat_scratch_init 1
		.amdhsa_user_sgpr_kernarg_preload_length 0
		.amdhsa_user_sgpr_kernarg_preload_offset 0
		.amdhsa_user_sgpr_private_segment_size 0
		.amdhsa_uses_dynamic_stack 0
		.amdhsa_system_sgpr_private_segment_wavefront_offset 1
		.amdhsa_system_sgpr_workgroup_id_x 1
		.amdhsa_system_sgpr_workgroup_id_y 0
		.amdhsa_system_sgpr_workgroup_id_z 0
		.amdhsa_system_sgpr_workgroup_info 0
		.amdhsa_system_vgpr_workitem_id 0
		.amdhsa_next_free_vgpr 120
		.amdhsa_next_free_sgpr 98
		.amdhsa_accum_offset 120
		.amdhsa_reserve_vcc 1
		.amdhsa_reserve_flat_scratch 1
		.amdhsa_float_round_mode_32 0
		.amdhsa_float_round_mode_16_64 0
		.amdhsa_float_denorm_mode_32 3
		.amdhsa_float_denorm_mode_16_64 3
		.amdhsa_dx10_clamp 1
		.amdhsa_ieee_mode 1
		.amdhsa_fp16_overflow 0
		.amdhsa_tg_split 0
		.amdhsa_exception_fp_ieee_invalid_op 0
		.amdhsa_exception_fp_denorm_src 0
		.amdhsa_exception_fp_ieee_div_zero 0
		.amdhsa_exception_fp_ieee_overflow 0
		.amdhsa_exception_fp_ieee_underflow 0
		.amdhsa_exception_fp_ieee_inexact 0
		.amdhsa_exception_int_div_zero 0
	.end_amdhsa_kernel
	.section	.text._ZN2at6native39vectorized_templated_elementwise_kernelILi4ENS0_13BinaryFunctorIfffZZZNS0_12_GLOBAL__N_133hermite_polynomial_he_kernel_cudaERNS_18TensorIteratorBaseEENKUlvE_clEvENKUlvE0_clEvEUlffE_EESt5arrayIPcLm3EE23TrivialOffsetCalculatorILi2EjESD_ILi1EjENS0_6memory12LoadWithCastILi2EEENSG_13StoreWithCastILi1EEEN3c104HalfEJSM_fEEEviT0_T1_T2_T3_T4_T5_,"axG",@progbits,_ZN2at6native39vectorized_templated_elementwise_kernelILi4ENS0_13BinaryFunctorIfffZZZNS0_12_GLOBAL__N_133hermite_polynomial_he_kernel_cudaERNS_18TensorIteratorBaseEENKUlvE_clEvENKUlvE0_clEvEUlffE_EESt5arrayIPcLm3EE23TrivialOffsetCalculatorILi2EjESD_ILi1EjENS0_6memory12LoadWithCastILi2EEENSG_13StoreWithCastILi1EEEN3c104HalfEJSM_fEEEviT0_T1_T2_T3_T4_T5_,comdat
.Lfunc_end64:
	.size	_ZN2at6native39vectorized_templated_elementwise_kernelILi4ENS0_13BinaryFunctorIfffZZZNS0_12_GLOBAL__N_133hermite_polynomial_he_kernel_cudaERNS_18TensorIteratorBaseEENKUlvE_clEvENKUlvE0_clEvEUlffE_EESt5arrayIPcLm3EE23TrivialOffsetCalculatorILi2EjESD_ILi1EjENS0_6memory12LoadWithCastILi2EEENSG_13StoreWithCastILi1EEEN3c104HalfEJSM_fEEEviT0_T1_T2_T3_T4_T5_, .Lfunc_end64-_ZN2at6native39vectorized_templated_elementwise_kernelILi4ENS0_13BinaryFunctorIfffZZZNS0_12_GLOBAL__N_133hermite_polynomial_he_kernel_cudaERNS_18TensorIteratorBaseEENKUlvE_clEvENKUlvE0_clEvEUlffE_EESt5arrayIPcLm3EE23TrivialOffsetCalculatorILi2EjESD_ILi1EjENS0_6memory12LoadWithCastILi2EEENSG_13StoreWithCastILi1EEEN3c104HalfEJSM_fEEEviT0_T1_T2_T3_T4_T5_
                                        ; -- End function
	.section	.AMDGPU.csdata,"",@progbits
; Kernel info:
; codeLenInByte = 7976
; NumSgprs: 104
; NumVgprs: 120
; NumAgprs: 0
; TotalNumVgprs: 120
; ScratchSize: 288
; MemoryBound: 0
; FloatMode: 240
; IeeeMode: 1
; LDSByteSize: 0 bytes/workgroup (compile time only)
; SGPRBlocks: 12
; VGPRBlocks: 14
; NumSGPRsForWavesPerEU: 104
; NumVGPRsForWavesPerEU: 120
; AccumOffset: 120
; Occupancy: 4
; WaveLimiterHint : 0
; COMPUTE_PGM_RSRC2:SCRATCH_EN: 1
; COMPUTE_PGM_RSRC2:USER_SGPR: 8
; COMPUTE_PGM_RSRC2:TRAP_HANDLER: 0
; COMPUTE_PGM_RSRC2:TGID_X_EN: 1
; COMPUTE_PGM_RSRC2:TGID_Y_EN: 0
; COMPUTE_PGM_RSRC2:TGID_Z_EN: 0
; COMPUTE_PGM_RSRC2:TIDIG_COMP_CNT: 0
; COMPUTE_PGM_RSRC3_GFX90A:ACCUM_OFFSET: 29
; COMPUTE_PGM_RSRC3_GFX90A:TG_SPLIT: 0
	.section	.text._ZN2at6native39vectorized_templated_elementwise_kernelILi2ENS0_13BinaryFunctorIfffZZZNS0_12_GLOBAL__N_133hermite_polynomial_he_kernel_cudaERNS_18TensorIteratorBaseEENKUlvE_clEvENKUlvE0_clEvEUlffE_EESt5arrayIPcLm3EE23TrivialOffsetCalculatorILi2EjESD_ILi1EjENS0_6memory12LoadWithCastILi2EEENSG_13StoreWithCastILi1EEEN3c104HalfEJSM_fEEEviT0_T1_T2_T3_T4_T5_,"axG",@progbits,_ZN2at6native39vectorized_templated_elementwise_kernelILi2ENS0_13BinaryFunctorIfffZZZNS0_12_GLOBAL__N_133hermite_polynomial_he_kernel_cudaERNS_18TensorIteratorBaseEENKUlvE_clEvENKUlvE0_clEvEUlffE_EESt5arrayIPcLm3EE23TrivialOffsetCalculatorILi2EjESD_ILi1EjENS0_6memory12LoadWithCastILi2EEENSG_13StoreWithCastILi1EEEN3c104HalfEJSM_fEEEviT0_T1_T2_T3_T4_T5_,comdat
	.globl	_ZN2at6native39vectorized_templated_elementwise_kernelILi2ENS0_13BinaryFunctorIfffZZZNS0_12_GLOBAL__N_133hermite_polynomial_he_kernel_cudaERNS_18TensorIteratorBaseEENKUlvE_clEvENKUlvE0_clEvEUlffE_EESt5arrayIPcLm3EE23TrivialOffsetCalculatorILi2EjESD_ILi1EjENS0_6memory12LoadWithCastILi2EEENSG_13StoreWithCastILi1EEEN3c104HalfEJSM_fEEEviT0_T1_T2_T3_T4_T5_ ; -- Begin function _ZN2at6native39vectorized_templated_elementwise_kernelILi2ENS0_13BinaryFunctorIfffZZZNS0_12_GLOBAL__N_133hermite_polynomial_he_kernel_cudaERNS_18TensorIteratorBaseEENKUlvE_clEvENKUlvE0_clEvEUlffE_EESt5arrayIPcLm3EE23TrivialOffsetCalculatorILi2EjESD_ILi1EjENS0_6memory12LoadWithCastILi2EEENSG_13StoreWithCastILi1EEEN3c104HalfEJSM_fEEEviT0_T1_T2_T3_T4_T5_
	.p2align	8
	.type	_ZN2at6native39vectorized_templated_elementwise_kernelILi2ENS0_13BinaryFunctorIfffZZZNS0_12_GLOBAL__N_133hermite_polynomial_he_kernel_cudaERNS_18TensorIteratorBaseEENKUlvE_clEvENKUlvE0_clEvEUlffE_EESt5arrayIPcLm3EE23TrivialOffsetCalculatorILi2EjESD_ILi1EjENS0_6memory12LoadWithCastILi2EEENSG_13StoreWithCastILi1EEEN3c104HalfEJSM_fEEEviT0_T1_T2_T3_T4_T5_,@function
_ZN2at6native39vectorized_templated_elementwise_kernelILi2ENS0_13BinaryFunctorIfffZZZNS0_12_GLOBAL__N_133hermite_polynomial_he_kernel_cudaERNS_18TensorIteratorBaseEENKUlvE_clEvENKUlvE0_clEvEUlffE_EESt5arrayIPcLm3EE23TrivialOffsetCalculatorILi2EjESD_ILi1EjENS0_6memory12LoadWithCastILi2EEENSG_13StoreWithCastILi1EEEN3c104HalfEJSM_fEEEviT0_T1_T2_T3_T4_T5_: ; @_ZN2at6native39vectorized_templated_elementwise_kernelILi2ENS0_13BinaryFunctorIfffZZZNS0_12_GLOBAL__N_133hermite_polynomial_he_kernel_cudaERNS_18TensorIteratorBaseEENKUlvE_clEvENKUlvE0_clEvEUlffE_EESt5arrayIPcLm3EE23TrivialOffsetCalculatorILi2EjESD_ILi1EjENS0_6memory12LoadWithCastILi2EEENSG_13StoreWithCastILi1EEEN3c104HalfEJSM_fEEEviT0_T1_T2_T3_T4_T5_
; %bb.0:
	s_add_u32 flat_scratch_lo, s6, s9
	s_addc_u32 flat_scratch_hi, s7, 0
	s_add_u32 s0, s0, s9
	s_mov_b32 s12, s8
	s_load_dword s8, s[4:5], 0x38
	s_load_dwordx2 s[6:7], s[4:5], 0x18
	s_load_dword s9, s[4:5], 0x0
	s_load_dwordx4 s[16:19], s[4:5], 0x8
	s_addc_u32 s1, s1, 0
	s_not_b32 s10, s12
	s_waitcnt lgkmcnt(0)
	s_add_i32 s8, s8, s10
	s_lshl_b32 s10, s8, 14
	s_sub_i32 s13, s9, s10
	s_cmpk_gt_i32 s13, 0x3fff
	s_mov_b64 s[8:9], -1
	s_mov_b32 s32, 0
	s_cbranch_scc1 .LBB65_3
; %bb.1:
	s_and_b64 vcc, exec, s[8:9]
	s_cbranch_vccnz .LBB65_388
.LBB65_2:
	s_endpgm
.LBB65_3:
	s_ashr_i32 s11, s10, 31
	s_lshl_b64 s[8:9], s[10:11], 1
	s_add_u32 s14, s18, s8
	s_addc_u32 s15, s19, s9
	v_lshlrev_b32_e32 v41, 2, v0
	v_mov_b32_e32 v1, s15
	v_add_co_u32_e32 v8, vcc, s14, v41
	v_addc_co_u32_e32 v9, vcc, 0, v1, vcc
	s_movk_i32 s20, 0x1000
	v_add_co_u32_e32 v2, vcc, s20, v8
	v_addc_co_u32_e32 v3, vcc, 0, v9, vcc
	s_movk_i32 s21, 0x2000
	;; [unrolled: 3-line block ×3, first 2 shown]
	v_add_co_u32_e32 v6, vcc, s21, v8
	v_or_b32_e32 v10, 0x400, v0
	v_or_b32_e32 v11, 0x800, v0
	;; [unrolled: 1-line block ×3, first 2 shown]
	v_addc_co_u32_e32 v7, vcc, 0, v9, vcc
	s_movk_i32 s22, 0x4000
	v_lshlrev_b32_e32 v42, 2, v10
	v_lshlrev_b32_e32 v40, 2, v11
	;; [unrolled: 1-line block ×3, first 2 shown]
	global_load_dword v59, v41, s[14:15]
	global_load_dword v58, v41, s[14:15] offset:2048
	global_load_dword v57, v42, s[14:15]
	global_load_dword v56, v[2:3], off offset:2048
	global_load_dword v55, v40, s[14:15]
	global_load_dword v54, v[4:5], off offset:2048
	;; [unrolled: 2-line block ×3, first 2 shown]
	v_add_co_u32_e32 v2, vcc, s22, v8
	v_addc_co_u32_e32 v3, vcc, 0, v9, vcc
	s_movk_i32 s22, 0x5000
	v_add_co_u32_e32 v4, vcc, s22, v8
	v_addc_co_u32_e32 v5, vcc, 0, v9, vcc
	s_movk_i32 s23, 0x6000
	v_add_co_u32_e32 v6, vcc, s23, v8
	v_or_b32_e32 v13, 0x1000, v0
	v_addc_co_u32_e32 v7, vcc, 0, v9, vcc
	s_movk_i32 s23, 0x7000
	s_lshl_b64 s[10:11], s[10:11], 2
	v_lshlrev_b32_e32 v39, 2, v13
	v_or_b32_e32 v14, 0x1400, v0
	v_or_b32_e32 v34, 0x1800, v0
	;; [unrolled: 1-line block ×3, first 2 shown]
	v_add_co_u32_e32 v8, vcc, s23, v8
	s_add_u32 s10, s6, s10
	v_lshlrev_b32_e32 v37, 2, v14
	v_lshlrev_b32_e32 v36, 2, v34
	;; [unrolled: 1-line block ×3, first 2 shown]
	v_addc_co_u32_e32 v9, vcc, 0, v9, vcc
	global_load_dword v51, v39, s[14:15]
	global_load_dword v50, v[2:3], off offset:2048
	global_load_dword v49, v37, s[14:15]
	global_load_dword v48, v[4:5], off offset:2048
	;; [unrolled: 2-line block ×4, first 2 shown]
	s_addc_u32 s11, s7, s11
	v_lshlrev_b32_e32 v6, 3, v0
	v_mov_b32_e32 v2, s11
	v_add_co_u32_e32 v7, vcc, s10, v6
	v_addc_co_u32_e32 v8, vcc, 0, v2, vcc
	v_add_co_u32_e32 v2, vcc, s20, v7
	v_addc_co_u32_e32 v3, vcc, 0, v8, vcc
	;; [unrolled: 2-line block ×3, first 2 shown]
	v_lshlrev_b32_e32 v9, 3, v10
	global_load_dwordx2 v[32:33], v6, s[10:11]
	global_load_dwordx2 v[30:31], v[2:3], off
	global_load_dwordx2 v[28:29], v9, s[10:11]
	global_load_dwordx2 v[26:27], v[4:5], off
	v_add_co_u32_e32 v2, vcc, s22, v7
	v_addc_co_u32_e32 v3, vcc, 0, v8, vcc
	v_add_co_u32_e32 v4, vcc, s23, v7
	v_lshlrev_b32_e32 v6, 3, v11
	v_addc_co_u32_e32 v5, vcc, 0, v8, vcc
	s_mov_b32 s14, 0x9000
	v_lshlrev_b32_e32 v9, 3, v12
	global_load_dwordx2 v[24:25], v6, s[10:11]
	global_load_dwordx2 v[22:23], v[2:3], off
	global_load_dwordx2 v[20:21], v9, s[10:11]
	global_load_dwordx2 v[18:19], v[4:5], off
	v_add_co_u32_e32 v2, vcc, s14, v7
	v_addc_co_u32_e32 v3, vcc, 0, v8, vcc
	s_mov_b32 s14, 0xb000
	v_add_co_u32_e32 v4, vcc, s14, v7
	v_addc_co_u32_e32 v5, vcc, 0, v8, vcc
	s_mov_b32 s14, 0xd000
	v_lshlrev_b32_e32 v62, 3, v34
	v_add_co_u32_e32 v34, vcc, s14, v7
	v_addc_co_u32_e32 v35, vcc, 0, v8, vcc
	v_lshlrev_b32_e32 v6, 3, v13
	v_lshlrev_b32_e32 v9, 3, v14
	v_add_co_u32_e32 v60, vcc, 0xf000, v7
	global_load_dwordx2 v[16:17], v6, s[10:11]
	global_load_dwordx2 v[14:15], v[2:3], off
	global_load_dwordx2 v[12:13], v9, s[10:11]
	global_load_dwordx2 v[10:11], v[4:5], off
	v_lshlrev_b32_e32 v44, 3, v44
	v_addc_co_u32_e32 v61, vcc, 0, v8, vcc
	global_load_dwordx2 v[8:9], v62, s[10:11]
	global_load_dwordx2 v[6:7], v[34:35], off
	global_load_dwordx2 v[4:5], v44, s[10:11]
	global_load_dwordx2 v[2:3], v[60:61], off
	v_mov_b32_e32 v44, 0
	s_waitcnt vmcnt(15)
	v_cvt_f16_f32_e32 v32, v32
	v_cvt_f32_f16_e32 v32, v32
	v_cvt_i32_f32_e32 v34, v32
	v_ashrrev_i32_e32 v35, 31, v34
	v_cmp_lt_i64_e32 vcc, -1, v[34:35]
	s_and_saveexec_b64 s[10:11], vcc
	s_cbranch_execz .LBB65_15
; %bb.4:
	v_cmp_lt_i64_e32 vcc, 0, v[34:35]
	v_mov_b32_e32 v44, 1.0
	s_and_saveexec_b64 s[14:15], vcc
	s_cbranch_execz .LBB65_14
; %bb.5:
	v_cvt_f32_f16_e32 v32, v59
	v_cmp_ne_u64_e32 vcc, 1, v[34:35]
                                        ; implicit-def: $vgpr44
	s_and_saveexec_b64 s[20:21], vcc
	s_xor_b64 s[20:21], exec, s[20:21]
	s_cbranch_execz .LBB65_11
; %bb.6:
	s_mov_b64 s[22:23], 0x81
	v_cmp_gt_u64_e32 vcc, s[22:23], v[34:35]
	v_mov_b32_e32 v44, 0x7fc00000
	s_and_saveexec_b64 s[22:23], vcc
	s_cbranch_execz .LBB65_10
; %bb.7:
	s_mov_b64 s[26:27], 1
	s_mov_b64 s[24:25], 0
	v_mov_b32_e32 v60, 1.0
	v_mov_b32_e32 v44, v32
.LBB65_8:                               ; =>This Inner Loop Header: Depth=1
	s_flbit_i32_b32 s28, s27
	s_min_u32 s30, s28, 32
	s_lshl_b64 s[28:29], s[26:27], s30
	s_min_u32 s28, s28, 1
	s_or_b32 s28, s29, s28
	v_cvt_f32_u32_e32 v61, s28
	s_sub_i32 s30, 32, s30
	s_add_u32 s26, s26, 1
	s_addc_u32 s27, s27, 0
	v_ldexp_f32 v61, v61, s30
	v_cmp_eq_u64_e32 vcc, s[26:27], v[34:35]
	v_mul_f32_e32 v61, v60, v61
	s_or_b64 s[24:25], vcc, s[24:25]
	v_mov_b32_e32 v60, v44
	v_fma_f32 v44, v44, v32, -v61
	s_andn2_b64 exec, exec, s[24:25]
	s_cbranch_execnz .LBB65_8
; %bb.9:
	s_or_b64 exec, exec, s[24:25]
.LBB65_10:
	s_or_b64 exec, exec, s[22:23]
                                        ; implicit-def: $vgpr32
.LBB65_11:
	s_andn2_saveexec_b64 s[20:21], s[20:21]
; %bb.12:
	v_mov_b32_e32 v44, v32
; %bb.13:
	s_or_b64 exec, exec, s[20:21]
.LBB65_14:
	s_or_b64 exec, exec, s[14:15]
.LBB65_15:
	s_or_b64 exec, exec, s[10:11]
	v_cvt_f16_f32_e32 v32, v33
	v_mov_b32_e32 v34, 0
	v_cvt_f32_f16_e32 v32, v32
	v_cvt_i32_f32_e32 v32, v32
	v_ashrrev_i32_e32 v33, 31, v32
	v_cmp_lt_i64_e32 vcc, -1, v[32:33]
	s_and_saveexec_b64 s[10:11], vcc
	s_cbranch_execz .LBB65_27
; %bb.16:
	v_cmp_lt_i64_e32 vcc, 0, v[32:33]
	v_mov_b32_e32 v34, 1.0
	s_and_saveexec_b64 s[14:15], vcc
	s_cbranch_execz .LBB65_26
; %bb.17:
	v_cvt_f32_f16_sdwa v35, v59 dst_sel:DWORD dst_unused:UNUSED_PAD src0_sel:WORD_1
	v_cmp_ne_u64_e32 vcc, 1, v[32:33]
                                        ; implicit-def: $vgpr34
	s_and_saveexec_b64 s[20:21], vcc
	s_xor_b64 s[20:21], exec, s[20:21]
	s_cbranch_execz .LBB65_23
; %bb.18:
	s_mov_b64 s[22:23], 0x81
	v_cmp_gt_u64_e32 vcc, s[22:23], v[32:33]
	v_mov_b32_e32 v34, 0x7fc00000
	s_and_saveexec_b64 s[22:23], vcc
	s_cbranch_execz .LBB65_22
; %bb.19:
	s_mov_b64 s[26:27], 1
	s_mov_b64 s[24:25], 0
	v_mov_b32_e32 v59, 1.0
	v_mov_b32_e32 v34, v35
.LBB65_20:                              ; =>This Inner Loop Header: Depth=1
	s_flbit_i32_b32 s28, s27
	s_min_u32 s30, s28, 32
	s_lshl_b64 s[28:29], s[26:27], s30
	s_min_u32 s28, s28, 1
	s_or_b32 s28, s29, s28
	v_cvt_f32_u32_e32 v60, s28
	s_sub_i32 s30, 32, s30
	s_add_u32 s26, s26, 1
	s_addc_u32 s27, s27, 0
	v_ldexp_f32 v60, v60, s30
	v_cmp_eq_u64_e32 vcc, s[26:27], v[32:33]
	v_mul_f32_e32 v60, v59, v60
	s_or_b64 s[24:25], vcc, s[24:25]
	v_mov_b32_e32 v59, v34
	v_fma_f32 v34, v34, v35, -v60
	s_andn2_b64 exec, exec, s[24:25]
	s_cbranch_execnz .LBB65_20
; %bb.21:
	s_or_b64 exec, exec, s[24:25]
.LBB65_22:
	s_or_b64 exec, exec, s[22:23]
                                        ; implicit-def: $vgpr35
.LBB65_23:
	s_andn2_saveexec_b64 s[20:21], s[20:21]
; %bb.24:
	v_mov_b32_e32 v34, v35
; %bb.25:
	s_or_b64 exec, exec, s[20:21]
.LBB65_26:
	s_or_b64 exec, exec, s[14:15]
.LBB65_27:
	s_or_b64 exec, exec, s[10:11]
	s_waitcnt vmcnt(14)
	v_cvt_f16_f32_e32 v30, v30
	v_mov_b32_e32 v35, 0
	v_cvt_f32_f16_e32 v30, v30
	v_cvt_i32_f32_e32 v32, v30
	v_ashrrev_i32_e32 v33, 31, v32
	v_cmp_lt_i64_e32 vcc, -1, v[32:33]
	s_and_saveexec_b64 s[10:11], vcc
	s_cbranch_execz .LBB65_39
; %bb.28:
	v_cmp_lt_i64_e32 vcc, 0, v[32:33]
	v_mov_b32_e32 v35, 1.0
	s_and_saveexec_b64 s[14:15], vcc
	s_cbranch_execz .LBB65_38
; %bb.29:
	v_cvt_f32_f16_e32 v30, v58
	v_cmp_ne_u64_e32 vcc, 1, v[32:33]
                                        ; implicit-def: $vgpr35
	s_and_saveexec_b64 s[20:21], vcc
	s_xor_b64 s[20:21], exec, s[20:21]
	s_cbranch_execz .LBB65_35
; %bb.30:
	s_mov_b64 s[22:23], 0x81
	v_cmp_gt_u64_e32 vcc, s[22:23], v[32:33]
	v_mov_b32_e32 v35, 0x7fc00000
	s_and_saveexec_b64 s[22:23], vcc
	s_cbranch_execz .LBB65_34
; %bb.31:
	s_mov_b64 s[26:27], 1
	s_mov_b64 s[24:25], 0
	v_mov_b32_e32 v59, 1.0
	v_mov_b32_e32 v35, v30
.LBB65_32:                              ; =>This Inner Loop Header: Depth=1
	s_flbit_i32_b32 s28, s27
	s_min_u32 s30, s28, 32
	s_lshl_b64 s[28:29], s[26:27], s30
	s_min_u32 s28, s28, 1
	s_or_b32 s28, s29, s28
	v_cvt_f32_u32_e32 v60, s28
	s_sub_i32 s30, 32, s30
	s_add_u32 s26, s26, 1
	s_addc_u32 s27, s27, 0
	v_ldexp_f32 v60, v60, s30
	v_cmp_eq_u64_e32 vcc, s[26:27], v[32:33]
	v_mul_f32_e32 v60, v59, v60
	s_or_b64 s[24:25], vcc, s[24:25]
	v_mov_b32_e32 v59, v35
	v_fma_f32 v35, v35, v30, -v60
	s_andn2_b64 exec, exec, s[24:25]
	s_cbranch_execnz .LBB65_32
; %bb.33:
	s_or_b64 exec, exec, s[24:25]
.LBB65_34:
	s_or_b64 exec, exec, s[22:23]
                                        ; implicit-def: $vgpr30
.LBB65_35:
	s_andn2_saveexec_b64 s[20:21], s[20:21]
; %bb.36:
	v_mov_b32_e32 v35, v30
; %bb.37:
	s_or_b64 exec, exec, s[20:21]
.LBB65_38:
	s_or_b64 exec, exec, s[14:15]
.LBB65_39:
	s_or_b64 exec, exec, s[10:11]
	v_cvt_f16_f32_e32 v30, v31
	v_mov_b32_e32 v32, 0
	v_cvt_f32_f16_e32 v30, v30
	v_cvt_i32_f32_e32 v30, v30
	v_ashrrev_i32_e32 v31, 31, v30
	v_cmp_lt_i64_e32 vcc, -1, v[30:31]
	s_and_saveexec_b64 s[10:11], vcc
	s_cbranch_execz .LBB65_51
; %bb.40:
	v_cmp_lt_i64_e32 vcc, 0, v[30:31]
	v_mov_b32_e32 v32, 1.0
	s_and_saveexec_b64 s[14:15], vcc
	s_cbranch_execz .LBB65_50
; %bb.41:
	v_cvt_f32_f16_sdwa v33, v58 dst_sel:DWORD dst_unused:UNUSED_PAD src0_sel:WORD_1
	v_cmp_ne_u64_e32 vcc, 1, v[30:31]
                                        ; implicit-def: $vgpr32
	s_and_saveexec_b64 s[20:21], vcc
	s_xor_b64 s[20:21], exec, s[20:21]
	s_cbranch_execz .LBB65_47
; %bb.42:
	s_mov_b64 s[22:23], 0x81
	v_cmp_gt_u64_e32 vcc, s[22:23], v[30:31]
	v_mov_b32_e32 v32, 0x7fc00000
	s_and_saveexec_b64 s[22:23], vcc
	s_cbranch_execz .LBB65_46
; %bb.43:
	s_mov_b64 s[26:27], 1
	s_mov_b64 s[24:25], 0
	v_mov_b32_e32 v58, 1.0
	v_mov_b32_e32 v32, v33
.LBB65_44:                              ; =>This Inner Loop Header: Depth=1
	s_flbit_i32_b32 s28, s27
	s_min_u32 s30, s28, 32
	s_lshl_b64 s[28:29], s[26:27], s30
	s_min_u32 s28, s28, 1
	s_or_b32 s28, s29, s28
	v_cvt_f32_u32_e32 v59, s28
	s_sub_i32 s30, 32, s30
	s_add_u32 s26, s26, 1
	s_addc_u32 s27, s27, 0
	v_ldexp_f32 v59, v59, s30
	v_cmp_eq_u64_e32 vcc, s[26:27], v[30:31]
	v_mul_f32_e32 v59, v58, v59
	s_or_b64 s[24:25], vcc, s[24:25]
	v_mov_b32_e32 v58, v32
	v_fma_f32 v32, v32, v33, -v59
	s_andn2_b64 exec, exec, s[24:25]
	s_cbranch_execnz .LBB65_44
; %bb.45:
	s_or_b64 exec, exec, s[24:25]
.LBB65_46:
	s_or_b64 exec, exec, s[22:23]
                                        ; implicit-def: $vgpr33
.LBB65_47:
	s_andn2_saveexec_b64 s[20:21], s[20:21]
; %bb.48:
	v_mov_b32_e32 v32, v33
; %bb.49:
	s_or_b64 exec, exec, s[20:21]
.LBB65_50:
	s_or_b64 exec, exec, s[14:15]
.LBB65_51:
	s_or_b64 exec, exec, s[10:11]
	s_waitcnt vmcnt(13)
	v_cvt_f16_f32_e32 v28, v28
	v_mov_b32_e32 v33, 0
	v_cvt_f32_f16_e32 v28, v28
	v_cvt_i32_f32_e32 v30, v28
	v_ashrrev_i32_e32 v31, 31, v30
	v_cmp_lt_i64_e32 vcc, -1, v[30:31]
	s_and_saveexec_b64 s[10:11], vcc
	s_cbranch_execz .LBB65_63
; %bb.52:
	v_cmp_lt_i64_e32 vcc, 0, v[30:31]
	v_mov_b32_e32 v33, 1.0
	s_and_saveexec_b64 s[14:15], vcc
	s_cbranch_execz .LBB65_62
; %bb.53:
	v_cvt_f32_f16_e32 v28, v57
	v_cmp_ne_u64_e32 vcc, 1, v[30:31]
                                        ; implicit-def: $vgpr33
	s_and_saveexec_b64 s[20:21], vcc
	s_xor_b64 s[20:21], exec, s[20:21]
	s_cbranch_execz .LBB65_59
; %bb.54:
	s_mov_b64 s[22:23], 0x81
	v_cmp_gt_u64_e32 vcc, s[22:23], v[30:31]
	v_mov_b32_e32 v33, 0x7fc00000
	s_and_saveexec_b64 s[22:23], vcc
	s_cbranch_execz .LBB65_58
; %bb.55:
	s_mov_b64 s[26:27], 1
	s_mov_b64 s[24:25], 0
	v_mov_b32_e32 v58, 1.0
	v_mov_b32_e32 v33, v28
.LBB65_56:                              ; =>This Inner Loop Header: Depth=1
	s_flbit_i32_b32 s28, s27
	s_min_u32 s30, s28, 32
	s_lshl_b64 s[28:29], s[26:27], s30
	s_min_u32 s28, s28, 1
	s_or_b32 s28, s29, s28
	v_cvt_f32_u32_e32 v59, s28
	s_sub_i32 s30, 32, s30
	s_add_u32 s26, s26, 1
	s_addc_u32 s27, s27, 0
	v_ldexp_f32 v59, v59, s30
	v_cmp_eq_u64_e32 vcc, s[26:27], v[30:31]
	v_mul_f32_e32 v59, v58, v59
	s_or_b64 s[24:25], vcc, s[24:25]
	v_mov_b32_e32 v58, v33
	v_fma_f32 v33, v33, v28, -v59
	s_andn2_b64 exec, exec, s[24:25]
	s_cbranch_execnz .LBB65_56
; %bb.57:
	s_or_b64 exec, exec, s[24:25]
.LBB65_58:
	s_or_b64 exec, exec, s[22:23]
                                        ; implicit-def: $vgpr28
.LBB65_59:
	s_andn2_saveexec_b64 s[20:21], s[20:21]
; %bb.60:
	v_mov_b32_e32 v33, v28
; %bb.61:
	s_or_b64 exec, exec, s[20:21]
.LBB65_62:
	s_or_b64 exec, exec, s[14:15]
.LBB65_63:
	s_or_b64 exec, exec, s[10:11]
	v_cvt_f16_f32_e32 v28, v29
	v_mov_b32_e32 v30, 0
	v_cvt_f32_f16_e32 v28, v28
	v_cvt_i32_f32_e32 v28, v28
	v_ashrrev_i32_e32 v29, 31, v28
	v_cmp_lt_i64_e32 vcc, -1, v[28:29]
	s_and_saveexec_b64 s[10:11], vcc
	s_cbranch_execz .LBB65_75
; %bb.64:
	v_cmp_lt_i64_e32 vcc, 0, v[28:29]
	v_mov_b32_e32 v30, 1.0
	s_and_saveexec_b64 s[14:15], vcc
	s_cbranch_execz .LBB65_74
; %bb.65:
	v_cvt_f32_f16_sdwa v31, v57 dst_sel:DWORD dst_unused:UNUSED_PAD src0_sel:WORD_1
	v_cmp_ne_u64_e32 vcc, 1, v[28:29]
                                        ; implicit-def: $vgpr30
	s_and_saveexec_b64 s[20:21], vcc
	s_xor_b64 s[20:21], exec, s[20:21]
	s_cbranch_execz .LBB65_71
; %bb.66:
	s_mov_b64 s[22:23], 0x81
	v_cmp_gt_u64_e32 vcc, s[22:23], v[28:29]
	v_mov_b32_e32 v30, 0x7fc00000
	s_and_saveexec_b64 s[22:23], vcc
	s_cbranch_execz .LBB65_70
; %bb.67:
	s_mov_b64 s[26:27], 1
	s_mov_b64 s[24:25], 0
	v_mov_b32_e32 v57, 1.0
	v_mov_b32_e32 v30, v31
.LBB65_68:                              ; =>This Inner Loop Header: Depth=1
	s_flbit_i32_b32 s28, s27
	s_min_u32 s30, s28, 32
	s_lshl_b64 s[28:29], s[26:27], s30
	s_min_u32 s28, s28, 1
	s_or_b32 s28, s29, s28
	v_cvt_f32_u32_e32 v58, s28
	s_sub_i32 s30, 32, s30
	s_add_u32 s26, s26, 1
	s_addc_u32 s27, s27, 0
	v_ldexp_f32 v58, v58, s30
	v_cmp_eq_u64_e32 vcc, s[26:27], v[28:29]
	v_mul_f32_e32 v58, v57, v58
	s_or_b64 s[24:25], vcc, s[24:25]
	v_mov_b32_e32 v57, v30
	v_fma_f32 v30, v30, v31, -v58
	s_andn2_b64 exec, exec, s[24:25]
	s_cbranch_execnz .LBB65_68
; %bb.69:
	s_or_b64 exec, exec, s[24:25]
.LBB65_70:
	s_or_b64 exec, exec, s[22:23]
                                        ; implicit-def: $vgpr31
.LBB65_71:
	s_andn2_saveexec_b64 s[20:21], s[20:21]
; %bb.72:
	v_mov_b32_e32 v30, v31
; %bb.73:
	s_or_b64 exec, exec, s[20:21]
.LBB65_74:
	s_or_b64 exec, exec, s[14:15]
.LBB65_75:
	s_or_b64 exec, exec, s[10:11]
	s_waitcnt vmcnt(12)
	v_cvt_f16_f32_e32 v26, v26
	v_mov_b32_e32 v31, 0
	v_cvt_f32_f16_e32 v26, v26
	v_cvt_i32_f32_e32 v28, v26
	v_ashrrev_i32_e32 v29, 31, v28
	v_cmp_lt_i64_e32 vcc, -1, v[28:29]
	s_and_saveexec_b64 s[10:11], vcc
	s_cbranch_execz .LBB65_87
; %bb.76:
	v_cmp_lt_i64_e32 vcc, 0, v[28:29]
	v_mov_b32_e32 v31, 1.0
	s_and_saveexec_b64 s[14:15], vcc
	s_cbranch_execz .LBB65_86
; %bb.77:
	v_cvt_f32_f16_e32 v26, v56
	v_cmp_ne_u64_e32 vcc, 1, v[28:29]
                                        ; implicit-def: $vgpr31
	s_and_saveexec_b64 s[20:21], vcc
	s_xor_b64 s[20:21], exec, s[20:21]
	s_cbranch_execz .LBB65_83
; %bb.78:
	s_mov_b64 s[22:23], 0x81
	v_cmp_gt_u64_e32 vcc, s[22:23], v[28:29]
	v_mov_b32_e32 v31, 0x7fc00000
	s_and_saveexec_b64 s[22:23], vcc
	s_cbranch_execz .LBB65_82
; %bb.79:
	s_mov_b64 s[26:27], 1
	s_mov_b64 s[24:25], 0
	v_mov_b32_e32 v57, 1.0
	v_mov_b32_e32 v31, v26
.LBB65_80:                              ; =>This Inner Loop Header: Depth=1
	s_flbit_i32_b32 s28, s27
	s_min_u32 s30, s28, 32
	s_lshl_b64 s[28:29], s[26:27], s30
	s_min_u32 s28, s28, 1
	s_or_b32 s28, s29, s28
	v_cvt_f32_u32_e32 v58, s28
	s_sub_i32 s30, 32, s30
	s_add_u32 s26, s26, 1
	s_addc_u32 s27, s27, 0
	v_ldexp_f32 v58, v58, s30
	v_cmp_eq_u64_e32 vcc, s[26:27], v[28:29]
	v_mul_f32_e32 v58, v57, v58
	s_or_b64 s[24:25], vcc, s[24:25]
	v_mov_b32_e32 v57, v31
	v_fma_f32 v31, v31, v26, -v58
	s_andn2_b64 exec, exec, s[24:25]
	s_cbranch_execnz .LBB65_80
; %bb.81:
	s_or_b64 exec, exec, s[24:25]
.LBB65_82:
	s_or_b64 exec, exec, s[22:23]
                                        ; implicit-def: $vgpr26
.LBB65_83:
	s_andn2_saveexec_b64 s[20:21], s[20:21]
; %bb.84:
	v_mov_b32_e32 v31, v26
; %bb.85:
	s_or_b64 exec, exec, s[20:21]
.LBB65_86:
	s_or_b64 exec, exec, s[14:15]
.LBB65_87:
	s_or_b64 exec, exec, s[10:11]
	v_cvt_f16_f32_e32 v26, v27
	v_mov_b32_e32 v28, 0
	v_cvt_f32_f16_e32 v26, v26
	v_cvt_i32_f32_e32 v26, v26
	v_ashrrev_i32_e32 v27, 31, v26
	v_cmp_lt_i64_e32 vcc, -1, v[26:27]
	s_and_saveexec_b64 s[10:11], vcc
	s_cbranch_execz .LBB65_99
; %bb.88:
	v_cmp_lt_i64_e32 vcc, 0, v[26:27]
	v_mov_b32_e32 v28, 1.0
	s_and_saveexec_b64 s[14:15], vcc
	s_cbranch_execz .LBB65_98
; %bb.89:
	v_cvt_f32_f16_sdwa v29, v56 dst_sel:DWORD dst_unused:UNUSED_PAD src0_sel:WORD_1
	v_cmp_ne_u64_e32 vcc, 1, v[26:27]
                                        ; implicit-def: $vgpr28
	s_and_saveexec_b64 s[20:21], vcc
	s_xor_b64 s[20:21], exec, s[20:21]
	s_cbranch_execz .LBB65_95
; %bb.90:
	s_mov_b64 s[22:23], 0x81
	v_cmp_gt_u64_e32 vcc, s[22:23], v[26:27]
	v_mov_b32_e32 v28, 0x7fc00000
	s_and_saveexec_b64 s[22:23], vcc
	s_cbranch_execz .LBB65_94
; %bb.91:
	s_mov_b64 s[26:27], 1
	s_mov_b64 s[24:25], 0
	v_mov_b32_e32 v56, 1.0
	v_mov_b32_e32 v28, v29
.LBB65_92:                              ; =>This Inner Loop Header: Depth=1
	s_flbit_i32_b32 s28, s27
	s_min_u32 s30, s28, 32
	s_lshl_b64 s[28:29], s[26:27], s30
	s_min_u32 s28, s28, 1
	s_or_b32 s28, s29, s28
	v_cvt_f32_u32_e32 v57, s28
	s_sub_i32 s30, 32, s30
	s_add_u32 s26, s26, 1
	s_addc_u32 s27, s27, 0
	v_ldexp_f32 v57, v57, s30
	v_cmp_eq_u64_e32 vcc, s[26:27], v[26:27]
	v_mul_f32_e32 v57, v56, v57
	s_or_b64 s[24:25], vcc, s[24:25]
	v_mov_b32_e32 v56, v28
	v_fma_f32 v28, v28, v29, -v57
	s_andn2_b64 exec, exec, s[24:25]
	s_cbranch_execnz .LBB65_92
; %bb.93:
	s_or_b64 exec, exec, s[24:25]
.LBB65_94:
	s_or_b64 exec, exec, s[22:23]
                                        ; implicit-def: $vgpr29
.LBB65_95:
	s_andn2_saveexec_b64 s[20:21], s[20:21]
; %bb.96:
	v_mov_b32_e32 v28, v29
; %bb.97:
	s_or_b64 exec, exec, s[20:21]
.LBB65_98:
	s_or_b64 exec, exec, s[14:15]
.LBB65_99:
	s_or_b64 exec, exec, s[10:11]
	s_waitcnt vmcnt(11)
	v_cvt_f16_f32_e32 v24, v24
	v_mov_b32_e32 v29, 0
	v_cvt_f32_f16_e32 v24, v24
	v_cvt_i32_f32_e32 v26, v24
	v_ashrrev_i32_e32 v27, 31, v26
	v_cmp_lt_i64_e32 vcc, -1, v[26:27]
	s_and_saveexec_b64 s[10:11], vcc
	s_cbranch_execz .LBB65_111
; %bb.100:
	v_cmp_lt_i64_e32 vcc, 0, v[26:27]
	v_mov_b32_e32 v29, 1.0
	s_and_saveexec_b64 s[14:15], vcc
	s_cbranch_execz .LBB65_110
; %bb.101:
	v_cvt_f32_f16_e32 v24, v55
	v_cmp_ne_u64_e32 vcc, 1, v[26:27]
                                        ; implicit-def: $vgpr29
	s_and_saveexec_b64 s[20:21], vcc
	s_xor_b64 s[20:21], exec, s[20:21]
	s_cbranch_execz .LBB65_107
; %bb.102:
	s_mov_b64 s[22:23], 0x81
	v_cmp_gt_u64_e32 vcc, s[22:23], v[26:27]
	v_mov_b32_e32 v29, 0x7fc00000
	s_and_saveexec_b64 s[22:23], vcc
	s_cbranch_execz .LBB65_106
; %bb.103:
	s_mov_b64 s[26:27], 1
	s_mov_b64 s[24:25], 0
	v_mov_b32_e32 v56, 1.0
	v_mov_b32_e32 v29, v24
.LBB65_104:                             ; =>This Inner Loop Header: Depth=1
	s_flbit_i32_b32 s28, s27
	s_min_u32 s30, s28, 32
	s_lshl_b64 s[28:29], s[26:27], s30
	s_min_u32 s28, s28, 1
	s_or_b32 s28, s29, s28
	v_cvt_f32_u32_e32 v57, s28
	s_sub_i32 s30, 32, s30
	s_add_u32 s26, s26, 1
	s_addc_u32 s27, s27, 0
	v_ldexp_f32 v57, v57, s30
	v_cmp_eq_u64_e32 vcc, s[26:27], v[26:27]
	v_mul_f32_e32 v57, v56, v57
	s_or_b64 s[24:25], vcc, s[24:25]
	v_mov_b32_e32 v56, v29
	v_fma_f32 v29, v29, v24, -v57
	s_andn2_b64 exec, exec, s[24:25]
	s_cbranch_execnz .LBB65_104
; %bb.105:
	s_or_b64 exec, exec, s[24:25]
.LBB65_106:
	s_or_b64 exec, exec, s[22:23]
                                        ; implicit-def: $vgpr24
.LBB65_107:
	s_andn2_saveexec_b64 s[20:21], s[20:21]
; %bb.108:
	v_mov_b32_e32 v29, v24
; %bb.109:
	s_or_b64 exec, exec, s[20:21]
.LBB65_110:
	s_or_b64 exec, exec, s[14:15]
.LBB65_111:
	s_or_b64 exec, exec, s[10:11]
	v_cvt_f16_f32_e32 v24, v25
	v_mov_b32_e32 v26, 0
	v_cvt_f32_f16_e32 v24, v24
	v_cvt_i32_f32_e32 v24, v24
	v_ashrrev_i32_e32 v25, 31, v24
	v_cmp_lt_i64_e32 vcc, -1, v[24:25]
	s_and_saveexec_b64 s[10:11], vcc
	s_cbranch_execz .LBB65_123
; %bb.112:
	v_cmp_lt_i64_e32 vcc, 0, v[24:25]
	v_mov_b32_e32 v26, 1.0
	s_and_saveexec_b64 s[14:15], vcc
	s_cbranch_execz .LBB65_122
; %bb.113:
	v_cvt_f32_f16_sdwa v27, v55 dst_sel:DWORD dst_unused:UNUSED_PAD src0_sel:WORD_1
	v_cmp_ne_u64_e32 vcc, 1, v[24:25]
                                        ; implicit-def: $vgpr26
	s_and_saveexec_b64 s[20:21], vcc
	s_xor_b64 s[20:21], exec, s[20:21]
	s_cbranch_execz .LBB65_119
; %bb.114:
	s_mov_b64 s[22:23], 0x81
	v_cmp_gt_u64_e32 vcc, s[22:23], v[24:25]
	v_mov_b32_e32 v26, 0x7fc00000
	s_and_saveexec_b64 s[22:23], vcc
	s_cbranch_execz .LBB65_118
; %bb.115:
	s_mov_b64 s[26:27], 1
	s_mov_b64 s[24:25], 0
	v_mov_b32_e32 v55, 1.0
	v_mov_b32_e32 v26, v27
.LBB65_116:                             ; =>This Inner Loop Header: Depth=1
	s_flbit_i32_b32 s28, s27
	s_min_u32 s30, s28, 32
	s_lshl_b64 s[28:29], s[26:27], s30
	s_min_u32 s28, s28, 1
	s_or_b32 s28, s29, s28
	v_cvt_f32_u32_e32 v56, s28
	s_sub_i32 s30, 32, s30
	s_add_u32 s26, s26, 1
	s_addc_u32 s27, s27, 0
	v_ldexp_f32 v56, v56, s30
	v_cmp_eq_u64_e32 vcc, s[26:27], v[24:25]
	v_mul_f32_e32 v56, v55, v56
	s_or_b64 s[24:25], vcc, s[24:25]
	v_mov_b32_e32 v55, v26
	v_fma_f32 v26, v26, v27, -v56
	s_andn2_b64 exec, exec, s[24:25]
	s_cbranch_execnz .LBB65_116
; %bb.117:
	s_or_b64 exec, exec, s[24:25]
.LBB65_118:
	s_or_b64 exec, exec, s[22:23]
                                        ; implicit-def: $vgpr27
.LBB65_119:
	s_andn2_saveexec_b64 s[20:21], s[20:21]
; %bb.120:
	v_mov_b32_e32 v26, v27
; %bb.121:
	s_or_b64 exec, exec, s[20:21]
.LBB65_122:
	s_or_b64 exec, exec, s[14:15]
.LBB65_123:
	s_or_b64 exec, exec, s[10:11]
	s_waitcnt vmcnt(10)
	v_cvt_f16_f32_e32 v22, v22
	v_mov_b32_e32 v27, 0
	v_cvt_f32_f16_e32 v22, v22
	v_cvt_i32_f32_e32 v24, v22
	v_ashrrev_i32_e32 v25, 31, v24
	v_cmp_lt_i64_e32 vcc, -1, v[24:25]
	s_and_saveexec_b64 s[10:11], vcc
	s_cbranch_execz .LBB65_135
; %bb.124:
	v_cmp_lt_i64_e32 vcc, 0, v[24:25]
	v_mov_b32_e32 v27, 1.0
	s_and_saveexec_b64 s[14:15], vcc
	s_cbranch_execz .LBB65_134
; %bb.125:
	v_cvt_f32_f16_e32 v22, v54
	v_cmp_ne_u64_e32 vcc, 1, v[24:25]
                                        ; implicit-def: $vgpr27
	s_and_saveexec_b64 s[20:21], vcc
	s_xor_b64 s[20:21], exec, s[20:21]
	s_cbranch_execz .LBB65_131
; %bb.126:
	s_mov_b64 s[22:23], 0x81
	v_cmp_gt_u64_e32 vcc, s[22:23], v[24:25]
	v_mov_b32_e32 v27, 0x7fc00000
	s_and_saveexec_b64 s[22:23], vcc
	s_cbranch_execz .LBB65_130
; %bb.127:
	s_mov_b64 s[26:27], 1
	s_mov_b64 s[24:25], 0
	v_mov_b32_e32 v55, 1.0
	v_mov_b32_e32 v27, v22
.LBB65_128:                             ; =>This Inner Loop Header: Depth=1
	s_flbit_i32_b32 s28, s27
	s_min_u32 s30, s28, 32
	s_lshl_b64 s[28:29], s[26:27], s30
	s_min_u32 s28, s28, 1
	s_or_b32 s28, s29, s28
	v_cvt_f32_u32_e32 v56, s28
	s_sub_i32 s30, 32, s30
	s_add_u32 s26, s26, 1
	s_addc_u32 s27, s27, 0
	v_ldexp_f32 v56, v56, s30
	v_cmp_eq_u64_e32 vcc, s[26:27], v[24:25]
	v_mul_f32_e32 v56, v55, v56
	s_or_b64 s[24:25], vcc, s[24:25]
	v_mov_b32_e32 v55, v27
	v_fma_f32 v27, v27, v22, -v56
	s_andn2_b64 exec, exec, s[24:25]
	s_cbranch_execnz .LBB65_128
; %bb.129:
	s_or_b64 exec, exec, s[24:25]
.LBB65_130:
	s_or_b64 exec, exec, s[22:23]
                                        ; implicit-def: $vgpr22
.LBB65_131:
	s_andn2_saveexec_b64 s[20:21], s[20:21]
; %bb.132:
	v_mov_b32_e32 v27, v22
; %bb.133:
	s_or_b64 exec, exec, s[20:21]
.LBB65_134:
	s_or_b64 exec, exec, s[14:15]
.LBB65_135:
	s_or_b64 exec, exec, s[10:11]
	v_cvt_f16_f32_e32 v22, v23
	v_mov_b32_e32 v24, 0
	v_cvt_f32_f16_e32 v22, v22
	v_cvt_i32_f32_e32 v22, v22
	v_ashrrev_i32_e32 v23, 31, v22
	v_cmp_lt_i64_e32 vcc, -1, v[22:23]
	s_and_saveexec_b64 s[10:11], vcc
	s_cbranch_execz .LBB65_147
; %bb.136:
	v_cmp_lt_i64_e32 vcc, 0, v[22:23]
	v_mov_b32_e32 v24, 1.0
	s_and_saveexec_b64 s[14:15], vcc
	s_cbranch_execz .LBB65_146
; %bb.137:
	v_cvt_f32_f16_sdwa v25, v54 dst_sel:DWORD dst_unused:UNUSED_PAD src0_sel:WORD_1
	v_cmp_ne_u64_e32 vcc, 1, v[22:23]
                                        ; implicit-def: $vgpr24
	s_and_saveexec_b64 s[20:21], vcc
	s_xor_b64 s[20:21], exec, s[20:21]
	s_cbranch_execz .LBB65_143
; %bb.138:
	s_mov_b64 s[22:23], 0x81
	v_cmp_gt_u64_e32 vcc, s[22:23], v[22:23]
	v_mov_b32_e32 v24, 0x7fc00000
	s_and_saveexec_b64 s[22:23], vcc
	s_cbranch_execz .LBB65_142
; %bb.139:
	s_mov_b64 s[26:27], 1
	s_mov_b64 s[24:25], 0
	v_mov_b32_e32 v54, 1.0
	v_mov_b32_e32 v24, v25
.LBB65_140:                             ; =>This Inner Loop Header: Depth=1
	s_flbit_i32_b32 s28, s27
	s_min_u32 s30, s28, 32
	s_lshl_b64 s[28:29], s[26:27], s30
	s_min_u32 s28, s28, 1
	s_or_b32 s28, s29, s28
	v_cvt_f32_u32_e32 v55, s28
	s_sub_i32 s30, 32, s30
	s_add_u32 s26, s26, 1
	s_addc_u32 s27, s27, 0
	v_ldexp_f32 v55, v55, s30
	v_cmp_eq_u64_e32 vcc, s[26:27], v[22:23]
	v_mul_f32_e32 v55, v54, v55
	s_or_b64 s[24:25], vcc, s[24:25]
	v_mov_b32_e32 v54, v24
	v_fma_f32 v24, v24, v25, -v55
	s_andn2_b64 exec, exec, s[24:25]
	s_cbranch_execnz .LBB65_140
; %bb.141:
	s_or_b64 exec, exec, s[24:25]
.LBB65_142:
	s_or_b64 exec, exec, s[22:23]
                                        ; implicit-def: $vgpr25
.LBB65_143:
	s_andn2_saveexec_b64 s[20:21], s[20:21]
; %bb.144:
	v_mov_b32_e32 v24, v25
; %bb.145:
	s_or_b64 exec, exec, s[20:21]
.LBB65_146:
	s_or_b64 exec, exec, s[14:15]
.LBB65_147:
	s_or_b64 exec, exec, s[10:11]
	s_waitcnt vmcnt(9)
	v_cvt_f16_f32_e32 v20, v20
	v_mov_b32_e32 v25, 0
	v_cvt_f32_f16_e32 v20, v20
	v_cvt_i32_f32_e32 v22, v20
	v_ashrrev_i32_e32 v23, 31, v22
	v_cmp_lt_i64_e32 vcc, -1, v[22:23]
	s_and_saveexec_b64 s[10:11], vcc
	s_cbranch_execz .LBB65_159
; %bb.148:
	v_cmp_lt_i64_e32 vcc, 0, v[22:23]
	v_mov_b32_e32 v25, 1.0
	s_and_saveexec_b64 s[14:15], vcc
	s_cbranch_execz .LBB65_158
; %bb.149:
	v_cvt_f32_f16_e32 v20, v53
	v_cmp_ne_u64_e32 vcc, 1, v[22:23]
                                        ; implicit-def: $vgpr25
	s_and_saveexec_b64 s[20:21], vcc
	s_xor_b64 s[20:21], exec, s[20:21]
	s_cbranch_execz .LBB65_155
; %bb.150:
	s_mov_b64 s[22:23], 0x81
	v_cmp_gt_u64_e32 vcc, s[22:23], v[22:23]
	v_mov_b32_e32 v25, 0x7fc00000
	s_and_saveexec_b64 s[22:23], vcc
	s_cbranch_execz .LBB65_154
; %bb.151:
	s_mov_b64 s[26:27], 1
	s_mov_b64 s[24:25], 0
	v_mov_b32_e32 v54, 1.0
	v_mov_b32_e32 v25, v20
.LBB65_152:                             ; =>This Inner Loop Header: Depth=1
	s_flbit_i32_b32 s28, s27
	s_min_u32 s30, s28, 32
	s_lshl_b64 s[28:29], s[26:27], s30
	s_min_u32 s28, s28, 1
	s_or_b32 s28, s29, s28
	v_cvt_f32_u32_e32 v55, s28
	s_sub_i32 s30, 32, s30
	s_add_u32 s26, s26, 1
	s_addc_u32 s27, s27, 0
	v_ldexp_f32 v55, v55, s30
	v_cmp_eq_u64_e32 vcc, s[26:27], v[22:23]
	v_mul_f32_e32 v55, v54, v55
	s_or_b64 s[24:25], vcc, s[24:25]
	v_mov_b32_e32 v54, v25
	v_fma_f32 v25, v25, v20, -v55
	s_andn2_b64 exec, exec, s[24:25]
	s_cbranch_execnz .LBB65_152
; %bb.153:
	s_or_b64 exec, exec, s[24:25]
.LBB65_154:
	s_or_b64 exec, exec, s[22:23]
                                        ; implicit-def: $vgpr20
.LBB65_155:
	s_andn2_saveexec_b64 s[20:21], s[20:21]
; %bb.156:
	v_mov_b32_e32 v25, v20
; %bb.157:
	s_or_b64 exec, exec, s[20:21]
.LBB65_158:
	s_or_b64 exec, exec, s[14:15]
.LBB65_159:
	s_or_b64 exec, exec, s[10:11]
	v_cvt_f16_f32_e32 v20, v21
	v_mov_b32_e32 v22, 0
	v_cvt_f32_f16_e32 v20, v20
	v_cvt_i32_f32_e32 v20, v20
	v_ashrrev_i32_e32 v21, 31, v20
	v_cmp_lt_i64_e32 vcc, -1, v[20:21]
	s_and_saveexec_b64 s[10:11], vcc
	s_cbranch_execz .LBB65_171
; %bb.160:
	v_cmp_lt_i64_e32 vcc, 0, v[20:21]
	v_mov_b32_e32 v22, 1.0
	s_and_saveexec_b64 s[14:15], vcc
	s_cbranch_execz .LBB65_170
; %bb.161:
	v_cvt_f32_f16_sdwa v23, v53 dst_sel:DWORD dst_unused:UNUSED_PAD src0_sel:WORD_1
	v_cmp_ne_u64_e32 vcc, 1, v[20:21]
                                        ; implicit-def: $vgpr22
	s_and_saveexec_b64 s[20:21], vcc
	s_xor_b64 s[20:21], exec, s[20:21]
	s_cbranch_execz .LBB65_167
; %bb.162:
	s_mov_b64 s[22:23], 0x81
	v_cmp_gt_u64_e32 vcc, s[22:23], v[20:21]
	v_mov_b32_e32 v22, 0x7fc00000
	s_and_saveexec_b64 s[22:23], vcc
	s_cbranch_execz .LBB65_166
; %bb.163:
	s_mov_b64 s[26:27], 1
	s_mov_b64 s[24:25], 0
	v_mov_b32_e32 v53, 1.0
	v_mov_b32_e32 v22, v23
.LBB65_164:                             ; =>This Inner Loop Header: Depth=1
	s_flbit_i32_b32 s28, s27
	s_min_u32 s30, s28, 32
	s_lshl_b64 s[28:29], s[26:27], s30
	s_min_u32 s28, s28, 1
	s_or_b32 s28, s29, s28
	v_cvt_f32_u32_e32 v54, s28
	s_sub_i32 s30, 32, s30
	s_add_u32 s26, s26, 1
	s_addc_u32 s27, s27, 0
	v_ldexp_f32 v54, v54, s30
	v_cmp_eq_u64_e32 vcc, s[26:27], v[20:21]
	v_mul_f32_e32 v54, v53, v54
	s_or_b64 s[24:25], vcc, s[24:25]
	v_mov_b32_e32 v53, v22
	v_fma_f32 v22, v22, v23, -v54
	s_andn2_b64 exec, exec, s[24:25]
	s_cbranch_execnz .LBB65_164
; %bb.165:
	s_or_b64 exec, exec, s[24:25]
.LBB65_166:
	s_or_b64 exec, exec, s[22:23]
                                        ; implicit-def: $vgpr23
.LBB65_167:
	s_andn2_saveexec_b64 s[20:21], s[20:21]
; %bb.168:
	v_mov_b32_e32 v22, v23
; %bb.169:
	s_or_b64 exec, exec, s[20:21]
.LBB65_170:
	s_or_b64 exec, exec, s[14:15]
.LBB65_171:
	s_or_b64 exec, exec, s[10:11]
	s_waitcnt vmcnt(8)
	v_cvt_f16_f32_e32 v18, v18
	v_mov_b32_e32 v23, 0
	v_cvt_f32_f16_e32 v18, v18
	v_cvt_i32_f32_e32 v20, v18
	v_ashrrev_i32_e32 v21, 31, v20
	v_cmp_lt_i64_e32 vcc, -1, v[20:21]
	s_and_saveexec_b64 s[10:11], vcc
	s_cbranch_execz .LBB65_183
; %bb.172:
	v_cmp_lt_i64_e32 vcc, 0, v[20:21]
	v_mov_b32_e32 v23, 1.0
	s_and_saveexec_b64 s[14:15], vcc
	s_cbranch_execz .LBB65_182
; %bb.173:
	v_cvt_f32_f16_e32 v18, v52
	v_cmp_ne_u64_e32 vcc, 1, v[20:21]
                                        ; implicit-def: $vgpr23
	s_and_saveexec_b64 s[20:21], vcc
	s_xor_b64 s[20:21], exec, s[20:21]
	s_cbranch_execz .LBB65_179
; %bb.174:
	s_mov_b64 s[22:23], 0x81
	v_cmp_gt_u64_e32 vcc, s[22:23], v[20:21]
	v_mov_b32_e32 v23, 0x7fc00000
	s_and_saveexec_b64 s[22:23], vcc
	s_cbranch_execz .LBB65_178
; %bb.175:
	s_mov_b64 s[26:27], 1
	s_mov_b64 s[24:25], 0
	v_mov_b32_e32 v53, 1.0
	v_mov_b32_e32 v23, v18
.LBB65_176:                             ; =>This Inner Loop Header: Depth=1
	s_flbit_i32_b32 s28, s27
	s_min_u32 s30, s28, 32
	s_lshl_b64 s[28:29], s[26:27], s30
	s_min_u32 s28, s28, 1
	s_or_b32 s28, s29, s28
	v_cvt_f32_u32_e32 v54, s28
	s_sub_i32 s30, 32, s30
	s_add_u32 s26, s26, 1
	s_addc_u32 s27, s27, 0
	v_ldexp_f32 v54, v54, s30
	v_cmp_eq_u64_e32 vcc, s[26:27], v[20:21]
	v_mul_f32_e32 v54, v53, v54
	s_or_b64 s[24:25], vcc, s[24:25]
	v_mov_b32_e32 v53, v23
	v_fma_f32 v23, v23, v18, -v54
	s_andn2_b64 exec, exec, s[24:25]
	s_cbranch_execnz .LBB65_176
; %bb.177:
	s_or_b64 exec, exec, s[24:25]
.LBB65_178:
	s_or_b64 exec, exec, s[22:23]
                                        ; implicit-def: $vgpr18
.LBB65_179:
	s_andn2_saveexec_b64 s[20:21], s[20:21]
; %bb.180:
	v_mov_b32_e32 v23, v18
; %bb.181:
	s_or_b64 exec, exec, s[20:21]
.LBB65_182:
	s_or_b64 exec, exec, s[14:15]
.LBB65_183:
	s_or_b64 exec, exec, s[10:11]
	v_cvt_f16_f32_e32 v18, v19
	v_mov_b32_e32 v20, 0
	v_cvt_f32_f16_e32 v18, v18
	v_cvt_i32_f32_e32 v18, v18
	v_ashrrev_i32_e32 v19, 31, v18
	v_cmp_lt_i64_e32 vcc, -1, v[18:19]
	s_and_saveexec_b64 s[10:11], vcc
	s_cbranch_execz .LBB65_195
; %bb.184:
	v_cmp_lt_i64_e32 vcc, 0, v[18:19]
	v_mov_b32_e32 v20, 1.0
	s_and_saveexec_b64 s[14:15], vcc
	s_cbranch_execz .LBB65_194
; %bb.185:
	v_cvt_f32_f16_sdwa v21, v52 dst_sel:DWORD dst_unused:UNUSED_PAD src0_sel:WORD_1
	v_cmp_ne_u64_e32 vcc, 1, v[18:19]
                                        ; implicit-def: $vgpr20
	s_and_saveexec_b64 s[20:21], vcc
	s_xor_b64 s[20:21], exec, s[20:21]
	s_cbranch_execz .LBB65_191
; %bb.186:
	s_mov_b64 s[22:23], 0x81
	v_cmp_gt_u64_e32 vcc, s[22:23], v[18:19]
	v_mov_b32_e32 v20, 0x7fc00000
	s_and_saveexec_b64 s[22:23], vcc
	s_cbranch_execz .LBB65_190
; %bb.187:
	s_mov_b64 s[26:27], 1
	s_mov_b64 s[24:25], 0
	v_mov_b32_e32 v52, 1.0
	v_mov_b32_e32 v20, v21
.LBB65_188:                             ; =>This Inner Loop Header: Depth=1
	s_flbit_i32_b32 s28, s27
	s_min_u32 s30, s28, 32
	s_lshl_b64 s[28:29], s[26:27], s30
	s_min_u32 s28, s28, 1
	s_or_b32 s28, s29, s28
	v_cvt_f32_u32_e32 v53, s28
	s_sub_i32 s30, 32, s30
	s_add_u32 s26, s26, 1
	s_addc_u32 s27, s27, 0
	v_ldexp_f32 v53, v53, s30
	v_cmp_eq_u64_e32 vcc, s[26:27], v[18:19]
	v_mul_f32_e32 v53, v52, v53
	s_or_b64 s[24:25], vcc, s[24:25]
	v_mov_b32_e32 v52, v20
	v_fma_f32 v20, v20, v21, -v53
	s_andn2_b64 exec, exec, s[24:25]
	s_cbranch_execnz .LBB65_188
; %bb.189:
	s_or_b64 exec, exec, s[24:25]
.LBB65_190:
	s_or_b64 exec, exec, s[22:23]
                                        ; implicit-def: $vgpr21
.LBB65_191:
	s_andn2_saveexec_b64 s[20:21], s[20:21]
; %bb.192:
	v_mov_b32_e32 v20, v21
; %bb.193:
	s_or_b64 exec, exec, s[20:21]
.LBB65_194:
	s_or_b64 exec, exec, s[14:15]
.LBB65_195:
	s_or_b64 exec, exec, s[10:11]
	s_waitcnt vmcnt(7)
	v_cvt_f16_f32_e32 v16, v16
	v_mov_b32_e32 v21, 0
	v_cvt_f32_f16_e32 v16, v16
	v_cvt_i32_f32_e32 v18, v16
	v_ashrrev_i32_e32 v19, 31, v18
	v_cmp_lt_i64_e32 vcc, -1, v[18:19]
	s_and_saveexec_b64 s[10:11], vcc
	s_cbranch_execz .LBB65_207
; %bb.196:
	v_cmp_lt_i64_e32 vcc, 0, v[18:19]
	v_mov_b32_e32 v21, 1.0
	s_and_saveexec_b64 s[14:15], vcc
	s_cbranch_execz .LBB65_206
; %bb.197:
	v_cvt_f32_f16_e32 v16, v51
	v_cmp_ne_u64_e32 vcc, 1, v[18:19]
                                        ; implicit-def: $vgpr21
	s_and_saveexec_b64 s[20:21], vcc
	s_xor_b64 s[20:21], exec, s[20:21]
	s_cbranch_execz .LBB65_203
; %bb.198:
	s_mov_b64 s[22:23], 0x81
	v_cmp_gt_u64_e32 vcc, s[22:23], v[18:19]
	v_mov_b32_e32 v21, 0x7fc00000
	s_and_saveexec_b64 s[22:23], vcc
	s_cbranch_execz .LBB65_202
; %bb.199:
	s_mov_b64 s[26:27], 1
	s_mov_b64 s[24:25], 0
	v_mov_b32_e32 v52, 1.0
	v_mov_b32_e32 v21, v16
.LBB65_200:                             ; =>This Inner Loop Header: Depth=1
	s_flbit_i32_b32 s28, s27
	s_min_u32 s30, s28, 32
	s_lshl_b64 s[28:29], s[26:27], s30
	s_min_u32 s28, s28, 1
	s_or_b32 s28, s29, s28
	v_cvt_f32_u32_e32 v53, s28
	s_sub_i32 s30, 32, s30
	s_add_u32 s26, s26, 1
	s_addc_u32 s27, s27, 0
	v_ldexp_f32 v53, v53, s30
	v_cmp_eq_u64_e32 vcc, s[26:27], v[18:19]
	v_mul_f32_e32 v53, v52, v53
	s_or_b64 s[24:25], vcc, s[24:25]
	v_mov_b32_e32 v52, v21
	v_fma_f32 v21, v21, v16, -v53
	s_andn2_b64 exec, exec, s[24:25]
	s_cbranch_execnz .LBB65_200
; %bb.201:
	s_or_b64 exec, exec, s[24:25]
.LBB65_202:
	s_or_b64 exec, exec, s[22:23]
                                        ; implicit-def: $vgpr16
.LBB65_203:
	s_andn2_saveexec_b64 s[20:21], s[20:21]
; %bb.204:
	v_mov_b32_e32 v21, v16
; %bb.205:
	s_or_b64 exec, exec, s[20:21]
.LBB65_206:
	s_or_b64 exec, exec, s[14:15]
.LBB65_207:
	s_or_b64 exec, exec, s[10:11]
	v_cvt_f16_f32_e32 v16, v17
	v_mov_b32_e32 v18, 0
	v_cvt_f32_f16_e32 v16, v16
	v_cvt_i32_f32_e32 v16, v16
	v_ashrrev_i32_e32 v17, 31, v16
	v_cmp_lt_i64_e32 vcc, -1, v[16:17]
	s_and_saveexec_b64 s[10:11], vcc
	s_cbranch_execz .LBB65_219
; %bb.208:
	v_cmp_lt_i64_e32 vcc, 0, v[16:17]
	v_mov_b32_e32 v18, 1.0
	s_and_saveexec_b64 s[14:15], vcc
	s_cbranch_execz .LBB65_218
; %bb.209:
	v_cvt_f32_f16_sdwa v19, v51 dst_sel:DWORD dst_unused:UNUSED_PAD src0_sel:WORD_1
	v_cmp_ne_u64_e32 vcc, 1, v[16:17]
                                        ; implicit-def: $vgpr18
	s_and_saveexec_b64 s[20:21], vcc
	s_xor_b64 s[20:21], exec, s[20:21]
	s_cbranch_execz .LBB65_215
; %bb.210:
	s_mov_b64 s[22:23], 0x81
	v_cmp_gt_u64_e32 vcc, s[22:23], v[16:17]
	v_mov_b32_e32 v18, 0x7fc00000
	s_and_saveexec_b64 s[22:23], vcc
	s_cbranch_execz .LBB65_214
; %bb.211:
	s_mov_b64 s[26:27], 1
	s_mov_b64 s[24:25], 0
	v_mov_b32_e32 v51, 1.0
	v_mov_b32_e32 v18, v19
.LBB65_212:                             ; =>This Inner Loop Header: Depth=1
	s_flbit_i32_b32 s28, s27
	s_min_u32 s30, s28, 32
	s_lshl_b64 s[28:29], s[26:27], s30
	s_min_u32 s28, s28, 1
	s_or_b32 s28, s29, s28
	v_cvt_f32_u32_e32 v52, s28
	s_sub_i32 s30, 32, s30
	s_add_u32 s26, s26, 1
	s_addc_u32 s27, s27, 0
	v_ldexp_f32 v52, v52, s30
	v_cmp_eq_u64_e32 vcc, s[26:27], v[16:17]
	v_mul_f32_e32 v52, v51, v52
	s_or_b64 s[24:25], vcc, s[24:25]
	v_mov_b32_e32 v51, v18
	v_fma_f32 v18, v18, v19, -v52
	s_andn2_b64 exec, exec, s[24:25]
	s_cbranch_execnz .LBB65_212
; %bb.213:
	s_or_b64 exec, exec, s[24:25]
.LBB65_214:
	s_or_b64 exec, exec, s[22:23]
                                        ; implicit-def: $vgpr19
.LBB65_215:
	s_andn2_saveexec_b64 s[20:21], s[20:21]
; %bb.216:
	v_mov_b32_e32 v18, v19
; %bb.217:
	s_or_b64 exec, exec, s[20:21]
.LBB65_218:
	s_or_b64 exec, exec, s[14:15]
.LBB65_219:
	s_or_b64 exec, exec, s[10:11]
	s_waitcnt vmcnt(6)
	v_cvt_f16_f32_e32 v14, v14
	v_mov_b32_e32 v19, 0
	v_cvt_f32_f16_e32 v14, v14
	v_cvt_i32_f32_e32 v16, v14
	v_ashrrev_i32_e32 v17, 31, v16
	v_cmp_lt_i64_e32 vcc, -1, v[16:17]
	s_and_saveexec_b64 s[10:11], vcc
	s_cbranch_execz .LBB65_231
; %bb.220:
	v_cmp_lt_i64_e32 vcc, 0, v[16:17]
	v_mov_b32_e32 v19, 1.0
	s_and_saveexec_b64 s[14:15], vcc
	s_cbranch_execz .LBB65_230
; %bb.221:
	v_cvt_f32_f16_e32 v14, v50
	v_cmp_ne_u64_e32 vcc, 1, v[16:17]
                                        ; implicit-def: $vgpr19
	s_and_saveexec_b64 s[20:21], vcc
	s_xor_b64 s[20:21], exec, s[20:21]
	s_cbranch_execz .LBB65_227
; %bb.222:
	s_mov_b64 s[22:23], 0x81
	v_cmp_gt_u64_e32 vcc, s[22:23], v[16:17]
	v_mov_b32_e32 v19, 0x7fc00000
	s_and_saveexec_b64 s[22:23], vcc
	s_cbranch_execz .LBB65_226
; %bb.223:
	s_mov_b64 s[26:27], 1
	s_mov_b64 s[24:25], 0
	v_mov_b32_e32 v51, 1.0
	v_mov_b32_e32 v19, v14
.LBB65_224:                             ; =>This Inner Loop Header: Depth=1
	s_flbit_i32_b32 s28, s27
	s_min_u32 s30, s28, 32
	s_lshl_b64 s[28:29], s[26:27], s30
	s_min_u32 s28, s28, 1
	s_or_b32 s28, s29, s28
	v_cvt_f32_u32_e32 v52, s28
	s_sub_i32 s30, 32, s30
	s_add_u32 s26, s26, 1
	s_addc_u32 s27, s27, 0
	v_ldexp_f32 v52, v52, s30
	v_cmp_eq_u64_e32 vcc, s[26:27], v[16:17]
	v_mul_f32_e32 v52, v51, v52
	s_or_b64 s[24:25], vcc, s[24:25]
	v_mov_b32_e32 v51, v19
	v_fma_f32 v19, v19, v14, -v52
	s_andn2_b64 exec, exec, s[24:25]
	s_cbranch_execnz .LBB65_224
; %bb.225:
	s_or_b64 exec, exec, s[24:25]
.LBB65_226:
	s_or_b64 exec, exec, s[22:23]
                                        ; implicit-def: $vgpr14
.LBB65_227:
	s_andn2_saveexec_b64 s[20:21], s[20:21]
; %bb.228:
	v_mov_b32_e32 v19, v14
; %bb.229:
	s_or_b64 exec, exec, s[20:21]
.LBB65_230:
	s_or_b64 exec, exec, s[14:15]
.LBB65_231:
	s_or_b64 exec, exec, s[10:11]
	v_cvt_f16_f32_e32 v14, v15
	v_mov_b32_e32 v16, 0
	v_cvt_f32_f16_e32 v14, v14
	v_cvt_i32_f32_e32 v14, v14
	v_ashrrev_i32_e32 v15, 31, v14
	v_cmp_lt_i64_e32 vcc, -1, v[14:15]
	s_and_saveexec_b64 s[10:11], vcc
	s_cbranch_execz .LBB65_243
; %bb.232:
	v_cmp_lt_i64_e32 vcc, 0, v[14:15]
	v_mov_b32_e32 v16, 1.0
	s_and_saveexec_b64 s[14:15], vcc
	s_cbranch_execz .LBB65_242
; %bb.233:
	v_cvt_f32_f16_sdwa v17, v50 dst_sel:DWORD dst_unused:UNUSED_PAD src0_sel:WORD_1
	v_cmp_ne_u64_e32 vcc, 1, v[14:15]
                                        ; implicit-def: $vgpr16
	s_and_saveexec_b64 s[20:21], vcc
	s_xor_b64 s[20:21], exec, s[20:21]
	s_cbranch_execz .LBB65_239
; %bb.234:
	s_mov_b64 s[22:23], 0x81
	v_cmp_gt_u64_e32 vcc, s[22:23], v[14:15]
	v_mov_b32_e32 v16, 0x7fc00000
	s_and_saveexec_b64 s[22:23], vcc
	s_cbranch_execz .LBB65_238
; %bb.235:
	s_mov_b64 s[26:27], 1
	s_mov_b64 s[24:25], 0
	v_mov_b32_e32 v50, 1.0
	v_mov_b32_e32 v16, v17
.LBB65_236:                             ; =>This Inner Loop Header: Depth=1
	s_flbit_i32_b32 s28, s27
	s_min_u32 s30, s28, 32
	s_lshl_b64 s[28:29], s[26:27], s30
	s_min_u32 s28, s28, 1
	s_or_b32 s28, s29, s28
	v_cvt_f32_u32_e32 v51, s28
	s_sub_i32 s30, 32, s30
	s_add_u32 s26, s26, 1
	s_addc_u32 s27, s27, 0
	v_ldexp_f32 v51, v51, s30
	v_cmp_eq_u64_e32 vcc, s[26:27], v[14:15]
	v_mul_f32_e32 v51, v50, v51
	s_or_b64 s[24:25], vcc, s[24:25]
	v_mov_b32_e32 v50, v16
	v_fma_f32 v16, v16, v17, -v51
	s_andn2_b64 exec, exec, s[24:25]
	s_cbranch_execnz .LBB65_236
; %bb.237:
	s_or_b64 exec, exec, s[24:25]
.LBB65_238:
	s_or_b64 exec, exec, s[22:23]
                                        ; implicit-def: $vgpr17
.LBB65_239:
	s_andn2_saveexec_b64 s[20:21], s[20:21]
; %bb.240:
	v_mov_b32_e32 v16, v17
; %bb.241:
	s_or_b64 exec, exec, s[20:21]
.LBB65_242:
	s_or_b64 exec, exec, s[14:15]
.LBB65_243:
	s_or_b64 exec, exec, s[10:11]
	s_waitcnt vmcnt(5)
	v_cvt_f16_f32_e32 v12, v12
	v_mov_b32_e32 v17, 0
	v_cvt_f32_f16_e32 v12, v12
	v_cvt_i32_f32_e32 v14, v12
	v_ashrrev_i32_e32 v15, 31, v14
	v_cmp_lt_i64_e32 vcc, -1, v[14:15]
	s_and_saveexec_b64 s[10:11], vcc
	s_cbranch_execz .LBB65_255
; %bb.244:
	v_cmp_lt_i64_e32 vcc, 0, v[14:15]
	v_mov_b32_e32 v17, 1.0
	s_and_saveexec_b64 s[14:15], vcc
	s_cbranch_execz .LBB65_254
; %bb.245:
	v_cvt_f32_f16_e32 v12, v49
	v_cmp_ne_u64_e32 vcc, 1, v[14:15]
                                        ; implicit-def: $vgpr17
	s_and_saveexec_b64 s[20:21], vcc
	s_xor_b64 s[20:21], exec, s[20:21]
	s_cbranch_execz .LBB65_251
; %bb.246:
	s_mov_b64 s[22:23], 0x81
	v_cmp_gt_u64_e32 vcc, s[22:23], v[14:15]
	v_mov_b32_e32 v17, 0x7fc00000
	s_and_saveexec_b64 s[22:23], vcc
	s_cbranch_execz .LBB65_250
; %bb.247:
	s_mov_b64 s[26:27], 1
	s_mov_b64 s[24:25], 0
	v_mov_b32_e32 v50, 1.0
	v_mov_b32_e32 v17, v12
.LBB65_248:                             ; =>This Inner Loop Header: Depth=1
	s_flbit_i32_b32 s28, s27
	s_min_u32 s30, s28, 32
	s_lshl_b64 s[28:29], s[26:27], s30
	s_min_u32 s28, s28, 1
	s_or_b32 s28, s29, s28
	v_cvt_f32_u32_e32 v51, s28
	s_sub_i32 s30, 32, s30
	s_add_u32 s26, s26, 1
	s_addc_u32 s27, s27, 0
	v_ldexp_f32 v51, v51, s30
	v_cmp_eq_u64_e32 vcc, s[26:27], v[14:15]
	v_mul_f32_e32 v51, v50, v51
	s_or_b64 s[24:25], vcc, s[24:25]
	v_mov_b32_e32 v50, v17
	v_fma_f32 v17, v17, v12, -v51
	s_andn2_b64 exec, exec, s[24:25]
	s_cbranch_execnz .LBB65_248
; %bb.249:
	s_or_b64 exec, exec, s[24:25]
.LBB65_250:
	s_or_b64 exec, exec, s[22:23]
                                        ; implicit-def: $vgpr12
.LBB65_251:
	s_andn2_saveexec_b64 s[20:21], s[20:21]
; %bb.252:
	v_mov_b32_e32 v17, v12
; %bb.253:
	s_or_b64 exec, exec, s[20:21]
.LBB65_254:
	s_or_b64 exec, exec, s[14:15]
.LBB65_255:
	s_or_b64 exec, exec, s[10:11]
	v_cvt_f16_f32_e32 v12, v13
	v_mov_b32_e32 v14, 0
	v_cvt_f32_f16_e32 v12, v12
	v_cvt_i32_f32_e32 v12, v12
	v_ashrrev_i32_e32 v13, 31, v12
	v_cmp_lt_i64_e32 vcc, -1, v[12:13]
	s_and_saveexec_b64 s[10:11], vcc
	s_cbranch_execz .LBB65_267
; %bb.256:
	v_cmp_lt_i64_e32 vcc, 0, v[12:13]
	v_mov_b32_e32 v14, 1.0
	s_and_saveexec_b64 s[14:15], vcc
	s_cbranch_execz .LBB65_266
; %bb.257:
	v_cvt_f32_f16_sdwa v15, v49 dst_sel:DWORD dst_unused:UNUSED_PAD src0_sel:WORD_1
	v_cmp_ne_u64_e32 vcc, 1, v[12:13]
                                        ; implicit-def: $vgpr14
	s_and_saveexec_b64 s[20:21], vcc
	s_xor_b64 s[20:21], exec, s[20:21]
	s_cbranch_execz .LBB65_263
; %bb.258:
	s_mov_b64 s[22:23], 0x81
	v_cmp_gt_u64_e32 vcc, s[22:23], v[12:13]
	v_mov_b32_e32 v14, 0x7fc00000
	s_and_saveexec_b64 s[22:23], vcc
	s_cbranch_execz .LBB65_262
; %bb.259:
	s_mov_b64 s[26:27], 1
	s_mov_b64 s[24:25], 0
	v_mov_b32_e32 v49, 1.0
	v_mov_b32_e32 v14, v15
.LBB65_260:                             ; =>This Inner Loop Header: Depth=1
	s_flbit_i32_b32 s28, s27
	s_min_u32 s30, s28, 32
	s_lshl_b64 s[28:29], s[26:27], s30
	s_min_u32 s28, s28, 1
	s_or_b32 s28, s29, s28
	v_cvt_f32_u32_e32 v50, s28
	s_sub_i32 s30, 32, s30
	s_add_u32 s26, s26, 1
	s_addc_u32 s27, s27, 0
	v_ldexp_f32 v50, v50, s30
	v_cmp_eq_u64_e32 vcc, s[26:27], v[12:13]
	v_mul_f32_e32 v50, v49, v50
	s_or_b64 s[24:25], vcc, s[24:25]
	v_mov_b32_e32 v49, v14
	v_fma_f32 v14, v14, v15, -v50
	s_andn2_b64 exec, exec, s[24:25]
	s_cbranch_execnz .LBB65_260
; %bb.261:
	s_or_b64 exec, exec, s[24:25]
.LBB65_262:
	s_or_b64 exec, exec, s[22:23]
                                        ; implicit-def: $vgpr15
.LBB65_263:
	s_andn2_saveexec_b64 s[20:21], s[20:21]
; %bb.264:
	v_mov_b32_e32 v14, v15
; %bb.265:
	s_or_b64 exec, exec, s[20:21]
.LBB65_266:
	s_or_b64 exec, exec, s[14:15]
.LBB65_267:
	s_or_b64 exec, exec, s[10:11]
	s_waitcnt vmcnt(4)
	v_cvt_f16_f32_e32 v10, v10
	v_mov_b32_e32 v15, 0
	v_cvt_f32_f16_e32 v10, v10
	v_cvt_i32_f32_e32 v12, v10
	v_ashrrev_i32_e32 v13, 31, v12
	v_cmp_lt_i64_e32 vcc, -1, v[12:13]
	s_and_saveexec_b64 s[10:11], vcc
	s_cbranch_execz .LBB65_279
; %bb.268:
	v_cmp_lt_i64_e32 vcc, 0, v[12:13]
	v_mov_b32_e32 v15, 1.0
	s_and_saveexec_b64 s[14:15], vcc
	s_cbranch_execz .LBB65_278
; %bb.269:
	v_cvt_f32_f16_e32 v10, v48
	v_cmp_ne_u64_e32 vcc, 1, v[12:13]
                                        ; implicit-def: $vgpr15
	s_and_saveexec_b64 s[20:21], vcc
	s_xor_b64 s[20:21], exec, s[20:21]
	s_cbranch_execz .LBB65_275
; %bb.270:
	s_mov_b64 s[22:23], 0x81
	v_cmp_gt_u64_e32 vcc, s[22:23], v[12:13]
	v_mov_b32_e32 v15, 0x7fc00000
	s_and_saveexec_b64 s[22:23], vcc
	s_cbranch_execz .LBB65_274
; %bb.271:
	s_mov_b64 s[26:27], 1
	s_mov_b64 s[24:25], 0
	v_mov_b32_e32 v49, 1.0
	v_mov_b32_e32 v15, v10
.LBB65_272:                             ; =>This Inner Loop Header: Depth=1
	s_flbit_i32_b32 s28, s27
	s_min_u32 s30, s28, 32
	s_lshl_b64 s[28:29], s[26:27], s30
	s_min_u32 s28, s28, 1
	s_or_b32 s28, s29, s28
	v_cvt_f32_u32_e32 v50, s28
	s_sub_i32 s30, 32, s30
	s_add_u32 s26, s26, 1
	s_addc_u32 s27, s27, 0
	v_ldexp_f32 v50, v50, s30
	v_cmp_eq_u64_e32 vcc, s[26:27], v[12:13]
	v_mul_f32_e32 v50, v49, v50
	s_or_b64 s[24:25], vcc, s[24:25]
	v_mov_b32_e32 v49, v15
	v_fma_f32 v15, v15, v10, -v50
	s_andn2_b64 exec, exec, s[24:25]
	s_cbranch_execnz .LBB65_272
; %bb.273:
	s_or_b64 exec, exec, s[24:25]
.LBB65_274:
	s_or_b64 exec, exec, s[22:23]
                                        ; implicit-def: $vgpr10
.LBB65_275:
	s_andn2_saveexec_b64 s[20:21], s[20:21]
; %bb.276:
	v_mov_b32_e32 v15, v10
; %bb.277:
	s_or_b64 exec, exec, s[20:21]
.LBB65_278:
	s_or_b64 exec, exec, s[14:15]
.LBB65_279:
	s_or_b64 exec, exec, s[10:11]
	v_cvt_f16_f32_e32 v10, v11
	v_mov_b32_e32 v12, 0
	v_cvt_f32_f16_e32 v10, v10
	v_cvt_i32_f32_e32 v10, v10
	v_ashrrev_i32_e32 v11, 31, v10
	v_cmp_lt_i64_e32 vcc, -1, v[10:11]
	s_and_saveexec_b64 s[10:11], vcc
	s_cbranch_execz .LBB65_291
; %bb.280:
	v_cmp_lt_i64_e32 vcc, 0, v[10:11]
	v_mov_b32_e32 v12, 1.0
	s_and_saveexec_b64 s[14:15], vcc
	s_cbranch_execz .LBB65_290
; %bb.281:
	v_cvt_f32_f16_sdwa v13, v48 dst_sel:DWORD dst_unused:UNUSED_PAD src0_sel:WORD_1
	v_cmp_ne_u64_e32 vcc, 1, v[10:11]
                                        ; implicit-def: $vgpr12
	s_and_saveexec_b64 s[20:21], vcc
	s_xor_b64 s[20:21], exec, s[20:21]
	s_cbranch_execz .LBB65_287
; %bb.282:
	s_mov_b64 s[22:23], 0x81
	v_cmp_gt_u64_e32 vcc, s[22:23], v[10:11]
	v_mov_b32_e32 v12, 0x7fc00000
	s_and_saveexec_b64 s[22:23], vcc
	s_cbranch_execz .LBB65_286
; %bb.283:
	s_mov_b64 s[26:27], 1
	s_mov_b64 s[24:25], 0
	v_mov_b32_e32 v48, 1.0
	v_mov_b32_e32 v12, v13
.LBB65_284:                             ; =>This Inner Loop Header: Depth=1
	s_flbit_i32_b32 s28, s27
	s_min_u32 s30, s28, 32
	s_lshl_b64 s[28:29], s[26:27], s30
	s_min_u32 s28, s28, 1
	s_or_b32 s28, s29, s28
	v_cvt_f32_u32_e32 v49, s28
	s_sub_i32 s30, 32, s30
	s_add_u32 s26, s26, 1
	s_addc_u32 s27, s27, 0
	v_ldexp_f32 v49, v49, s30
	v_cmp_eq_u64_e32 vcc, s[26:27], v[10:11]
	v_mul_f32_e32 v49, v48, v49
	s_or_b64 s[24:25], vcc, s[24:25]
	v_mov_b32_e32 v48, v12
	v_fma_f32 v12, v12, v13, -v49
	s_andn2_b64 exec, exec, s[24:25]
	s_cbranch_execnz .LBB65_284
; %bb.285:
	s_or_b64 exec, exec, s[24:25]
.LBB65_286:
	s_or_b64 exec, exec, s[22:23]
                                        ; implicit-def: $vgpr13
.LBB65_287:
	s_andn2_saveexec_b64 s[20:21], s[20:21]
; %bb.288:
	v_mov_b32_e32 v12, v13
; %bb.289:
	s_or_b64 exec, exec, s[20:21]
.LBB65_290:
	s_or_b64 exec, exec, s[14:15]
.LBB65_291:
	s_or_b64 exec, exec, s[10:11]
	s_waitcnt vmcnt(3)
	v_cvt_f16_f32_e32 v8, v8
	v_mov_b32_e32 v13, 0
	v_cvt_f32_f16_e32 v8, v8
	v_cvt_i32_f32_e32 v10, v8
	v_ashrrev_i32_e32 v11, 31, v10
	v_cmp_lt_i64_e32 vcc, -1, v[10:11]
	s_and_saveexec_b64 s[10:11], vcc
	s_cbranch_execz .LBB65_303
; %bb.292:
	v_cmp_lt_i64_e32 vcc, 0, v[10:11]
	v_mov_b32_e32 v13, 1.0
	s_and_saveexec_b64 s[14:15], vcc
	s_cbranch_execz .LBB65_302
; %bb.293:
	v_cvt_f32_f16_e32 v8, v47
	v_cmp_ne_u64_e32 vcc, 1, v[10:11]
                                        ; implicit-def: $vgpr13
	s_and_saveexec_b64 s[20:21], vcc
	s_xor_b64 s[20:21], exec, s[20:21]
	s_cbranch_execz .LBB65_299
; %bb.294:
	s_mov_b64 s[22:23], 0x81
	v_cmp_gt_u64_e32 vcc, s[22:23], v[10:11]
	v_mov_b32_e32 v13, 0x7fc00000
	s_and_saveexec_b64 s[22:23], vcc
	s_cbranch_execz .LBB65_298
; %bb.295:
	s_mov_b64 s[26:27], 1
	s_mov_b64 s[24:25], 0
	v_mov_b32_e32 v48, 1.0
	v_mov_b32_e32 v13, v8
.LBB65_296:                             ; =>This Inner Loop Header: Depth=1
	s_flbit_i32_b32 s28, s27
	s_min_u32 s30, s28, 32
	s_lshl_b64 s[28:29], s[26:27], s30
	s_min_u32 s28, s28, 1
	s_or_b32 s28, s29, s28
	v_cvt_f32_u32_e32 v49, s28
	s_sub_i32 s30, 32, s30
	s_add_u32 s26, s26, 1
	s_addc_u32 s27, s27, 0
	v_ldexp_f32 v49, v49, s30
	v_cmp_eq_u64_e32 vcc, s[26:27], v[10:11]
	v_mul_f32_e32 v49, v48, v49
	s_or_b64 s[24:25], vcc, s[24:25]
	v_mov_b32_e32 v48, v13
	v_fma_f32 v13, v13, v8, -v49
	s_andn2_b64 exec, exec, s[24:25]
	s_cbranch_execnz .LBB65_296
; %bb.297:
	s_or_b64 exec, exec, s[24:25]
.LBB65_298:
	s_or_b64 exec, exec, s[22:23]
                                        ; implicit-def: $vgpr8
.LBB65_299:
	s_andn2_saveexec_b64 s[20:21], s[20:21]
; %bb.300:
	v_mov_b32_e32 v13, v8
; %bb.301:
	s_or_b64 exec, exec, s[20:21]
.LBB65_302:
	s_or_b64 exec, exec, s[14:15]
.LBB65_303:
	s_or_b64 exec, exec, s[10:11]
	v_cvt_f16_f32_e32 v8, v9
	v_mov_b32_e32 v10, 0
	v_cvt_f32_f16_e32 v8, v8
	v_cvt_i32_f32_e32 v8, v8
	v_ashrrev_i32_e32 v9, 31, v8
	v_cmp_lt_i64_e32 vcc, -1, v[8:9]
	s_and_saveexec_b64 s[10:11], vcc
	s_cbranch_execz .LBB65_315
; %bb.304:
	v_cmp_lt_i64_e32 vcc, 0, v[8:9]
	v_mov_b32_e32 v10, 1.0
	s_and_saveexec_b64 s[14:15], vcc
	s_cbranch_execz .LBB65_314
; %bb.305:
	v_cvt_f32_f16_sdwa v11, v47 dst_sel:DWORD dst_unused:UNUSED_PAD src0_sel:WORD_1
	v_cmp_ne_u64_e32 vcc, 1, v[8:9]
                                        ; implicit-def: $vgpr10
	s_and_saveexec_b64 s[20:21], vcc
	s_xor_b64 s[20:21], exec, s[20:21]
	s_cbranch_execz .LBB65_311
; %bb.306:
	s_mov_b64 s[22:23], 0x81
	v_cmp_gt_u64_e32 vcc, s[22:23], v[8:9]
	v_mov_b32_e32 v10, 0x7fc00000
	s_and_saveexec_b64 s[22:23], vcc
	s_cbranch_execz .LBB65_310
; %bb.307:
	s_mov_b64 s[26:27], 1
	s_mov_b64 s[24:25], 0
	v_mov_b32_e32 v47, 1.0
	v_mov_b32_e32 v10, v11
.LBB65_308:                             ; =>This Inner Loop Header: Depth=1
	s_flbit_i32_b32 s28, s27
	s_min_u32 s30, s28, 32
	s_lshl_b64 s[28:29], s[26:27], s30
	s_min_u32 s28, s28, 1
	s_or_b32 s28, s29, s28
	v_cvt_f32_u32_e32 v48, s28
	s_sub_i32 s30, 32, s30
	s_add_u32 s26, s26, 1
	s_addc_u32 s27, s27, 0
	v_ldexp_f32 v48, v48, s30
	v_cmp_eq_u64_e32 vcc, s[26:27], v[8:9]
	v_mul_f32_e32 v48, v47, v48
	s_or_b64 s[24:25], vcc, s[24:25]
	v_mov_b32_e32 v47, v10
	v_fma_f32 v10, v10, v11, -v48
	s_andn2_b64 exec, exec, s[24:25]
	s_cbranch_execnz .LBB65_308
; %bb.309:
	s_or_b64 exec, exec, s[24:25]
.LBB65_310:
	s_or_b64 exec, exec, s[22:23]
                                        ; implicit-def: $vgpr11
.LBB65_311:
	s_andn2_saveexec_b64 s[20:21], s[20:21]
; %bb.312:
	v_mov_b32_e32 v10, v11
; %bb.313:
	s_or_b64 exec, exec, s[20:21]
.LBB65_314:
	s_or_b64 exec, exec, s[14:15]
.LBB65_315:
	s_or_b64 exec, exec, s[10:11]
	s_waitcnt vmcnt(2)
	v_cvt_f16_f32_e32 v6, v6
	v_mov_b32_e32 v11, 0
	v_cvt_f32_f16_e32 v6, v6
	v_cvt_i32_f32_e32 v8, v6
	v_ashrrev_i32_e32 v9, 31, v8
	v_cmp_lt_i64_e32 vcc, -1, v[8:9]
	s_and_saveexec_b64 s[10:11], vcc
	s_cbranch_execz .LBB65_327
; %bb.316:
	v_cmp_lt_i64_e32 vcc, 0, v[8:9]
	v_mov_b32_e32 v11, 1.0
	s_and_saveexec_b64 s[14:15], vcc
	s_cbranch_execz .LBB65_326
; %bb.317:
	v_cvt_f32_f16_e32 v6, v46
	v_cmp_ne_u64_e32 vcc, 1, v[8:9]
                                        ; implicit-def: $vgpr11
	s_and_saveexec_b64 s[20:21], vcc
	s_xor_b64 s[20:21], exec, s[20:21]
	s_cbranch_execz .LBB65_323
; %bb.318:
	s_mov_b64 s[22:23], 0x81
	v_cmp_gt_u64_e32 vcc, s[22:23], v[8:9]
	v_mov_b32_e32 v11, 0x7fc00000
	s_and_saveexec_b64 s[22:23], vcc
	s_cbranch_execz .LBB65_322
; %bb.319:
	s_mov_b64 s[26:27], 1
	s_mov_b64 s[24:25], 0
	v_mov_b32_e32 v47, 1.0
	v_mov_b32_e32 v11, v6
.LBB65_320:                             ; =>This Inner Loop Header: Depth=1
	s_flbit_i32_b32 s28, s27
	s_min_u32 s30, s28, 32
	s_lshl_b64 s[28:29], s[26:27], s30
	s_min_u32 s28, s28, 1
	s_or_b32 s28, s29, s28
	v_cvt_f32_u32_e32 v48, s28
	s_sub_i32 s30, 32, s30
	s_add_u32 s26, s26, 1
	s_addc_u32 s27, s27, 0
	v_ldexp_f32 v48, v48, s30
	v_cmp_eq_u64_e32 vcc, s[26:27], v[8:9]
	v_mul_f32_e32 v48, v47, v48
	s_or_b64 s[24:25], vcc, s[24:25]
	v_mov_b32_e32 v47, v11
	v_fma_f32 v11, v11, v6, -v48
	s_andn2_b64 exec, exec, s[24:25]
	s_cbranch_execnz .LBB65_320
; %bb.321:
	s_or_b64 exec, exec, s[24:25]
.LBB65_322:
	s_or_b64 exec, exec, s[22:23]
                                        ; implicit-def: $vgpr6
.LBB65_323:
	s_andn2_saveexec_b64 s[20:21], s[20:21]
; %bb.324:
	v_mov_b32_e32 v11, v6
; %bb.325:
	s_or_b64 exec, exec, s[20:21]
.LBB65_326:
	s_or_b64 exec, exec, s[14:15]
.LBB65_327:
	s_or_b64 exec, exec, s[10:11]
	v_cvt_f16_f32_e32 v6, v7
	v_mov_b32_e32 v8, 0
	v_cvt_f32_f16_e32 v6, v6
	v_cvt_i32_f32_e32 v6, v6
	v_ashrrev_i32_e32 v7, 31, v6
	v_cmp_lt_i64_e32 vcc, -1, v[6:7]
	s_and_saveexec_b64 s[10:11], vcc
	s_cbranch_execz .LBB65_339
; %bb.328:
	v_cmp_lt_i64_e32 vcc, 0, v[6:7]
	v_mov_b32_e32 v8, 0x3c00
	s_and_saveexec_b64 s[14:15], vcc
	s_cbranch_execz .LBB65_338
; %bb.329:
	v_lshrrev_b32_e32 v9, 16, v46
	v_cmp_ne_u64_e32 vcc, 1, v[6:7]
                                        ; implicit-def: $vgpr8
	s_and_saveexec_b64 s[20:21], vcc
	s_xor_b64 s[20:21], exec, s[20:21]
	s_cbranch_execz .LBB65_335
; %bb.330:
	s_mov_b64 s[22:23], 0x81
	v_cmp_gt_u64_e32 vcc, s[22:23], v[6:7]
	v_mov_b32_e32 v8, 0x7e00
	s_and_saveexec_b64 s[22:23], vcc
	s_cbranch_execz .LBB65_334
; %bb.331:
	v_cvt_f32_f16_e32 v8, v9
	s_mov_b64 s[26:27], 1
	s_mov_b64 s[24:25], 0
	v_mov_b32_e32 v9, 1.0
	v_mov_b32_e32 v46, v8
.LBB65_332:                             ; =>This Inner Loop Header: Depth=1
	s_flbit_i32_b32 s28, s27
	s_min_u32 s30, s28, 32
	s_lshl_b64 s[28:29], s[26:27], s30
	s_min_u32 s28, s28, 1
	s_or_b32 s28, s29, s28
	v_cvt_f32_u32_e32 v47, s28
	s_sub_i32 s30, 32, s30
	s_add_u32 s26, s26, 1
	s_addc_u32 s27, s27, 0
	v_ldexp_f32 v47, v47, s30
	v_cmp_eq_u64_e32 vcc, s[26:27], v[6:7]
	v_mul_f32_e32 v47, v9, v47
	s_or_b64 s[24:25], vcc, s[24:25]
	v_mov_b32_e32 v9, v46
	v_fma_f32 v46, v46, v8, -v47
	s_andn2_b64 exec, exec, s[24:25]
	s_cbranch_execnz .LBB65_332
; %bb.333:
	s_or_b64 exec, exec, s[24:25]
	v_cvt_f16_f32_e32 v8, v46
.LBB65_334:
	s_or_b64 exec, exec, s[22:23]
                                        ; implicit-def: $vgpr9
.LBB65_335:
	s_andn2_saveexec_b64 s[20:21], s[20:21]
; %bb.336:
	v_mov_b32_e32 v8, v9
; %bb.337:
	s_or_b64 exec, exec, s[20:21]
.LBB65_338:
	s_or_b64 exec, exec, s[14:15]
.LBB65_339:
	s_or_b64 exec, exec, s[10:11]
	s_waitcnt vmcnt(1)
	v_cvt_f16_f32_e32 v4, v4
	v_mov_b32_e32 v9, 0
	v_cvt_f32_f16_e32 v4, v4
	v_cvt_i32_f32_e32 v6, v4
	v_ashrrev_i32_e32 v7, 31, v6
	v_cmp_lt_i64_e32 vcc, -1, v[6:7]
	s_and_saveexec_b64 s[10:11], vcc
	s_cbranch_execz .LBB65_351
; %bb.340:
	v_cmp_lt_i64_e32 vcc, 0, v[6:7]
	v_mov_b32_e32 v9, 0x3c00
	s_and_saveexec_b64 s[14:15], vcc
	s_cbranch_execz .LBB65_350
; %bb.341:
	v_cmp_ne_u64_e32 vcc, 1, v[6:7]
                                        ; implicit-def: $vgpr9
	s_and_saveexec_b64 s[20:21], vcc
	s_xor_b64 s[20:21], exec, s[20:21]
	s_cbranch_execz .LBB65_347
; %bb.342:
	s_mov_b64 s[22:23], 0x81
	v_cmp_gt_u64_e32 vcc, s[22:23], v[6:7]
	v_mov_b32_e32 v9, 0x7e00
	s_and_saveexec_b64 s[22:23], vcc
	s_cbranch_execz .LBB65_346
; %bb.343:
	v_cvt_f32_f16_e32 v4, v45
	s_mov_b64 s[26:27], 1
	s_mov_b64 s[24:25], 0
	v_mov_b32_e32 v9, 1.0
	v_mov_b32_e32 v46, v4
.LBB65_344:                             ; =>This Inner Loop Header: Depth=1
	s_flbit_i32_b32 s28, s27
	s_min_u32 s30, s28, 32
	s_lshl_b64 s[28:29], s[26:27], s30
	s_min_u32 s28, s28, 1
	s_or_b32 s28, s29, s28
	v_cvt_f32_u32_e32 v47, s28
	s_sub_i32 s30, 32, s30
	s_add_u32 s26, s26, 1
	s_addc_u32 s27, s27, 0
	v_ldexp_f32 v47, v47, s30
	v_cmp_eq_u64_e32 vcc, s[26:27], v[6:7]
	v_mul_f32_e32 v47, v9, v47
	s_or_b64 s[24:25], vcc, s[24:25]
	v_mov_b32_e32 v9, v46
	v_fma_f32 v46, v46, v4, -v47
	s_andn2_b64 exec, exec, s[24:25]
	s_cbranch_execnz .LBB65_344
; %bb.345:
	s_or_b64 exec, exec, s[24:25]
	v_cvt_f16_f32_e32 v9, v46
.LBB65_346:
	s_or_b64 exec, exec, s[22:23]
.LBB65_347:
	s_andn2_saveexec_b64 s[20:21], s[20:21]
; %bb.348:
	v_mov_b32_e32 v9, v45
; %bb.349:
	s_or_b64 exec, exec, s[20:21]
.LBB65_350:
	s_or_b64 exec, exec, s[14:15]
.LBB65_351:
	s_or_b64 exec, exec, s[10:11]
	v_cvt_f16_f32_e32 v4, v5
	v_mov_b32_e32 v6, 0
	v_cvt_f32_f16_e32 v4, v4
	v_cvt_i32_f32_e32 v4, v4
	v_ashrrev_i32_e32 v5, 31, v4
	v_cmp_lt_i64_e32 vcc, -1, v[4:5]
	s_and_saveexec_b64 s[10:11], vcc
	s_cbranch_execz .LBB65_363
; %bb.352:
	v_cmp_lt_i64_e32 vcc, 0, v[4:5]
	v_mov_b32_e32 v6, 0x3c00
	s_and_saveexec_b64 s[14:15], vcc
	s_cbranch_execz .LBB65_362
; %bb.353:
	v_lshrrev_b32_e32 v7, 16, v45
	v_cmp_ne_u64_e32 vcc, 1, v[4:5]
                                        ; implicit-def: $vgpr6
	s_and_saveexec_b64 s[20:21], vcc
	s_xor_b64 s[20:21], exec, s[20:21]
	s_cbranch_execz .LBB65_359
; %bb.354:
	s_mov_b64 s[22:23], 0x81
	v_cmp_gt_u64_e32 vcc, s[22:23], v[4:5]
	v_mov_b32_e32 v6, 0x7e00
	s_and_saveexec_b64 s[22:23], vcc
	s_cbranch_execz .LBB65_358
; %bb.355:
	v_cvt_f32_f16_e32 v6, v7
	s_mov_b64 s[26:27], 1
	s_mov_b64 s[24:25], 0
	v_mov_b32_e32 v7, 1.0
	v_mov_b32_e32 v45, v6
.LBB65_356:                             ; =>This Inner Loop Header: Depth=1
	s_flbit_i32_b32 s28, s27
	s_min_u32 s30, s28, 32
	s_lshl_b64 s[28:29], s[26:27], s30
	s_min_u32 s28, s28, 1
	s_or_b32 s28, s29, s28
	v_cvt_f32_u32_e32 v46, s28
	s_sub_i32 s30, 32, s30
	s_add_u32 s26, s26, 1
	s_addc_u32 s27, s27, 0
	v_ldexp_f32 v46, v46, s30
	v_cmp_eq_u64_e32 vcc, s[26:27], v[4:5]
	v_mul_f32_e32 v46, v7, v46
	s_or_b64 s[24:25], vcc, s[24:25]
	v_mov_b32_e32 v7, v45
	v_fma_f32 v45, v45, v6, -v46
	s_andn2_b64 exec, exec, s[24:25]
	s_cbranch_execnz .LBB65_356
; %bb.357:
	s_or_b64 exec, exec, s[24:25]
	v_cvt_f16_f32_e32 v6, v45
.LBB65_358:
	s_or_b64 exec, exec, s[22:23]
                                        ; implicit-def: $vgpr7
.LBB65_359:
	s_andn2_saveexec_b64 s[20:21], s[20:21]
; %bb.360:
	v_mov_b32_e32 v6, v7
; %bb.361:
	s_or_b64 exec, exec, s[20:21]
.LBB65_362:
	s_or_b64 exec, exec, s[14:15]
.LBB65_363:
	s_or_b64 exec, exec, s[10:11]
	s_waitcnt vmcnt(0)
	v_cvt_f16_f32_e32 v2, v2
	v_mov_b32_e32 v7, 0
	v_cvt_f32_f16_e32 v2, v2
	v_cvt_i32_f32_e32 v4, v2
	v_ashrrev_i32_e32 v5, 31, v4
	v_cmp_lt_i64_e32 vcc, -1, v[4:5]
	s_and_saveexec_b64 s[10:11], vcc
	s_cbranch_execz .LBB65_375
; %bb.364:
	v_cmp_lt_i64_e32 vcc, 0, v[4:5]
	v_mov_b32_e32 v7, 0x3c00
	s_and_saveexec_b64 s[14:15], vcc
	s_cbranch_execz .LBB65_374
; %bb.365:
	v_cmp_ne_u64_e32 vcc, 1, v[4:5]
                                        ; implicit-def: $vgpr7
	s_and_saveexec_b64 s[20:21], vcc
	s_xor_b64 s[20:21], exec, s[20:21]
	s_cbranch_execz .LBB65_371
; %bb.366:
	s_mov_b64 s[22:23], 0x81
	v_cmp_gt_u64_e32 vcc, s[22:23], v[4:5]
	v_mov_b32_e32 v7, 0x7e00
	s_and_saveexec_b64 s[22:23], vcc
	s_cbranch_execz .LBB65_370
; %bb.367:
	v_cvt_f32_f16_e32 v2, v43
	s_mov_b64 s[26:27], 1
	s_mov_b64 s[24:25], 0
	v_mov_b32_e32 v7, 1.0
	v_mov_b32_e32 v45, v2
.LBB65_368:                             ; =>This Inner Loop Header: Depth=1
	s_flbit_i32_b32 s28, s27
	s_min_u32 s30, s28, 32
	s_lshl_b64 s[28:29], s[26:27], s30
	s_min_u32 s28, s28, 1
	s_or_b32 s28, s29, s28
	v_cvt_f32_u32_e32 v46, s28
	s_sub_i32 s30, 32, s30
	s_add_u32 s26, s26, 1
	s_addc_u32 s27, s27, 0
	v_ldexp_f32 v46, v46, s30
	v_cmp_eq_u64_e32 vcc, s[26:27], v[4:5]
	v_mul_f32_e32 v46, v7, v46
	s_or_b64 s[24:25], vcc, s[24:25]
	v_mov_b32_e32 v7, v45
	v_fma_f32 v45, v45, v2, -v46
	s_andn2_b64 exec, exec, s[24:25]
	s_cbranch_execnz .LBB65_368
; %bb.369:
	s_or_b64 exec, exec, s[24:25]
	v_cvt_f16_f32_e32 v7, v45
.LBB65_370:
	s_or_b64 exec, exec, s[22:23]
.LBB65_371:
	s_andn2_saveexec_b64 s[20:21], s[20:21]
; %bb.372:
	v_mov_b32_e32 v7, v43
; %bb.373:
	s_or_b64 exec, exec, s[20:21]
.LBB65_374:
	s_or_b64 exec, exec, s[14:15]
.LBB65_375:
	s_or_b64 exec, exec, s[10:11]
	v_cvt_f16_f32_e32 v2, v3
	v_mov_b32_e32 v4, 0
	v_cvt_f32_f16_e32 v2, v2
	v_cvt_i32_f32_e32 v2, v2
	v_ashrrev_i32_e32 v3, 31, v2
	v_cmp_lt_i64_e32 vcc, -1, v[2:3]
	s_and_saveexec_b64 s[10:11], vcc
	s_cbranch_execz .LBB65_387
; %bb.376:
	v_cmp_lt_i64_e32 vcc, 0, v[2:3]
	v_mov_b32_e32 v4, 0x3c00
	s_and_saveexec_b64 s[14:15], vcc
	s_cbranch_execz .LBB65_386
; %bb.377:
	v_lshrrev_b32_e32 v5, 16, v43
	v_cmp_ne_u64_e32 vcc, 1, v[2:3]
                                        ; implicit-def: $vgpr4
	s_and_saveexec_b64 s[20:21], vcc
	s_xor_b64 s[20:21], exec, s[20:21]
	s_cbranch_execz .LBB65_383
; %bb.378:
	s_mov_b64 s[22:23], 0x81
	v_cmp_gt_u64_e32 vcc, s[22:23], v[2:3]
	v_mov_b32_e32 v4, 0x7e00
	s_and_saveexec_b64 s[22:23], vcc
	s_cbranch_execz .LBB65_382
; %bb.379:
	v_cvt_f32_f16_e32 v4, v5
	s_mov_b64 s[26:27], 1
	s_mov_b64 s[24:25], 0
	v_mov_b32_e32 v5, 1.0
	v_mov_b32_e32 v43, v4
.LBB65_380:                             ; =>This Inner Loop Header: Depth=1
	s_flbit_i32_b32 s28, s27
	s_min_u32 s30, s28, 32
	s_lshl_b64 s[28:29], s[26:27], s30
	s_min_u32 s28, s28, 1
	s_or_b32 s28, s29, s28
	v_cvt_f32_u32_e32 v45, s28
	s_sub_i32 s30, 32, s30
	s_add_u32 s26, s26, 1
	s_addc_u32 s27, s27, 0
	v_ldexp_f32 v45, v45, s30
	v_cmp_eq_u64_e32 vcc, s[26:27], v[2:3]
	v_mul_f32_e32 v45, v5, v45
	s_or_b64 s[24:25], vcc, s[24:25]
	v_mov_b32_e32 v5, v43
	v_fma_f32 v43, v43, v4, -v45
	s_andn2_b64 exec, exec, s[24:25]
	s_cbranch_execnz .LBB65_380
; %bb.381:
	s_or_b64 exec, exec, s[24:25]
	v_cvt_f16_f32_e32 v4, v43
.LBB65_382:
	s_or_b64 exec, exec, s[22:23]
                                        ; implicit-def: $vgpr5
.LBB65_383:
	s_andn2_saveexec_b64 s[20:21], s[20:21]
; %bb.384:
	v_mov_b32_e32 v4, v5
; %bb.385:
	s_or_b64 exec, exec, s[20:21]
.LBB65_386:
	s_or_b64 exec, exec, s[14:15]
.LBB65_387:
	s_or_b64 exec, exec, s[10:11]
	v_cvt_f16_f32_e32 v2, v44
	v_cvt_f16_f32_e32 v3, v34
	;; [unrolled: 1-line block ×5, first 2 shown]
	v_pack_b32_f16 v2, v2, v3
	v_cvt_f16_f32_e32 v3, v33
	s_add_u32 s8, s16, s8
	s_addc_u32 s9, s17, s9
	v_cvt_f16_f32_e32 v31, v31
	v_cvt_f16_f32_e32 v28, v28
	v_mov_b32_e32 v5, s9
	v_add_co_u32_e32 v35, vcc, s8, v41
	global_store_dword v41, v2, s[8:9]
	v_pack_b32_f16 v2, v34, v32
	v_cvt_f16_f32_e32 v29, v29
	v_cvt_f16_f32_e32 v26, v26
	v_addc_co_u32_e32 v5, vcc, 0, v5, vcc
	global_store_dword v41, v2, s[8:9] offset:2048
	v_pack_b32_f16 v2, v3, v30
	s_movk_i32 s10, 0x1000
	global_store_dword v42, v2, s[8:9]
	v_add_co_u32_e32 v2, vcc, s10, v35
	v_cvt_f16_f32_e32 v27, v27
	v_cvt_f16_f32_e32 v24, v24
	v_pack_b32_f16 v28, v31, v28
	v_addc_co_u32_e32 v3, vcc, 0, v5, vcc
	v_cvt_f16_f32_e32 v25, v25
	v_cvt_f16_f32_e32 v22, v22
	global_store_dword v[2:3], v28, off offset:2048
	v_pack_b32_f16 v2, v29, v26
	s_movk_i32 s10, 0x2000
	global_store_dword v40, v2, s[8:9]
	v_add_co_u32_e32 v2, vcc, s10, v35
	v_cvt_f16_f32_e32 v23, v23
	v_cvt_f16_f32_e32 v20, v20
	v_pack_b32_f16 v24, v27, v24
	v_addc_co_u32_e32 v3, vcc, 0, v5, vcc
	v_cvt_f16_f32_e32 v21, v21
	v_cvt_f16_f32_e32 v18, v18
	global_store_dword v[2:3], v24, off offset:2048
	;; [unrolled: 11-line block ×3, first 2 shown]
	v_pack_b32_f16 v2, v21, v18
	s_movk_i32 s10, 0x4000
	global_store_dword v39, v2, s[8:9]
	v_add_co_u32_e32 v2, vcc, s10, v35
	v_cvt_f16_f32_e32 v15, v15
	v_cvt_f16_f32_e32 v12, v12
	v_pack_b32_f16 v16, v19, v16
	v_addc_co_u32_e32 v3, vcc, 0, v5, vcc
	global_store_dword v[2:3], v16, off offset:2048
	v_pack_b32_f16 v2, v17, v14
	s_movk_i32 s10, 0x5000
	global_store_dword v37, v2, s[8:9]
	v_add_co_u32_e32 v2, vcc, s10, v35
	v_pack_b32_f16 v12, v15, v12
	v_addc_co_u32_e32 v3, vcc, 0, v5, vcc
	v_cvt_f16_f32_e32 v13, v13
	v_cvt_f16_f32_e32 v10, v10
	global_store_dword v[2:3], v12, off offset:2048
	v_cvt_f16_f32_e32 v2, v11
	s_mov_b32 s10, 0x5040100
	v_pack_b32_f16 v3, v13, v10
	global_store_dword v36, v3, s[8:9]
	v_perm_b32 v8, v8, v2, s10
	v_add_co_u32_e32 v2, vcc, 0x6000, v35
	v_addc_co_u32_e32 v3, vcc, 0, v5, vcc
	global_store_dword v[2:3], v8, off offset:2048
	v_perm_b32 v2, v6, v9, s10
	global_store_dword v1, v2, s[8:9]
	v_add_co_u32_e32 v2, vcc, 0x7000, v35
	v_perm_b32 v1, v4, v7, s10
	v_addc_co_u32_e32 v3, vcc, 0, v5, vcc
	global_store_dword v[2:3], v1, off offset:2048
	s_branch .LBB65_2
.LBB65_388:
	s_load_dword s10, s[4:5], 0x24
	s_load_dwordx4 s[20:23], s[4:5], 0x28
	s_add_u32 s8, s4, 56
	s_addc_u32 s9, s5, 0
	v_mov_b32_e32 v31, v0
	s_waitcnt lgkmcnt(0)
	v_lshrrev_b16_e64 v8, 8, s10
	v_mov_b32_e32 v0, s16
	v_mov_b32_e32 v1, s17
	v_mov_b32_e32 v2, s18
	v_mov_b32_e32 v3, s19
	v_mov_b32_e32 v4, s6
	v_mov_b32_e32 v5, s7
	v_mov_b32_e32 v6, s13
	v_mov_b32_e32 v7, s10
	v_mov_b32_e32 v9, s20
	v_mov_b32_e32 v10, s21
	v_mov_b32_e32 v11, s22
	v_mov_b32_e32 v12, s23
	s_getpc_b64 s[4:5]
	s_add_u32 s4, s4, _ZN2at6native25elementwise_kernel_helperILb1ENS0_13BinaryFunctorIfffZZZNS0_12_GLOBAL__N_133hermite_polynomial_he_kernel_cudaERNS_18TensorIteratorBaseEENKUlvE_clEvENKUlvE0_clEvEUlffE_EENS0_6memory8policies11unroll_baseILi512ESt5arrayIPcLm3EE23TrivialOffsetCalculatorILi2EjESG_ILi1EjENSA_12LoadWithCastILi2EEENSA_13StoreWithCastILi1EEELi32ELi1EEEEEvT0_T1_@rel32@lo+4
	s_addc_u32 s5, s5, _ZN2at6native25elementwise_kernel_helperILb1ENS0_13BinaryFunctorIfffZZZNS0_12_GLOBAL__N_133hermite_polynomial_he_kernel_cudaERNS_18TensorIteratorBaseEENKUlvE_clEvENKUlvE0_clEvEUlffE_EENS0_6memory8policies11unroll_baseILi512ESt5arrayIPcLm3EE23TrivialOffsetCalculatorILi2EjESG_ILi1EjENSA_12LoadWithCastILi2EEENSA_13StoreWithCastILi1EEELi32ELi1EEEEEvT0_T1_@rel32@hi+12
	s_swappc_b64 s[30:31], s[4:5]
	s_endpgm
	.section	.rodata,"a",@progbits
	.p2align	6, 0x0
	.amdhsa_kernel _ZN2at6native39vectorized_templated_elementwise_kernelILi2ENS0_13BinaryFunctorIfffZZZNS0_12_GLOBAL__N_133hermite_polynomial_he_kernel_cudaERNS_18TensorIteratorBaseEENKUlvE_clEvENKUlvE0_clEvEUlffE_EESt5arrayIPcLm3EE23TrivialOffsetCalculatorILi2EjESD_ILi1EjENS0_6memory12LoadWithCastILi2EEENSG_13StoreWithCastILi1EEEN3c104HalfEJSM_fEEEviT0_T1_T2_T3_T4_T5_
		.amdhsa_group_segment_fixed_size 0
		.amdhsa_private_segment_fixed_size 288
		.amdhsa_kernarg_size 312
		.amdhsa_user_sgpr_count 8
		.amdhsa_user_sgpr_private_segment_buffer 1
		.amdhsa_user_sgpr_dispatch_ptr 0
		.amdhsa_user_sgpr_queue_ptr 0
		.amdhsa_user_sgpr_kernarg_segment_ptr 1
		.amdhsa_user_sgpr_dispatch_id 0
		.amdhsa_user_sgpr_flat_scratch_init 1
		.amdhsa_user_sgpr_kernarg_preload_length 0
		.amdhsa_user_sgpr_kernarg_preload_offset 0
		.amdhsa_user_sgpr_private_segment_size 0
		.amdhsa_uses_dynamic_stack 0
		.amdhsa_system_sgpr_private_segment_wavefront_offset 1
		.amdhsa_system_sgpr_workgroup_id_x 1
		.amdhsa_system_sgpr_workgroup_id_y 0
		.amdhsa_system_sgpr_workgroup_id_z 0
		.amdhsa_system_sgpr_workgroup_info 0
		.amdhsa_system_vgpr_workitem_id 0
		.amdhsa_next_free_vgpr 120
		.amdhsa_next_free_sgpr 98
		.amdhsa_accum_offset 120
		.amdhsa_reserve_vcc 1
		.amdhsa_reserve_flat_scratch 1
		.amdhsa_float_round_mode_32 0
		.amdhsa_float_round_mode_16_64 0
		.amdhsa_float_denorm_mode_32 3
		.amdhsa_float_denorm_mode_16_64 3
		.amdhsa_dx10_clamp 1
		.amdhsa_ieee_mode 1
		.amdhsa_fp16_overflow 0
		.amdhsa_tg_split 0
		.amdhsa_exception_fp_ieee_invalid_op 0
		.amdhsa_exception_fp_denorm_src 0
		.amdhsa_exception_fp_ieee_div_zero 0
		.amdhsa_exception_fp_ieee_overflow 0
		.amdhsa_exception_fp_ieee_underflow 0
		.amdhsa_exception_fp_ieee_inexact 0
		.amdhsa_exception_int_div_zero 0
	.end_amdhsa_kernel
	.section	.text._ZN2at6native39vectorized_templated_elementwise_kernelILi2ENS0_13BinaryFunctorIfffZZZNS0_12_GLOBAL__N_133hermite_polynomial_he_kernel_cudaERNS_18TensorIteratorBaseEENKUlvE_clEvENKUlvE0_clEvEUlffE_EESt5arrayIPcLm3EE23TrivialOffsetCalculatorILi2EjESD_ILi1EjENS0_6memory12LoadWithCastILi2EEENSG_13StoreWithCastILi1EEEN3c104HalfEJSM_fEEEviT0_T1_T2_T3_T4_T5_,"axG",@progbits,_ZN2at6native39vectorized_templated_elementwise_kernelILi2ENS0_13BinaryFunctorIfffZZZNS0_12_GLOBAL__N_133hermite_polynomial_he_kernel_cudaERNS_18TensorIteratorBaseEENKUlvE_clEvENKUlvE0_clEvEUlffE_EESt5arrayIPcLm3EE23TrivialOffsetCalculatorILi2EjESD_ILi1EjENS0_6memory12LoadWithCastILi2EEENSG_13StoreWithCastILi1EEEN3c104HalfEJSM_fEEEviT0_T1_T2_T3_T4_T5_,comdat
.Lfunc_end65:
	.size	_ZN2at6native39vectorized_templated_elementwise_kernelILi2ENS0_13BinaryFunctorIfffZZZNS0_12_GLOBAL__N_133hermite_polynomial_he_kernel_cudaERNS_18TensorIteratorBaseEENKUlvE_clEvENKUlvE0_clEvEUlffE_EESt5arrayIPcLm3EE23TrivialOffsetCalculatorILi2EjESD_ILi1EjENS0_6memory12LoadWithCastILi2EEENSG_13StoreWithCastILi1EEEN3c104HalfEJSM_fEEEviT0_T1_T2_T3_T4_T5_, .Lfunc_end65-_ZN2at6native39vectorized_templated_elementwise_kernelILi2ENS0_13BinaryFunctorIfffZZZNS0_12_GLOBAL__N_133hermite_polynomial_he_kernel_cudaERNS_18TensorIteratorBaseEENKUlvE_clEvENKUlvE0_clEvEUlffE_EESt5arrayIPcLm3EE23TrivialOffsetCalculatorILi2EjESD_ILi1EjENS0_6memory12LoadWithCastILi2EEENSG_13StoreWithCastILi1EEEN3c104HalfEJSM_fEEEviT0_T1_T2_T3_T4_T5_
                                        ; -- End function
	.section	.AMDGPU.csdata,"",@progbits
; Kernel info:
; codeLenInByte = 8380
; NumSgprs: 104
; NumVgprs: 120
; NumAgprs: 0
; TotalNumVgprs: 120
; ScratchSize: 288
; MemoryBound: 0
; FloatMode: 240
; IeeeMode: 1
; LDSByteSize: 0 bytes/workgroup (compile time only)
; SGPRBlocks: 12
; VGPRBlocks: 14
; NumSGPRsForWavesPerEU: 104
; NumVGPRsForWavesPerEU: 120
; AccumOffset: 120
; Occupancy: 4
; WaveLimiterHint : 0
; COMPUTE_PGM_RSRC2:SCRATCH_EN: 1
; COMPUTE_PGM_RSRC2:USER_SGPR: 8
; COMPUTE_PGM_RSRC2:TRAP_HANDLER: 0
; COMPUTE_PGM_RSRC2:TGID_X_EN: 1
; COMPUTE_PGM_RSRC2:TGID_Y_EN: 0
; COMPUTE_PGM_RSRC2:TGID_Z_EN: 0
; COMPUTE_PGM_RSRC2:TIDIG_COMP_CNT: 0
; COMPUTE_PGM_RSRC3_GFX90A:ACCUM_OFFSET: 29
; COMPUTE_PGM_RSRC3_GFX90A:TG_SPLIT: 0
	.section	.text._ZN2at6native32elementwise_kernel_manual_unrollILi128ELi4EZNS0_15gpu_kernel_implINS0_13BinaryFunctorIfffZZZNS0_12_GLOBAL__N_133hermite_polynomial_he_kernel_cudaERNS_18TensorIteratorBaseEENKUlvE_clEvENKUlvE0_clEvEUlffE_EEEEvS6_RKT_EUlibE_EEviT1_,"axG",@progbits,_ZN2at6native32elementwise_kernel_manual_unrollILi128ELi4EZNS0_15gpu_kernel_implINS0_13BinaryFunctorIfffZZZNS0_12_GLOBAL__N_133hermite_polynomial_he_kernel_cudaERNS_18TensorIteratorBaseEENKUlvE_clEvENKUlvE0_clEvEUlffE_EEEEvS6_RKT_EUlibE_EEviT1_,comdat
	.globl	_ZN2at6native32elementwise_kernel_manual_unrollILi128ELi4EZNS0_15gpu_kernel_implINS0_13BinaryFunctorIfffZZZNS0_12_GLOBAL__N_133hermite_polynomial_he_kernel_cudaERNS_18TensorIteratorBaseEENKUlvE_clEvENKUlvE0_clEvEUlffE_EEEEvS6_RKT_EUlibE_EEviT1_ ; -- Begin function _ZN2at6native32elementwise_kernel_manual_unrollILi128ELi4EZNS0_15gpu_kernel_implINS0_13BinaryFunctorIfffZZZNS0_12_GLOBAL__N_133hermite_polynomial_he_kernel_cudaERNS_18TensorIteratorBaseEENKUlvE_clEvENKUlvE0_clEvEUlffE_EEEEvS6_RKT_EUlibE_EEviT1_
	.p2align	8
	.type	_ZN2at6native32elementwise_kernel_manual_unrollILi128ELi4EZNS0_15gpu_kernel_implINS0_13BinaryFunctorIfffZZZNS0_12_GLOBAL__N_133hermite_polynomial_he_kernel_cudaERNS_18TensorIteratorBaseEENKUlvE_clEvENKUlvE0_clEvEUlffE_EEEEvS6_RKT_EUlibE_EEviT1_,@function
_ZN2at6native32elementwise_kernel_manual_unrollILi128ELi4EZNS0_15gpu_kernel_implINS0_13BinaryFunctorIfffZZZNS0_12_GLOBAL__N_133hermite_polynomial_he_kernel_cudaERNS_18TensorIteratorBaseEENKUlvE_clEvENKUlvE0_clEvEUlffE_EEEEvS6_RKT_EUlibE_EEviT1_: ; @_ZN2at6native32elementwise_kernel_manual_unrollILi128ELi4EZNS0_15gpu_kernel_implINS0_13BinaryFunctorIfffZZZNS0_12_GLOBAL__N_133hermite_polynomial_he_kernel_cudaERNS_18TensorIteratorBaseEENKUlvE_clEvENKUlvE0_clEvEUlffE_EEEEvS6_RKT_EUlibE_EEviT1_
; %bb.0:
	v_mov_b32_e32 v1, 0
	global_load_ushort v10, v1, s[4:5] offset:45
	global_load_sbyte v8, v1, s[4:5] offset:47
	s_load_dword s33, s[4:5], 0x0
	s_load_dwordx4 s[8:11], s[4:5], 0x8
	s_load_dwordx2 s[2:3], s[4:5], 0x18
	s_load_dwordx4 s[12:15], s[4:5], 0x20
	v_lshl_or_b32 v11, s6, 9, v0
	v_or_b32_e32 v0, 0x180, v11
	s_mov_b64 s[16:17], 0
	s_waitcnt lgkmcnt(0)
	v_cmp_le_i32_e32 vcc, s33, v0
	s_mov_b64 s[6:7], 0
	s_waitcnt vmcnt(1)
	v_lshrrev_b32_e32 v9, 8, v10
	s_and_saveexec_b64 s[0:1], vcc
	s_xor_b64 s[4:5], exec, s[0:1]
	s_cbranch_execz .LBB66_1592
; %bb.1:
	v_cmp_gt_i32_e32 vcc, s33, v11
	s_mov_b64 s[0:1], -1
	s_mov_b64 s[26:27], 0
	s_mov_b64 s[20:21], 0
	;; [unrolled: 1-line block ×3, first 2 shown]
	s_and_saveexec_b64 s[22:23], vcc
	s_cbranch_execz .LBB66_395
; %bb.2:
	v_mul_lo_u32 v0, v11, s13
	v_ashrrev_i32_e32 v1, 31, v0
	v_mov_b32_e32 v2, s11
	v_add_co_u32_e32 v0, vcc, s10, v0
	v_addc_co_u32_e32 v1, vcc, v2, v1, vcc
	v_mov_b32_e32 v2, 11
	v_cmp_lt_i16_sdwa s[0:1], v9, v2 src0_sel:BYTE_0 src1_sel:DWORD
	s_and_b64 vcc, exec, s[0:1]
	s_cbranch_vccnz .LBB66_9
; %bb.3:
	v_mov_b32_e32 v2, 25
	v_cmp_gt_i16_sdwa s[0:1], v9, v2 src0_sel:BYTE_0 src1_sel:DWORD
	s_and_b64 vcc, exec, s[0:1]
	s_cbranch_vccz .LBB66_18
; %bb.4:
	v_mov_b32_e32 v2, 28
	v_cmp_gt_i16_sdwa s[0:1], v9, v2 src0_sel:BYTE_0 src1_sel:DWORD
	s_and_b64 vcc, exec, s[0:1]
	s_cbranch_vccz .LBB66_40
	;; [unrolled: 5-line block ×4, first 2 shown]
; %bb.7:
	v_mov_b32_e32 v2, 46
	v_cmp_eq_u16_sdwa s[0:1], v9, v2 src0_sel:BYTE_0 src1_sel:DWORD
	s_and_b64 vcc, exec, s[0:1]
	s_cbranch_vccz .LBB66_49
; %bb.8:
	global_load_dword v2, v[0:1], off
	s_mov_b64 s[0:1], -1
	s_waitcnt vmcnt(0)
	v_lshlrev_b32_e32 v4, 16, v2
	s_branch .LBB66_51
.LBB66_9:
                                        ; implicit-def: $vgpr4
	s_mov_b64 s[0:1], 0
	s_cbranch_execnz .LBB66_117
.LBB66_10:
	s_andn2_b64 vcc, exec, s[0:1]
	s_cbranch_vccnz .LBB66_164
.LBB66_11:
	v_mul_lo_u32 v0, v11, s14
	v_ashrrev_i32_e32 v1, 31, v0
	v_mov_b32_e32 v2, s3
	v_add_co_u32_e32 v0, vcc, s2, v0
	v_addc_co_u32_e32 v1, vcc, v2, v1, vcc
	v_mov_b32_e32 v2, 11
	s_waitcnt vmcnt(0)
	v_cmp_lt_i16_sdwa s[0:1], v8, v2 src0_sel:BYTE_0 src1_sel:DWORD
	s_and_b64 vcc, exec, s[0:1]
	s_cbranch_vccnz .LBB66_19
; %bb.12:
	v_mov_b32_e32 v2, 25
	v_cmp_gt_i16_sdwa s[0:1], v8, v2 src0_sel:BYTE_0 src1_sel:DWORD
	s_and_b64 vcc, exec, s[0:1]
	s_cbranch_vccz .LBB66_41
; %bb.13:
	v_mov_b32_e32 v2, 28
	v_cmp_gt_i16_sdwa s[0:1], v8, v2 src0_sel:BYTE_0 src1_sel:DWORD
	s_and_b64 vcc, exec, s[0:1]
	s_cbranch_vccz .LBB66_44
	;; [unrolled: 5-line block ×4, first 2 shown]
; %bb.16:
	v_mov_b32_e32 v2, 46
	v_cmp_eq_u16_sdwa s[0:1], v8, v2 src0_sel:BYTE_0 src1_sel:DWORD
	s_mov_b64 s[6:7], 0
	s_and_b64 vcc, exec, s[0:1]
	s_cbranch_vccz .LBB66_165
; %bb.17:
	global_load_dword v2, v[0:1], off
	s_mov_b64 s[0:1], -1
	s_mov_b64 s[18:19], 0
	s_waitcnt vmcnt(0)
	v_lshlrev_b32_e32 v2, 16, v2
	s_branch .LBB66_167
.LBB66_18:
	s_mov_b64 s[0:1], 0
                                        ; implicit-def: $vgpr4
	s_cbranch_execnz .LBB66_82
	s_branch .LBB66_116
.LBB66_19:
	s_mov_b64 s[18:19], 0
                                        ; implicit-def: $vgpr2
	s_mov_b64 s[0:1], 0
	s_cbranch_execnz .LBB66_344
.LBB66_20:
	s_andn2_b64 vcc, exec, s[0:1]
	s_cbranch_vccnz .LBB66_392
.LBB66_21:
	s_waitcnt vmcnt(0)
	v_trunc_f32_e32 v0, v2
	s_mov_b32 s0, 0x2f800000
	v_mul_f32_e64 v1, |v0|, s0
	v_floor_f32_e32 v1, v1
	s_mov_b32 s0, 0xcf800000
	v_cvt_u32_f32_e32 v2, v1
	v_fma_f32 v1, v1, s0, |v0|
	v_cvt_u32_f32_e32 v1, v1
	v_ashrrev_i32_e32 v0, 31, v0
	v_xor_b32_e32 v3, v2, v0
	v_xor_b32_e32 v1, v1, v0
	v_sub_co_u32_e32 v2, vcc, v1, v0
	v_subb_co_u32_e32 v3, vcc, v3, v0, vcc
	v_cmp_lt_i64_e32 vcc, -1, v[2:3]
	v_mov_b32_e32 v0, 0
	s_and_saveexec_b64 s[0:1], vcc
	s_cbranch_execz .LBB66_33
; %bb.22:
	v_cmp_lt_i64_e32 vcc, 0, v[2:3]
	v_mov_b32_e32 v0, 1.0
	s_and_saveexec_b64 s[6:7], vcc
	s_cbranch_execz .LBB66_32
; %bb.23:
	v_cmp_ne_u64_e32 vcc, 1, v[2:3]
                                        ; implicit-def: $vgpr0
	s_and_saveexec_b64 s[24:25], vcc
	s_xor_b64 s[24:25], exec, s[24:25]
	s_cbranch_execz .LBB66_29
; %bb.24:
	s_mov_b64 s[28:29], 0x81
	v_cmp_gt_u64_e32 vcc, s[28:29], v[2:3]
	v_mov_b32_e32 v0, 0x7fc00000
	s_and_saveexec_b64 s[28:29], vcc
	s_cbranch_execz .LBB66_28
; %bb.25:
	s_mov_b64 s[34:35], 1
	s_mov_b64 s[30:31], 0
	v_mov_b32_e32 v1, 1.0
	v_mov_b32_e32 v0, v4
.LBB66_26:                              ; =>This Inner Loop Header: Depth=1
	s_flbit_i32_b32 s15, s35
	s_min_u32 s15, s15, 32
	s_lshl_b64 s[36:37], s[34:35], s15
	s_min_u32 s36, s36, 1
	s_or_b32 s36, s37, s36
	v_cvt_f32_u32_e32 v5, s36
	s_sub_i32 s15, 32, s15
	s_add_u32 s34, s34, 1
	s_addc_u32 s35, s35, 0
	v_ldexp_f32 v5, v5, s15
	v_cmp_eq_u64_e32 vcc, s[34:35], v[2:3]
	v_mul_f32_e32 v5, v1, v5
	s_or_b64 s[30:31], vcc, s[30:31]
	v_mov_b32_e32 v1, v0
	v_fma_f32 v0, v4, v0, -v5
	s_andn2_b64 exec, exec, s[30:31]
	s_cbranch_execnz .LBB66_26
; %bb.27:
	s_or_b64 exec, exec, s[30:31]
.LBB66_28:
	s_or_b64 exec, exec, s[28:29]
                                        ; implicit-def: $vgpr4
.LBB66_29:
	s_andn2_saveexec_b64 s[24:25], s[24:25]
; %bb.30:
	v_mov_b32_e32 v0, v4
; %bb.31:
	s_or_b64 exec, exec, s[24:25]
.LBB66_32:
	s_or_b64 exec, exec, s[6:7]
.LBB66_33:
	s_or_b64 exec, exec, s[0:1]
	v_mul_lo_u32 v1, v11, s12
	v_ashrrev_i32_e32 v3, 31, v1
	v_mov_b32_e32 v4, s9
	v_add_co_u32_e32 v2, vcc, s8, v1
	v_mov_b32_e32 v1, 11
	v_addc_co_u32_e32 v3, vcc, v4, v3, vcc
	v_cmp_lt_i16_sdwa s[0:1], v10, v1 src0_sel:BYTE_0 src1_sel:DWORD
	s_and_b64 vcc, exec, s[0:1]
	s_cbranch_vccnz .LBB66_42
; %bb.34:
	v_mov_b32_e32 v1, 25
	v_cmp_gt_i16_sdwa s[0:1], v10, v1 src0_sel:BYTE_0 src1_sel:DWORD
	s_and_b64 vcc, exec, s[0:1]
	s_cbranch_vccz .LBB66_45
; %bb.35:
	v_mov_b32_e32 v1, 28
	v_cmp_gt_i16_sdwa s[0:1], v10, v1 src0_sel:BYTE_0 src1_sel:DWORD
	s_and_b64 vcc, exec, s[0:1]
	s_cbranch_vccz .LBB66_48
	;; [unrolled: 5-line block ×4, first 2 shown]
; %bb.38:
	v_mov_b32_e32 v1, 46
	v_cmp_eq_u16_sdwa s[6:7], v10, v1 src0_sel:BYTE_0 src1_sel:DWORD
	s_mov_b64 s[24:25], 0
	s_mov_b64 s[0:1], -1
	s_and_b64 vcc, exec, s[6:7]
	s_mov_b64 s[6:7], 0
	s_cbranch_vccz .LBB66_171
; %bb.39:
	v_bfe_u32 v1, v0, 16, 1
	s_movk_i32 s0, 0x7fff
	v_add3_u32 v1, v0, v1, s0
	v_lshrrev_b32_e32 v1, 16, v1
	v_mov_b32_e32 v4, 0x7fc0
	v_cmp_o_f32_e32 vcc, v0, v0
	v_cndmask_b32_e32 v1, v4, v1, vcc
	global_store_dword v[2:3], v1, off
	s_mov_b64 s[6:7], -1
	s_mov_b64 s[0:1], 0
	s_branch .LBB66_171
.LBB66_40:
	s_mov_b64 s[6:7], -1
	s_mov_b64 s[0:1], 0
                                        ; implicit-def: $vgpr4
	s_branch .LBB66_63
.LBB66_41:
	s_mov_b64 s[6:7], -1
	s_mov_b64 s[18:19], 0
	s_mov_b64 s[0:1], 0
                                        ; implicit-def: $vgpr2
	s_branch .LBB66_308
.LBB66_42:
	s_mov_b64 s[24:25], -1
	s_mov_b64 s[0:1], 0
	s_mov_b64 s[6:7], 0
	s_branch .LBB66_240
.LBB66_43:
	s_mov_b64 s[6:7], -1
	s_mov_b64 s[0:1], 0
                                        ; implicit-def: $vgpr4
	s_branch .LBB66_58
.LBB66_44:
	s_mov_b64 s[6:7], -1
	s_mov_b64 s[18:19], 0
	s_mov_b64 s[0:1], 0
                                        ; implicit-def: $vgpr2
	s_branch .LBB66_289
.LBB66_45:
	s_mov_b64 s[24:25], -1
	s_mov_b64 s[0:1], 0
	s_mov_b64 s[6:7], 0
	s_branch .LBB66_198
.LBB66_46:
	s_mov_b64 s[6:7], -1
	s_branch .LBB66_50
.LBB66_47:
	s_mov_b64 s[6:7], -1
	s_mov_b64 s[18:19], 0
	s_mov_b64 s[0:1], 0
                                        ; implicit-def: $vgpr2
	s_branch .LBB66_284
.LBB66_48:
	s_mov_b64 s[24:25], -1
	s_mov_b64 s[0:1], 0
	s_mov_b64 s[6:7], 0
	s_branch .LBB66_181
.LBB66_49:
	s_mov_b64 s[20:21], -1
.LBB66_50:
	s_mov_b64 s[0:1], 0
                                        ; implicit-def: $vgpr4
.LBB66_51:
	s_and_b64 vcc, exec, s[6:7]
	s_cbranch_vccz .LBB66_57
; %bb.52:
	v_mov_b32_e32 v2, 44
	v_cmp_eq_u16_sdwa s[6:7], v9, v2 src0_sel:BYTE_0 src1_sel:DWORD
	s_and_b64 vcc, exec, s[6:7]
	s_cbranch_vccz .LBB66_56
; %bb.53:
	global_load_ubyte v2, v[0:1], off
	s_movk_i32 s6, 0xff
	v_mov_b32_e32 v3, 0x7f800001
	v_mov_b32_e32 v4, 0x400000
	s_mov_b64 s[0:1], -1
	s_mov_b64 s[20:21], 0
	s_waitcnt vmcnt(0)
	v_lshlrev_b32_e32 v5, 23, v2
	v_cmp_ne_u32_e32 vcc, s6, v2
	v_cndmask_b32_e32 v3, v3, v5, vcc
	v_cmp_ne_u32_e32 vcc, 0, v2
	v_cndmask_b32_e32 v4, v4, v3, vcc
	s_branch .LBB66_57
.LBB66_54:
	s_mov_b64 s[6:7], -1
	s_mov_b64 s[18:19], 0
	s_branch .LBB66_166
.LBB66_55:
	s_mov_b64 s[24:25], -1
	s_mov_b64 s[0:1], 0
	s_mov_b64 s[6:7], 0
	s_branch .LBB66_177
.LBB66_56:
	s_mov_b64 s[20:21], -1
                                        ; implicit-def: $vgpr4
.LBB66_57:
	s_mov_b64 s[6:7], 0
.LBB66_58:
	s_and_b64 vcc, exec, s[6:7]
	s_cbranch_vccz .LBB66_62
; %bb.59:
	v_mov_b32_e32 v2, 29
	v_cmp_eq_u16_sdwa s[6:7], v9, v2 src0_sel:BYTE_0 src1_sel:DWORD
	s_and_b64 vcc, exec, s[6:7]
	s_cbranch_vccz .LBB66_61
; %bb.60:
	global_load_dwordx2 v[2:3], v[0:1], off
	s_mov_b64 s[0:1], -1
	s_mov_b64 s[20:21], 0
	s_mov_b64 s[6:7], 0
	s_waitcnt vmcnt(0)
	v_ffbh_u32_e32 v4, v3
	v_min_u32_e32 v4, 32, v4
	v_lshlrev_b64 v[2:3], v4, v[2:3]
	v_min_u32_e32 v2, 1, v2
	v_or_b32_e32 v2, v3, v2
	v_cvt_f32_u32_e32 v2, v2
	v_sub_u32_e32 v3, 32, v4
	v_ldexp_f32 v4, v2, v3
	s_branch .LBB66_63
.LBB66_61:
	s_mov_b64 s[20:21], -1
                                        ; implicit-def: $vgpr4
.LBB66_62:
	s_mov_b64 s[6:7], 0
.LBB66_63:
	s_and_b64 vcc, exec, s[6:7]
	s_cbranch_vccz .LBB66_81
; %bb.64:
	v_mov_b32_e32 v2, 27
	v_cmp_lt_i16_sdwa s[0:1], v9, v2 src0_sel:BYTE_0 src1_sel:DWORD
	s_and_b64 vcc, exec, s[0:1]
	s_cbranch_vccnz .LBB66_67
; %bb.65:
	v_cmp_gt_i16_sdwa s[0:1], v9, v2 src0_sel:BYTE_0 src1_sel:DWORD
	s_and_b64 vcc, exec, s[0:1]
	s_cbranch_vccz .LBB66_68
; %bb.66:
	global_load_dword v2, v[0:1], off
	s_mov_b64 s[0:1], 0
	s_waitcnt vmcnt(0)
	v_cvt_f32_u32_e32 v4, v2
	s_branch .LBB66_69
.LBB66_67:
	s_mov_b64 s[0:1], -1
                                        ; implicit-def: $vgpr4
	s_branch .LBB66_72
.LBB66_68:
	s_mov_b64 s[0:1], -1
                                        ; implicit-def: $vgpr4
.LBB66_69:
	s_andn2_b64 vcc, exec, s[0:1]
	s_cbranch_vccnz .LBB66_71
; %bb.70:
	global_load_ushort v2, v[0:1], off
	s_waitcnt vmcnt(0)
	v_cvt_f32_u32_e32 v4, v2
.LBB66_71:
	s_mov_b64 s[0:1], 0
.LBB66_72:
	s_andn2_b64 vcc, exec, s[0:1]
	s_cbranch_vccnz .LBB66_80
; %bb.73:
	global_load_ubyte v2, v[0:1], off
	s_movk_i32 s0, 0x7f
                                        ; implicit-def: $sgpr15
	s_waitcnt vmcnt(0)
	v_cmp_lt_i16_e32 vcc, s0, v2
	s_mov_b64 s[0:1], 0
	s_and_saveexec_b64 s[6:7], vcc
	s_xor_b64 s[6:7], exec, s[6:7]
	s_cbranch_execz .LBB66_93
; %bb.74:
	s_movk_i32 s0, 0x80
	v_cmp_eq_u16_e32 vcc, s0, v2
	s_mov_b64 s[0:1], -1
                                        ; implicit-def: $sgpr15
	s_and_saveexec_b64 s[18:19], vcc
; %bb.75:
	s_mov_b32 s15, 0x7f800001
	s_xor_b64 s[0:1], exec, -1
; %bb.76:
	s_or_b64 exec, exec, s[18:19]
	s_and_b64 s[0:1], s[0:1], exec
	s_or_saveexec_b64 s[6:7], s[6:7]
	v_mov_b32_e32 v4, s15
	s_xor_b64 exec, exec, s[6:7]
	s_cbranch_execnz .LBB66_94
.LBB66_77:
	s_or_b64 exec, exec, s[6:7]
	s_and_saveexec_b64 s[6:7], s[0:1]
	s_cbranch_execz .LBB66_79
.LBB66_78:
	v_lshlrev_b32_e32 v3, 24, v2
	v_and_b32_e32 v2, 0xffff, v2
	v_and_b32_e32 v4, 7, v2
	v_ffbh_u32_e32 v6, v4
	v_min_u32_e32 v6, 32, v6
	v_subrev_u32_e32 v7, 28, v6
	v_bfe_u32 v5, v2, 3, 4
	v_lshlrev_b32_e32 v2, v7, v2
	v_sub_u32_e32 v6, 29, v6
	v_and_b32_e32 v2, 7, v2
	v_cmp_eq_u32_e32 vcc, 0, v5
	v_cndmask_b32_e32 v5, v5, v6, vcc
	v_cndmask_b32_e32 v2, v4, v2, vcc
	v_mov_b32_e32 v4, 0x3b800000
	v_lshlrev_b32_e32 v2, 20, v2
	v_and_b32_e32 v3, 0x80000000, v3
	v_lshl_add_u32 v4, v5, 23, v4
	v_or3_b32 v4, v3, v4, v2
.LBB66_79:
	s_or_b64 exec, exec, s[6:7]
.LBB66_80:
	s_mov_b64 s[0:1], -1
.LBB66_81:
	s_branch .LBB66_116
.LBB66_82:
	v_mov_b32_e32 v2, 22
	v_cmp_gt_i16_sdwa s[6:7], v9, v2 src0_sel:BYTE_0 src1_sel:DWORD
	s_and_b64 vcc, exec, s[6:7]
	s_cbranch_vccz .LBB66_92
; %bb.83:
	v_mov_b32_e32 v2, 24
	v_cmp_lt_i16_sdwa s[0:1], v9, v2 src0_sel:BYTE_0 src1_sel:DWORD
	s_and_b64 vcc, exec, s[0:1]
	s_cbranch_vccnz .LBB66_95
; %bb.84:
	v_cmp_gt_i16_sdwa s[0:1], v9, v2 src0_sel:BYTE_0 src1_sel:DWORD
	s_and_b64 vcc, exec, s[0:1]
	s_cbranch_vccz .LBB66_96
; %bb.85:
	global_load_ubyte v2, v[0:1], off
	s_movk_i32 s0, 0x7f
                                        ; implicit-def: $sgpr15
	s_waitcnt vmcnt(0)
	v_cmp_lt_i16_e32 vcc, s0, v2
	s_mov_b64 s[0:1], 0
	s_and_saveexec_b64 s[6:7], vcc
	s_xor_b64 s[6:7], exec, s[6:7]
	s_cbranch_execz .LBB66_108
; %bb.86:
	s_movk_i32 s0, 0x80
	v_cmp_eq_u16_e32 vcc, s0, v2
	s_mov_b64 s[0:1], -1
                                        ; implicit-def: $sgpr15
	s_and_saveexec_b64 s[18:19], vcc
; %bb.87:
	s_mov_b32 s15, 0x7f800001
	s_xor_b64 s[0:1], exec, -1
; %bb.88:
	s_or_b64 exec, exec, s[18:19]
	s_and_b64 s[0:1], s[0:1], exec
	s_or_saveexec_b64 s[6:7], s[6:7]
	v_mov_b32_e32 v4, s15
	s_xor_b64 exec, exec, s[6:7]
	s_cbranch_execnz .LBB66_109
.LBB66_89:
	s_or_b64 exec, exec, s[6:7]
	s_and_saveexec_b64 s[6:7], s[0:1]
	s_cbranch_execz .LBB66_91
.LBB66_90:
	v_lshlrev_b32_e32 v3, 24, v2
	v_and_b32_e32 v2, 0xffff, v2
	v_and_b32_e32 v4, 3, v2
	v_ffbh_u32_e32 v6, v4
	v_min_u32_e32 v6, 32, v6
	v_subrev_u32_e32 v7, 29, v6
	v_bfe_u32 v5, v2, 2, 5
	v_lshlrev_b32_e32 v2, v7, v2
	v_sub_u32_e32 v6, 30, v6
	v_and_b32_e32 v2, 3, v2
	v_cmp_eq_u32_e32 vcc, 0, v5
	v_cndmask_b32_e32 v5, v5, v6, vcc
	v_cndmask_b32_e32 v2, v4, v2, vcc
	v_mov_b32_e32 v4, 0x37800000
	v_lshlrev_b32_e32 v2, 21, v2
	v_and_b32_e32 v3, 0x80000000, v3
	v_lshl_add_u32 v4, v5, 23, v4
	v_or3_b32 v4, v3, v4, v2
.LBB66_91:
	s_or_b64 exec, exec, s[6:7]
	s_mov_b64 s[0:1], 0
	s_branch .LBB66_97
.LBB66_92:
	s_mov_b64 s[6:7], -1
                                        ; implicit-def: $vgpr4
	s_branch .LBB66_103
.LBB66_93:
	s_or_saveexec_b64 s[6:7], s[6:7]
	v_mov_b32_e32 v4, s15
	s_xor_b64 exec, exec, s[6:7]
	s_cbranch_execz .LBB66_77
.LBB66_94:
	v_cmp_ne_u16_e32 vcc, 0, v2
	s_andn2_b64 s[0:1], s[0:1], exec
	s_and_b64 s[18:19], vcc, exec
	v_mov_b32_e32 v4, 0
	s_or_b64 s[0:1], s[0:1], s[18:19]
	s_or_b64 exec, exec, s[6:7]
	s_and_saveexec_b64 s[6:7], s[0:1]
	s_cbranch_execnz .LBB66_78
	s_branch .LBB66_79
.LBB66_95:
	s_mov_b64 s[0:1], -1
                                        ; implicit-def: $vgpr4
	s_branch .LBB66_100
.LBB66_96:
	s_mov_b64 s[0:1], -1
                                        ; implicit-def: $vgpr4
.LBB66_97:
	s_and_b64 vcc, exec, s[0:1]
	s_cbranch_vccz .LBB66_99
; %bb.98:
	global_load_ubyte v2, v[0:1], off
	s_mov_b32 s0, 0x7f800000
	s_waitcnt vmcnt(0)
	v_lshlrev_b32_e32 v2, 24, v2
	v_and_b32_e32 v3, 0x7f000000, v2
	v_ffbh_u32_e32 v4, v3
	v_min_u32_e32 v4, 32, v4
	v_sub_u32_e64 v4, v4, 4 clamp
	v_lshlrev_b32_e32 v6, v4, v3
	v_lshlrev_b32_e32 v4, 23, v4
	v_lshrrev_b32_e32 v6, 4, v6
	v_add_u32_e32 v5, 0x1000000, v3
	v_sub_u32_e32 v4, v6, v4
	v_ashrrev_i32_e32 v5, 8, v5
	v_add_u32_e32 v4, 0x3c000000, v4
	v_and_or_b32 v4, v5, s0, v4
	v_cmp_ne_u32_e32 vcc, 0, v3
	v_cndmask_b32_e32 v3, 0, v4, vcc
	s_brev_b32 s0, 1
	v_and_or_b32 v4, v2, s0, v3
.LBB66_99:
	s_mov_b64 s[0:1], 0
.LBB66_100:
	s_andn2_b64 vcc, exec, s[0:1]
	s_cbranch_vccnz .LBB66_102
; %bb.101:
	global_load_ubyte v2, v[0:1], off
	s_movk_i32 s0, 0x7f00
	s_brev_b32 s1, 16
	s_waitcnt vmcnt(0)
	v_lshlrev_b16_e32 v3, 8, v2
	v_lshlrev_b32_e32 v2, 25, v2
	v_lshrrev_b32_e32 v4, 4, v2
	v_and_or_b32 v5, v3, s0, 0.5
	v_or_b32_e32 v4, 0x70000000, v4
	v_add_f32_e32 v5, -0.5, v5
	v_mul_f32_e32 v4, 0x7800000, v4
	v_cmp_gt_u32_e32 vcc, s1, v2
	v_bfe_i32 v3, v3, 0, 16
	v_cndmask_b32_e32 v2, v4, v5, vcc
	s_brev_b32 s0, 1
	v_and_or_b32 v4, v3, s0, v2
.LBB66_102:
	s_mov_b64 s[6:7], 0
	s_mov_b64 s[0:1], -1
.LBB66_103:
	s_andn2_b64 vcc, exec, s[6:7]
	s_cbranch_vccnz .LBB66_116
; %bb.104:
	v_mov_b32_e32 v2, 14
	v_cmp_gt_i16_sdwa s[6:7], v9, v2 src0_sel:BYTE_0 src1_sel:DWORD
	s_and_b64 vcc, exec, s[6:7]
	s_cbranch_vccz .LBB66_107
; %bb.105:
	v_mov_b32_e32 v2, 15
	v_cmp_eq_u16_sdwa s[6:7], v9, v2 src0_sel:BYTE_0 src1_sel:DWORD
	s_and_b64 vcc, exec, s[6:7]
	s_cbranch_vccz .LBB66_110
; %bb.106:
	global_load_ushort v2, v[0:1], off
	s_mov_b64 s[0:1], -1
	s_mov_b64 s[20:21], 0
	s_waitcnt vmcnt(0)
	v_lshlrev_b32_e32 v4, 16, v2
	s_branch .LBB66_111
.LBB66_107:
	s_mov_b64 s[6:7], -1
                                        ; implicit-def: $vgpr4
	s_branch .LBB66_112
.LBB66_108:
	s_or_saveexec_b64 s[6:7], s[6:7]
	v_mov_b32_e32 v4, s15
	s_xor_b64 exec, exec, s[6:7]
	s_cbranch_execz .LBB66_89
.LBB66_109:
	v_cmp_ne_u16_e32 vcc, 0, v2
	s_andn2_b64 s[0:1], s[0:1], exec
	s_and_b64 s[18:19], vcc, exec
	v_mov_b32_e32 v4, 0
	s_or_b64 s[0:1], s[0:1], s[18:19]
	s_or_b64 exec, exec, s[6:7]
	s_and_saveexec_b64 s[6:7], s[0:1]
	s_cbranch_execnz .LBB66_90
	s_branch .LBB66_91
.LBB66_110:
	s_mov_b64 s[20:21], -1
                                        ; implicit-def: $vgpr4
.LBB66_111:
	s_mov_b64 s[6:7], 0
.LBB66_112:
	s_and_b64 vcc, exec, s[6:7]
	s_cbranch_vccz .LBB66_116
; %bb.113:
	v_mov_b32_e32 v2, 11
	v_cmp_eq_u16_sdwa s[6:7], v9, v2 src0_sel:BYTE_0 src1_sel:DWORD
	s_and_b64 vcc, exec, s[6:7]
	s_cbranch_vccz .LBB66_115
; %bb.114:
	global_load_ubyte v2, v[0:1], off
	s_mov_b64 s[0:1], -1
	s_mov_b64 s[20:21], 0
	s_waitcnt vmcnt(0)
	v_cmp_ne_u16_e32 vcc, 0, v2
	v_cndmask_b32_e64 v4, 0, 1.0, vcc
	s_branch .LBB66_116
.LBB66_115:
	s_mov_b64 s[20:21], -1
                                        ; implicit-def: $vgpr4
.LBB66_116:
	s_branch .LBB66_10
.LBB66_117:
	v_mov_b32_e32 v2, 5
	v_cmp_lt_i16_sdwa s[0:1], v9, v2 src0_sel:BYTE_0 src1_sel:DWORD
	s_and_b64 vcc, exec, s[0:1]
	s_cbranch_vccnz .LBB66_122
; %bb.118:
	v_mov_b32_e32 v2, 8
	v_cmp_lt_i16_sdwa s[0:1], v9, v2 src0_sel:BYTE_0 src1_sel:DWORD
	s_and_b64 vcc, exec, s[0:1]
	s_cbranch_vccnz .LBB66_123
; %bb.119:
	;; [unrolled: 5-line block ×3, first 2 shown]
	v_cmp_gt_i16_sdwa s[0:1], v9, v2 src0_sel:BYTE_0 src1_sel:DWORD
	s_and_b64 vcc, exec, s[0:1]
	s_cbranch_vccz .LBB66_125
; %bb.121:
	global_load_dwordx2 v[2:3], v[0:1], off
	s_mov_b64 s[0:1], 0
	s_waitcnt vmcnt(0)
	v_cvt_f32_f64_e32 v4, v[2:3]
	s_branch .LBB66_126
.LBB66_122:
                                        ; implicit-def: $vgpr4
	s_branch .LBB66_144
.LBB66_123:
	s_mov_b64 s[0:1], -1
                                        ; implicit-def: $vgpr4
	s_branch .LBB66_132
.LBB66_124:
	s_mov_b64 s[0:1], -1
                                        ; implicit-def: $vgpr4
	s_branch .LBB66_129
.LBB66_125:
	s_mov_b64 s[0:1], -1
                                        ; implicit-def: $vgpr4
.LBB66_126:
	s_andn2_b64 vcc, exec, s[0:1]
	s_cbranch_vccnz .LBB66_128
; %bb.127:
	global_load_dword v4, v[0:1], off
.LBB66_128:
	s_mov_b64 s[0:1], 0
.LBB66_129:
	s_andn2_b64 vcc, exec, s[0:1]
	s_cbranch_vccnz .LBB66_131
; %bb.130:
	global_load_dword v2, v[0:1], off
	s_waitcnt vmcnt(0)
	v_cvt_f32_f16_e32 v4, v2
.LBB66_131:
	s_mov_b64 s[0:1], 0
.LBB66_132:
	s_andn2_b64 vcc, exec, s[0:1]
	s_cbranch_vccnz .LBB66_143
; %bb.133:
	v_mov_b32_e32 v2, 6
	v_cmp_lt_i16_sdwa s[0:1], v9, v2 src0_sel:BYTE_0 src1_sel:DWORD
	s_and_b64 vcc, exec, s[0:1]
	s_cbranch_vccnz .LBB66_136
; %bb.134:
	v_cmp_gt_i16_sdwa s[0:1], v9, v2 src0_sel:BYTE_0 src1_sel:DWORD
	s_and_b64 vcc, exec, s[0:1]
	s_cbranch_vccz .LBB66_137
; %bb.135:
	global_load_dwordx2 v[2:3], v[0:1], off
	s_mov_b64 s[0:1], 0
	s_waitcnt vmcnt(0)
	v_cvt_f32_f64_e32 v4, v[2:3]
	s_branch .LBB66_138
.LBB66_136:
	s_mov_b64 s[0:1], -1
                                        ; implicit-def: $vgpr4
	s_branch .LBB66_141
.LBB66_137:
	s_mov_b64 s[0:1], -1
                                        ; implicit-def: $vgpr4
.LBB66_138:
	s_andn2_b64 vcc, exec, s[0:1]
	s_cbranch_vccnz .LBB66_140
; %bb.139:
	global_load_dword v4, v[0:1], off
.LBB66_140:
	s_mov_b64 s[0:1], 0
.LBB66_141:
	s_andn2_b64 vcc, exec, s[0:1]
	s_cbranch_vccnz .LBB66_143
; %bb.142:
	global_load_ushort v2, v[0:1], off
	s_waitcnt vmcnt(0)
	v_cvt_f32_f16_e32 v4, v2
.LBB66_143:
	s_cbranch_execnz .LBB66_163
.LBB66_144:
	v_mov_b32_e32 v2, 2
	v_cmp_lt_i16_sdwa s[0:1], v9, v2 src0_sel:BYTE_0 src1_sel:DWORD
	s_and_b64 vcc, exec, s[0:1]
	s_cbranch_vccnz .LBB66_148
; %bb.145:
	v_mov_b32_e32 v2, 3
	v_cmp_lt_i16_sdwa s[0:1], v9, v2 src0_sel:BYTE_0 src1_sel:DWORD
	s_and_b64 vcc, exec, s[0:1]
	s_cbranch_vccnz .LBB66_149
; %bb.146:
	v_cmp_gt_i16_sdwa s[0:1], v9, v2 src0_sel:BYTE_0 src1_sel:DWORD
	s_and_b64 vcc, exec, s[0:1]
	s_cbranch_vccz .LBB66_150
; %bb.147:
	global_load_dwordx2 v[2:3], v[0:1], off
	s_mov_b64 s[0:1], 0
	s_waitcnt vmcnt(0)
	v_xor_b32_e32 v5, v2, v3
	v_ffbh_i32_e32 v4, v3
	v_ashrrev_i32_e32 v5, 31, v5
	v_add_u32_e32 v4, -1, v4
	v_add_u32_e32 v5, 32, v5
	v_min_u32_e32 v4, v4, v5
	v_lshlrev_b64 v[2:3], v4, v[2:3]
	v_min_u32_e32 v2, 1, v2
	v_or_b32_e32 v2, v3, v2
	v_cvt_f32_i32_e32 v2, v2
	v_sub_u32_e32 v3, 32, v4
	v_ldexp_f32 v4, v2, v3
	s_branch .LBB66_151
.LBB66_148:
	s_mov_b64 s[0:1], -1
                                        ; implicit-def: $vgpr4
	s_branch .LBB66_157
.LBB66_149:
	s_mov_b64 s[0:1], -1
                                        ; implicit-def: $vgpr4
	s_branch .LBB66_154
.LBB66_150:
	s_mov_b64 s[0:1], -1
                                        ; implicit-def: $vgpr4
.LBB66_151:
	s_andn2_b64 vcc, exec, s[0:1]
	s_cbranch_vccnz .LBB66_153
; %bb.152:
	global_load_dword v2, v[0:1], off
	s_waitcnt vmcnt(0)
	v_cvt_f32_i32_e32 v4, v2
.LBB66_153:
	s_mov_b64 s[0:1], 0
.LBB66_154:
	s_andn2_b64 vcc, exec, s[0:1]
	s_cbranch_vccnz .LBB66_156
; %bb.155:
	global_load_sshort v2, v[0:1], off
	s_waitcnt vmcnt(0)
	v_cvt_f32_i32_e32 v4, v2
.LBB66_156:
	s_mov_b64 s[0:1], 0
.LBB66_157:
	s_andn2_b64 vcc, exec, s[0:1]
	s_cbranch_vccnz .LBB66_163
; %bb.158:
	v_mov_b32_e32 v2, 0
	v_cmp_gt_i16_sdwa s[0:1], v9, v2 src0_sel:BYTE_0 src1_sel:DWORD
	s_and_b64 vcc, exec, s[0:1]
	s_cbranch_vccz .LBB66_160
; %bb.159:
	global_load_sbyte v2, v[0:1], off
	s_mov_b64 s[0:1], 0
	s_waitcnt vmcnt(0)
	v_cvt_f32_i32_e32 v4, v2
	s_branch .LBB66_161
.LBB66_160:
	s_mov_b64 s[0:1], -1
                                        ; implicit-def: $vgpr4
.LBB66_161:
	s_andn2_b64 vcc, exec, s[0:1]
	s_cbranch_vccnz .LBB66_163
; %bb.162:
	global_load_ubyte v0, v[0:1], off
	s_waitcnt vmcnt(0)
	v_cvt_f32_ubyte0_e32 v4, v0
.LBB66_163:
	s_branch .LBB66_11
.LBB66_164:
	s_mov_b64 s[0:1], 0
	s_mov_b64 s[18:19], 0
	s_branch .LBB66_393
.LBB66_165:
	s_mov_b64 s[18:19], -1
.LBB66_166:
	s_mov_b64 s[0:1], 0
                                        ; implicit-def: $vgpr2
.LBB66_167:
	s_and_b64 vcc, exec, s[6:7]
	s_cbranch_vccz .LBB66_283
; %bb.168:
	v_mov_b32_e32 v2, 44
	v_cmp_eq_u16_sdwa s[6:7], v8, v2 src0_sel:BYTE_0 src1_sel:DWORD
	s_and_b64 vcc, exec, s[6:7]
	s_cbranch_vccz .LBB66_282
; %bb.169:
	global_load_ubyte v2, v[0:1], off
	s_movk_i32 s6, 0xff
	v_mov_b32_e32 v3, 0x7f800001
	v_mov_b32_e32 v5, 0x400000
	s_mov_b64 s[0:1], -1
	s_mov_b64 s[18:19], 0
	s_waitcnt vmcnt(0)
	v_lshlrev_b32_e32 v6, 23, v2
	v_cmp_ne_u32_e32 vcc, s6, v2
	v_cndmask_b32_e32 v3, v3, v6, vcc
	v_cmp_ne_u32_e32 vcc, 0, v2
	v_cndmask_b32_e32 v2, v5, v3, vcc
	s_branch .LBB66_283
.LBB66_170:
	s_mov_b64 s[24:25], -1
	s_mov_b64 s[0:1], 0
	s_mov_b64 s[6:7], 0
.LBB66_171:
	s_and_b64 vcc, exec, s[24:25]
	s_cbranch_vccz .LBB66_176
; %bb.172:
	v_mov_b32_e32 v1, 44
	v_cmp_eq_u16_sdwa s[24:25], v10, v1 src0_sel:BYTE_0 src1_sel:DWORD
	s_mov_b64 s[0:1], -1
	s_and_b64 vcc, exec, s[24:25]
	s_cbranch_vccz .LBB66_176
; %bb.173:
	v_bfe_u32 v1, v0, 23, 8
	s_movk_i32 s0, 0xff
	v_cmp_ne_u32_e32 vcc, s0, v1
	v_mov_b32_e32 v4, 0xff
	s_and_saveexec_b64 s[6:7], vcc
; %bb.174:
	s_mov_b32 s0, 0x3fffff
	v_and_b32_e32 v5, 0x400000, v0
	v_and_or_b32 v1, v0, s0, v1
	v_cmp_ne_u32_e32 vcc, 0, v5
	v_cmp_ne_u32_e64 s[0:1], 0, v1
	s_and_b64 s[0:1], vcc, s[0:1]
	v_lshrrev_b32_e32 v4, 23, v0
	v_cndmask_b32_e64 v1, 0, 1, s[0:1]
	v_add_u32_e32 v4, v4, v1
; %bb.175:
	s_or_b64 exec, exec, s[6:7]
	s_mov_b64 s[6:7], -1
	s_mov_b64 s[0:1], 0
	global_store_byte v[2:3], v4, off
.LBB66_176:
	s_mov_b64 s[24:25], 0
.LBB66_177:
	s_and_b64 vcc, exec, s[24:25]
	s_cbranch_vccz .LBB66_180
; %bb.178:
	v_mov_b32_e32 v1, 29
	v_cmp_eq_u16_sdwa s[24:25], v10, v1 src0_sel:BYTE_0 src1_sel:DWORD
	s_mov_b64 s[0:1], -1
	s_and_b64 vcc, exec, s[24:25]
	s_cbranch_vccz .LBB66_180
; %bb.179:
	v_trunc_f32_e32 v1, v0
	v_mul_f32_e32 v4, 0x2f800000, v1
	v_floor_f32_e32 v4, v4
	v_fmac_f32_e32 v1, 0xcf800000, v4
	v_cvt_u32_f32_e32 v5, v4
	v_cvt_u32_f32_e32 v4, v1
	s_mov_b64 s[6:7], -1
	s_mov_b64 s[0:1], 0
	s_mov_b64 s[24:25], 0
	global_store_dwordx2 v[2:3], v[4:5], off
	s_branch .LBB66_181
.LBB66_180:
	s_mov_b64 s[24:25], 0
.LBB66_181:
	s_and_b64 vcc, exec, s[24:25]
	s_cbranch_vccz .LBB66_197
; %bb.182:
	v_mov_b32_e32 v1, 27
	v_cmp_lt_i16_sdwa s[24:25], v10, v1 src0_sel:BYTE_0 src1_sel:DWORD
	s_mov_b64 s[6:7], -1
	s_and_b64 vcc, exec, s[24:25]
	s_cbranch_vccnz .LBB66_188
; %bb.183:
	v_cmp_gt_i16_sdwa s[24:25], v10, v1 src0_sel:BYTE_0 src1_sel:DWORD
	v_cvt_u32_f32_e32 v1, v0
	s_and_b64 vcc, exec, s[24:25]
	s_cbranch_vccz .LBB66_185
; %bb.184:
	s_mov_b64 s[6:7], 0
	global_store_dword v[2:3], v1, off
.LBB66_185:
	s_andn2_b64 vcc, exec, s[6:7]
	s_cbranch_vccnz .LBB66_187
; %bb.186:
	global_store_short v[2:3], v1, off
.LBB66_187:
	s_mov_b64 s[6:7], 0
.LBB66_188:
	s_andn2_b64 vcc, exec, s[6:7]
	s_cbranch_vccnz .LBB66_196
; %bb.189:
	v_and_b32_e32 v1, 0x7fffffff, v0
	s_mov_b32 s6, 0x43800000
	v_cmp_gt_u32_e32 vcc, s6, v1
	v_mov_b32_e32 v4, 0x80
	s_and_saveexec_b64 s[6:7], vcc
	s_cbranch_execz .LBB66_195
; %bb.190:
	s_mov_b32 s15, 0x3bffffff
	v_cmp_lt_u32_e32 vcc, s15, v1
	s_mov_b64 s[24:25], 0
                                        ; implicit-def: $vgpr1
	s_and_saveexec_b64 s[28:29], vcc
	s_xor_b64 s[28:29], exec, s[28:29]
	s_cbranch_execz .LBB66_424
; %bb.191:
	v_bfe_u32 v1, v0, 20, 1
	s_mov_b32 s15, 0x487ffff
	v_add3_u32 v1, v0, v1, s15
	s_mov_b64 s[24:25], exec
	v_lshrrev_b32_e32 v1, 20, v1
	s_or_saveexec_b64 s[28:29], s[28:29]
                                        ; implicit-def: $sgpr15
	s_xor_b64 exec, exec, s[28:29]
	s_cbranch_execnz .LBB66_425
.LBB66_192:
	s_or_b64 exec, exec, s[28:29]
	v_mov_b32_e32 v4, s15
	s_and_saveexec_b64 s[28:29], s[24:25]
.LBB66_193:
	v_lshrrev_b32_e32 v4, 24, v0
	s_movk_i32 s15, 0x80
	v_and_or_b32 v4, v4, s15, v1
.LBB66_194:
	s_or_b64 exec, exec, s[28:29]
.LBB66_195:
	s_or_b64 exec, exec, s[6:7]
	global_store_byte v[2:3], v4, off
.LBB66_196:
	s_mov_b64 s[6:7], -1
.LBB66_197:
	s_mov_b64 s[24:25], 0
.LBB66_198:
	s_and_b64 vcc, exec, s[24:25]
	s_cbranch_vccz .LBB66_239
; %bb.199:
	v_mov_b32_e32 v1, 22
	v_cmp_gt_i16_sdwa s[28:29], v10, v1 src0_sel:BYTE_0 src1_sel:DWORD
	s_mov_b64 s[24:25], -1
	s_and_b64 vcc, exec, s[28:29]
	s_cbranch_vccz .LBB66_231
; %bb.200:
	v_mov_b32_e32 v1, 24
	v_cmp_lt_i16_sdwa s[24:25], v10, v1 src0_sel:BYTE_0 src1_sel:DWORD
	s_mov_b64 s[6:7], -1
	s_and_b64 vcc, exec, s[24:25]
	s_cbranch_vccnz .LBB66_220
; %bb.201:
	v_cmp_gt_i16_sdwa s[24:25], v10, v1 src0_sel:BYTE_0 src1_sel:DWORD
	s_and_b64 vcc, exec, s[24:25]
	s_cbranch_vccz .LBB66_209
; %bb.202:
	v_and_b32_e32 v1, 0x7fffffff, v0
	s_mov_b32 s6, 0x47800000
	v_cmp_gt_u32_e32 vcc, s6, v1
	v_mov_b32_e32 v4, 0x80
	s_and_saveexec_b64 s[6:7], vcc
	s_cbranch_execz .LBB66_208
; %bb.203:
	s_mov_b32 s15, 0x37ffffff
	v_cmp_lt_u32_e32 vcc, s15, v1
	s_mov_b64 s[24:25], 0
                                        ; implicit-def: $vgpr1
	s_and_saveexec_b64 s[28:29], vcc
	s_xor_b64 s[28:29], exec, s[28:29]
	s_cbranch_execz .LBB66_543
; %bb.204:
	v_bfe_u32 v1, v0, 21, 1
	s_mov_b32 s15, 0x88fffff
	v_add3_u32 v1, v0, v1, s15
	s_mov_b64 s[24:25], exec
	v_lshrrev_b32_e32 v1, 21, v1
	s_or_saveexec_b64 s[28:29], s[28:29]
                                        ; implicit-def: $sgpr15
	s_xor_b64 exec, exec, s[28:29]
	s_cbranch_execnz .LBB66_544
.LBB66_205:
	s_or_b64 exec, exec, s[28:29]
	v_mov_b32_e32 v4, s15
	s_and_saveexec_b64 s[28:29], s[24:25]
.LBB66_206:
	v_lshrrev_b32_e32 v4, 24, v0
	s_movk_i32 s15, 0x80
	v_and_or_b32 v4, v4, s15, v1
.LBB66_207:
	s_or_b64 exec, exec, s[28:29]
.LBB66_208:
	s_or_b64 exec, exec, s[6:7]
	s_mov_b64 s[6:7], 0
	global_store_byte v[2:3], v4, off
.LBB66_209:
	s_and_b64 vcc, exec, s[6:7]
	s_cbranch_vccz .LBB66_219
; %bb.210:
	v_and_b32_e32 v4, 0x7fffffff, v0
	s_mov_b32 s6, 0x43f00000
	v_cmp_gt_u32_e32 vcc, s6, v4
                                        ; implicit-def: $vgpr1
	s_and_saveexec_b64 s[6:7], vcc
	s_xor_b64 s[6:7], exec, s[6:7]
	s_cbranch_execz .LBB66_216
; %bb.211:
	s_mov_b32 s15, 0x3c7fffff
	v_cmp_lt_u32_e32 vcc, s15, v4
                                        ; implicit-def: $vgpr1
	s_and_saveexec_b64 s[24:25], vcc
	s_xor_b64 s[24:25], exec, s[24:25]
; %bb.212:
	v_bfe_u32 v1, v0, 20, 1
	s_mov_b32 s15, 0x407ffff
	v_add3_u32 v1, v0, v1, s15
	v_lshrrev_b32_e32 v4, 20, v1
	v_and_b32_e32 v1, 0xff00000, v1
	s_mov_b32 s15, 0x7f00000
	v_mov_b32_e32 v5, 0x7e
	v_cmp_ne_u32_e32 vcc, s15, v1
	v_cndmask_b32_e32 v1, v5, v4, vcc
; %bb.213:
	s_andn2_saveexec_b64 s[24:25], s[24:25]
; %bb.214:
	s_mov_b32 s15, 0x46800000
	v_add_f32_e64 v1, |v0|, s15
; %bb.215:
	s_or_b64 exec, exec, s[24:25]
                                        ; implicit-def: $vgpr4
.LBB66_216:
	s_andn2_saveexec_b64 s[6:7], s[6:7]
; %bb.217:
	s_mov_b32 s15, 0x7f800000
	v_mov_b32_e32 v1, 0x7e
	v_mov_b32_e32 v5, 0x7f
	v_cmp_lt_u32_e32 vcc, s15, v4
	v_cndmask_b32_e32 v1, v1, v5, vcc
; %bb.218:
	s_or_b64 exec, exec, s[6:7]
	v_lshrrev_b32_e32 v4, 24, v0
	s_movk_i32 s6, 0x80
	v_and_or_b32 v1, v4, s6, v1
	global_store_byte v[2:3], v1, off
.LBB66_219:
	s_mov_b64 s[6:7], 0
.LBB66_220:
	s_andn2_b64 vcc, exec, s[6:7]
	s_cbranch_vccnz .LBB66_230
; %bb.221:
	v_and_b32_e32 v4, 0x7fffffff, v0
	s_mov_b32 s6, 0x47800000
	v_cmp_gt_u32_e32 vcc, s6, v4
                                        ; implicit-def: $vgpr1
	s_and_saveexec_b64 s[6:7], vcc
	s_xor_b64 s[6:7], exec, s[6:7]
	s_cbranch_execz .LBB66_227
; %bb.222:
	s_mov_b32 s15, 0x387fffff
	v_cmp_lt_u32_e32 vcc, s15, v4
                                        ; implicit-def: $vgpr1
	s_and_saveexec_b64 s[24:25], vcc
	s_xor_b64 s[24:25], exec, s[24:25]
; %bb.223:
	v_bfe_u32 v1, v0, 21, 1
	s_mov_b32 s15, 0x80fffff
	v_add3_u32 v1, v0, v1, s15
	v_lshrrev_b32_e32 v1, 21, v1
; %bb.224:
	s_andn2_saveexec_b64 s[24:25], s[24:25]
; %bb.225:
	s_mov_b32 s15, 0x43000000
	v_add_f32_e64 v1, |v0|, s15
; %bb.226:
	s_or_b64 exec, exec, s[24:25]
                                        ; implicit-def: $vgpr4
.LBB66_227:
	s_andn2_saveexec_b64 s[6:7], s[6:7]
; %bb.228:
	s_mov_b32 s15, 0x7f800000
	v_mov_b32_e32 v1, 0x7c
	v_mov_b32_e32 v5, 0x7f
	v_cmp_lt_u32_e32 vcc, s15, v4
	v_cndmask_b32_e32 v1, v1, v5, vcc
; %bb.229:
	s_or_b64 exec, exec, s[6:7]
	v_lshrrev_b32_e32 v4, 24, v0
	s_movk_i32 s6, 0x80
	v_and_or_b32 v1, v4, s6, v1
	global_store_byte v[2:3], v1, off
.LBB66_230:
	s_mov_b64 s[24:25], 0
	s_mov_b64 s[6:7], -1
.LBB66_231:
	s_andn2_b64 vcc, exec, s[24:25]
	s_cbranch_vccnz .LBB66_239
; %bb.232:
	v_mov_b32_e32 v1, 14
	v_cmp_gt_i16_sdwa s[28:29], v10, v1 src0_sel:BYTE_0 src1_sel:DWORD
	s_mov_b64 s[24:25], -1
	s_and_b64 vcc, exec, s[28:29]
	s_cbranch_vccz .LBB66_236
; %bb.233:
	v_mov_b32_e32 v1, 15
	v_cmp_eq_u16_sdwa s[24:25], v10, v1 src0_sel:BYTE_0 src1_sel:DWORD
	s_mov_b64 s[0:1], -1
	s_and_b64 vcc, exec, s[24:25]
	s_cbranch_vccz .LBB66_235
; %bb.234:
	v_bfe_u32 v1, v0, 16, 1
	s_movk_i32 s0, 0x7fff
	v_add3_u32 v1, v0, v1, s0
	v_lshrrev_b32_e32 v1, 16, v1
	v_mov_b32_e32 v4, 0x7fc0
	v_cmp_o_f32_e32 vcc, v0, v0
	v_cndmask_b32_e32 v1, v4, v1, vcc
	global_store_short v[2:3], v1, off
	s_mov_b64 s[6:7], -1
	s_mov_b64 s[0:1], 0
.LBB66_235:
	s_mov_b64 s[24:25], 0
.LBB66_236:
	s_and_b64 vcc, exec, s[24:25]
	s_cbranch_vccz .LBB66_239
; %bb.237:
	v_mov_b32_e32 v1, 11
	v_cmp_eq_u16_sdwa s[24:25], v10, v1 src0_sel:BYTE_0 src1_sel:DWORD
	s_mov_b64 s[0:1], -1
	s_and_b64 vcc, exec, s[24:25]
	s_cbranch_vccz .LBB66_239
; %bb.238:
	v_cmp_neq_f32_e32 vcc, 0, v0
	v_cndmask_b32_e64 v1, 0, 1, vcc
	s_mov_b64 s[6:7], -1
	s_mov_b64 s[0:1], 0
	global_store_byte v[2:3], v1, off
.LBB66_239:
	s_mov_b64 s[24:25], 0
.LBB66_240:
	s_and_b64 vcc, exec, s[24:25]
	s_cbranch_vccz .LBB66_279
; %bb.241:
	v_mov_b32_e32 v1, 5
	v_cmp_lt_i16_sdwa s[24:25], v10, v1 src0_sel:BYTE_0 src1_sel:DWORD
	s_mov_b64 s[6:7], -1
	s_and_b64 vcc, exec, s[24:25]
	s_cbranch_vccnz .LBB66_262
; %bb.242:
	v_mov_b32_e32 v1, 8
	v_cmp_lt_i16_sdwa s[24:25], v10, v1 src0_sel:BYTE_0 src1_sel:DWORD
	s_and_b64 vcc, exec, s[24:25]
	s_cbranch_vccnz .LBB66_252
; %bb.243:
	v_mov_b32_e32 v1, 9
	v_cmp_lt_i16_sdwa s[24:25], v10, v1 src0_sel:BYTE_0 src1_sel:DWORD
	s_and_b64 vcc, exec, s[24:25]
	s_cbranch_vccnz .LBB66_249
; %bb.244:
	v_cmp_gt_i16_sdwa s[24:25], v10, v1 src0_sel:BYTE_0 src1_sel:DWORD
	s_and_b64 vcc, exec, s[24:25]
	s_cbranch_vccz .LBB66_246
; %bb.245:
	v_mov_b32_e32 v6, 0
	v_cvt_f64_f32_e32 v[4:5], v0
	v_mov_b32_e32 v7, v6
	global_store_dwordx4 v[2:3], v[4:7], off
	s_mov_b64 s[6:7], 0
.LBB66_246:
	s_andn2_b64 vcc, exec, s[6:7]
	s_cbranch_vccnz .LBB66_248
; %bb.247:
	v_mov_b32_e32 v1, 0
	global_store_dwordx2 v[2:3], v[0:1], off
.LBB66_248:
	s_mov_b64 s[6:7], 0
.LBB66_249:
	s_andn2_b64 vcc, exec, s[6:7]
	s_cbranch_vccnz .LBB66_251
; %bb.250:
	v_cvt_f16_f32_e32 v1, v0
	global_store_dword v[2:3], v1, off
.LBB66_251:
	s_mov_b64 s[6:7], 0
.LBB66_252:
	s_andn2_b64 vcc, exec, s[6:7]
	s_cbranch_vccnz .LBB66_261
; %bb.253:
	v_mov_b32_e32 v1, 6
	v_cmp_lt_i16_sdwa s[24:25], v10, v1 src0_sel:BYTE_0 src1_sel:DWORD
	s_mov_b64 s[6:7], -1
	s_and_b64 vcc, exec, s[24:25]
	s_cbranch_vccnz .LBB66_259
; %bb.254:
	v_cmp_gt_i16_sdwa s[24:25], v10, v1 src0_sel:BYTE_0 src1_sel:DWORD
	s_and_b64 vcc, exec, s[24:25]
	s_cbranch_vccz .LBB66_256
; %bb.255:
	v_cvt_f64_f32_e32 v[4:5], v0
	global_store_dwordx2 v[2:3], v[4:5], off
	s_mov_b64 s[6:7], 0
.LBB66_256:
	s_andn2_b64 vcc, exec, s[6:7]
	s_cbranch_vccnz .LBB66_258
; %bb.257:
	global_store_dword v[2:3], v0, off
.LBB66_258:
	s_mov_b64 s[6:7], 0
.LBB66_259:
	s_andn2_b64 vcc, exec, s[6:7]
	s_cbranch_vccnz .LBB66_261
; %bb.260:
	v_cvt_f16_f32_e32 v1, v0
	global_store_short v[2:3], v1, off
.LBB66_261:
	s_mov_b64 s[6:7], 0
.LBB66_262:
	s_andn2_b64 vcc, exec, s[6:7]
	s_cbranch_vccnz .LBB66_278
; %bb.263:
	v_mov_b32_e32 v1, 2
	v_cmp_lt_i16_sdwa s[24:25], v10, v1 src0_sel:BYTE_0 src1_sel:DWORD
	s_mov_b64 s[6:7], -1
	s_and_b64 vcc, exec, s[24:25]
	s_cbranch_vccnz .LBB66_273
; %bb.264:
	v_mov_b32_e32 v1, 3
	v_cmp_lt_i16_sdwa s[24:25], v10, v1 src0_sel:BYTE_0 src1_sel:DWORD
	s_and_b64 vcc, exec, s[24:25]
	s_cbranch_vccnz .LBB66_270
; %bb.265:
	v_cmp_gt_i16_sdwa s[24:25], v10, v1 src0_sel:BYTE_0 src1_sel:DWORD
	s_and_b64 vcc, exec, s[24:25]
	s_cbranch_vccz .LBB66_267
; %bb.266:
	v_trunc_f32_e32 v1, v0
	s_mov_b32 s6, 0x2f800000
	v_mul_f32_e64 v4, |v1|, s6
	v_floor_f32_e32 v4, v4
	s_mov_b32 s6, 0xcf800000
	v_cvt_u32_f32_e32 v5, v4
	v_fma_f32 v4, v4, s6, |v1|
	v_cvt_u32_f32_e32 v4, v4
	v_ashrrev_i32_e32 v1, 31, v1
	v_xor_b32_e32 v5, v5, v1
	s_mov_b64 s[6:7], 0
	v_xor_b32_e32 v4, v4, v1
	v_sub_co_u32_e32 v4, vcc, v4, v1
	v_subb_co_u32_e32 v5, vcc, v5, v1, vcc
	global_store_dwordx2 v[2:3], v[4:5], off
.LBB66_267:
	s_andn2_b64 vcc, exec, s[6:7]
	s_cbranch_vccnz .LBB66_269
; %bb.268:
	v_cvt_i32_f32_e32 v1, v0
	global_store_dword v[2:3], v1, off
.LBB66_269:
	s_mov_b64 s[6:7], 0
.LBB66_270:
	s_andn2_b64 vcc, exec, s[6:7]
	s_cbranch_vccnz .LBB66_272
; %bb.271:
	v_cvt_i32_f32_e32 v1, v0
	global_store_short v[2:3], v1, off
.LBB66_272:
	s_mov_b64 s[6:7], 0
.LBB66_273:
	s_andn2_b64 vcc, exec, s[6:7]
	s_cbranch_vccnz .LBB66_278
; %bb.274:
	v_mov_b32_e32 v1, 0
	v_cmp_gt_i16_sdwa s[24:25], v10, v1 src0_sel:BYTE_0 src1_sel:DWORD
	s_mov_b64 s[6:7], -1
	s_and_b64 vcc, exec, s[24:25]
	s_cbranch_vccz .LBB66_276
; %bb.275:
	v_cvt_i32_f32_e32 v1, v0
	s_mov_b64 s[6:7], 0
	global_store_byte v[2:3], v1, off
.LBB66_276:
	s_andn2_b64 vcc, exec, s[6:7]
	s_cbranch_vccnz .LBB66_278
; %bb.277:
	v_trunc_f32_e32 v0, v0
	s_mov_b32 s6, 0x2f800000
	v_mul_f32_e64 v1, |v0|, s6
	v_floor_f32_e32 v1, v1
	s_mov_b32 s6, 0xcf800000
	v_fma_f32 v1, v1, s6, |v0|
	v_cvt_u32_f32_e32 v1, v1
	v_ashrrev_i32_e32 v0, 31, v0
	v_xor_b32_e32 v1, v1, v0
	v_sub_u32_e32 v0, v1, v0
	global_store_byte v[2:3], v0, off
.LBB66_278:
	s_mov_b64 s[6:7], -1
.LBB66_279:
	s_andn2_b64 vcc, exec, s[6:7]
	s_cbranch_vccnz .LBB66_281
; %bb.280:
	v_add_u32_e32 v11, 0x80, v11
	s_mov_b64 s[24:25], -1
	s_branch .LBB66_394
.LBB66_281:
	s_mov_b64 s[24:25], 0
                                        ; implicit-def: $vgpr11
	s_branch .LBB66_394
.LBB66_282:
	s_mov_b64 s[18:19], -1
                                        ; implicit-def: $vgpr2
.LBB66_283:
	s_mov_b64 s[6:7], 0
.LBB66_284:
	s_and_b64 vcc, exec, s[6:7]
	s_cbranch_vccz .LBB66_288
; %bb.285:
	v_mov_b32_e32 v2, 29
	v_cmp_eq_u16_sdwa s[6:7], v8, v2 src0_sel:BYTE_0 src1_sel:DWORD
	s_and_b64 vcc, exec, s[6:7]
	s_cbranch_vccz .LBB66_287
; %bb.286:
	global_load_dwordx2 v[2:3], v[0:1], off
	s_mov_b64 s[0:1], -1
	s_mov_b64 s[18:19], 0
	s_mov_b64 s[6:7], 0
	s_waitcnt vmcnt(0)
	v_ffbh_u32_e32 v5, v3
	v_min_u32_e32 v5, 32, v5
	v_lshlrev_b64 v[2:3], v5, v[2:3]
	v_min_u32_e32 v2, 1, v2
	v_or_b32_e32 v2, v3, v2
	v_cvt_f32_u32_e32 v2, v2
	v_sub_u32_e32 v3, 32, v5
	v_ldexp_f32 v2, v2, v3
	s_branch .LBB66_289
.LBB66_287:
	s_mov_b64 s[18:19], -1
                                        ; implicit-def: $vgpr2
.LBB66_288:
	s_mov_b64 s[6:7], 0
.LBB66_289:
	s_and_b64 vcc, exec, s[6:7]
	s_cbranch_vccz .LBB66_307
; %bb.290:
	v_mov_b32_e32 v2, 27
	v_cmp_lt_i16_sdwa s[0:1], v8, v2 src0_sel:BYTE_0 src1_sel:DWORD
	s_and_b64 vcc, exec, s[0:1]
	s_cbranch_vccnz .LBB66_293
; %bb.291:
	v_cmp_gt_i16_sdwa s[0:1], v8, v2 src0_sel:BYTE_0 src1_sel:DWORD
	s_and_b64 vcc, exec, s[0:1]
	s_cbranch_vccz .LBB66_294
; %bb.292:
	global_load_dword v2, v[0:1], off
	s_mov_b64 s[0:1], 0
	s_waitcnt vmcnt(0)
	v_cvt_f32_u32_e32 v2, v2
	s_branch .LBB66_295
.LBB66_293:
	s_mov_b64 s[0:1], -1
                                        ; implicit-def: $vgpr2
	s_branch .LBB66_298
.LBB66_294:
	s_mov_b64 s[0:1], -1
                                        ; implicit-def: $vgpr2
.LBB66_295:
	s_andn2_b64 vcc, exec, s[0:1]
	s_cbranch_vccnz .LBB66_297
; %bb.296:
	global_load_ushort v2, v[0:1], off
	s_waitcnt vmcnt(0)
	v_cvt_f32_u32_e32 v2, v2
.LBB66_297:
	s_mov_b64 s[0:1], 0
.LBB66_298:
	s_andn2_b64 vcc, exec, s[0:1]
	s_cbranch_vccnz .LBB66_306
; %bb.299:
	global_load_ubyte v3, v[0:1], off
	s_movk_i32 s0, 0x7f
                                        ; implicit-def: $sgpr15
	s_waitcnt vmcnt(0)
	v_cmp_lt_i16_e32 vcc, s0, v3
	s_mov_b64 s[0:1], 0
	s_and_saveexec_b64 s[6:7], vcc
	s_xor_b64 s[6:7], exec, s[6:7]
	s_cbranch_execz .LBB66_320
; %bb.300:
	s_movk_i32 s0, 0x80
	v_cmp_eq_u16_e32 vcc, s0, v3
	s_mov_b64 s[0:1], -1
                                        ; implicit-def: $sgpr15
	s_and_saveexec_b64 s[24:25], vcc
; %bb.301:
	s_mov_b32 s15, 0x7f800001
	s_xor_b64 s[0:1], exec, -1
; %bb.302:
	s_or_b64 exec, exec, s[24:25]
	s_and_b64 s[0:1], s[0:1], exec
	s_or_saveexec_b64 s[6:7], s[6:7]
	v_mov_b32_e32 v2, s15
	s_xor_b64 exec, exec, s[6:7]
	s_cbranch_execnz .LBB66_321
.LBB66_303:
	s_or_b64 exec, exec, s[6:7]
	s_and_saveexec_b64 s[6:7], s[0:1]
	s_cbranch_execz .LBB66_305
.LBB66_304:
	v_lshlrev_b32_e32 v2, 24, v3
	v_and_b32_e32 v3, 0xffff, v3
	v_and_b32_e32 v5, 7, v3
	v_ffbh_u32_e32 v7, v5
	v_min_u32_e32 v7, 32, v7
	v_subrev_u32_e32 v12, 28, v7
	v_bfe_u32 v6, v3, 3, 4
	v_lshlrev_b32_e32 v3, v12, v3
	v_sub_u32_e32 v7, 29, v7
	v_and_b32_e32 v3, 7, v3
	v_cmp_eq_u32_e32 vcc, 0, v6
	v_cndmask_b32_e32 v6, v6, v7, vcc
	v_cndmask_b32_e32 v3, v5, v3, vcc
	v_mov_b32_e32 v5, 0x3b800000
	v_lshlrev_b32_e32 v3, 20, v3
	v_and_b32_e32 v2, 0x80000000, v2
	v_lshl_add_u32 v5, v6, 23, v5
	v_or3_b32 v2, v2, v5, v3
.LBB66_305:
	s_or_b64 exec, exec, s[6:7]
.LBB66_306:
	s_mov_b64 s[0:1], -1
.LBB66_307:
	s_mov_b64 s[6:7], 0
.LBB66_308:
	s_and_b64 vcc, exec, s[6:7]
	s_cbranch_vccz .LBB66_343
; %bb.309:
	v_mov_b32_e32 v2, 22
	v_cmp_gt_i16_sdwa s[6:7], v8, v2 src0_sel:BYTE_0 src1_sel:DWORD
	s_and_b64 vcc, exec, s[6:7]
	s_cbranch_vccz .LBB66_319
; %bb.310:
	v_mov_b32_e32 v2, 24
	v_cmp_lt_i16_sdwa s[0:1], v8, v2 src0_sel:BYTE_0 src1_sel:DWORD
	s_and_b64 vcc, exec, s[0:1]
	s_cbranch_vccnz .LBB66_322
; %bb.311:
	v_cmp_gt_i16_sdwa s[0:1], v8, v2 src0_sel:BYTE_0 src1_sel:DWORD
	s_and_b64 vcc, exec, s[0:1]
	s_cbranch_vccz .LBB66_323
; %bb.312:
	global_load_ubyte v3, v[0:1], off
	s_movk_i32 s0, 0x7f
                                        ; implicit-def: $sgpr15
	s_waitcnt vmcnt(0)
	v_cmp_lt_i16_e32 vcc, s0, v3
	s_mov_b64 s[0:1], 0
	s_and_saveexec_b64 s[6:7], vcc
	s_xor_b64 s[6:7], exec, s[6:7]
	s_cbranch_execz .LBB66_335
; %bb.313:
	s_movk_i32 s0, 0x80
	v_cmp_eq_u16_e32 vcc, s0, v3
	s_mov_b64 s[0:1], -1
                                        ; implicit-def: $sgpr15
	s_and_saveexec_b64 s[24:25], vcc
; %bb.314:
	s_mov_b32 s15, 0x7f800001
	s_xor_b64 s[0:1], exec, -1
; %bb.315:
	s_or_b64 exec, exec, s[24:25]
	s_and_b64 s[0:1], s[0:1], exec
	s_or_saveexec_b64 s[6:7], s[6:7]
	v_mov_b32_e32 v2, s15
	s_xor_b64 exec, exec, s[6:7]
	s_cbranch_execnz .LBB66_336
.LBB66_316:
	s_or_b64 exec, exec, s[6:7]
	s_and_saveexec_b64 s[6:7], s[0:1]
	s_cbranch_execz .LBB66_318
.LBB66_317:
	v_lshlrev_b32_e32 v2, 24, v3
	v_and_b32_e32 v3, 0xffff, v3
	v_and_b32_e32 v5, 3, v3
	v_ffbh_u32_e32 v7, v5
	v_min_u32_e32 v7, 32, v7
	v_subrev_u32_e32 v12, 29, v7
	v_bfe_u32 v6, v3, 2, 5
	v_lshlrev_b32_e32 v3, v12, v3
	v_sub_u32_e32 v7, 30, v7
	v_and_b32_e32 v3, 3, v3
	v_cmp_eq_u32_e32 vcc, 0, v6
	v_cndmask_b32_e32 v6, v6, v7, vcc
	v_cndmask_b32_e32 v3, v5, v3, vcc
	v_mov_b32_e32 v5, 0x37800000
	v_lshlrev_b32_e32 v3, 21, v3
	v_and_b32_e32 v2, 0x80000000, v2
	v_lshl_add_u32 v5, v6, 23, v5
	v_or3_b32 v2, v2, v5, v3
.LBB66_318:
	s_or_b64 exec, exec, s[6:7]
	s_mov_b64 s[0:1], 0
	s_branch .LBB66_324
.LBB66_319:
	s_mov_b64 s[6:7], -1
                                        ; implicit-def: $vgpr2
	s_branch .LBB66_330
.LBB66_320:
	s_or_saveexec_b64 s[6:7], s[6:7]
	v_mov_b32_e32 v2, s15
	s_xor_b64 exec, exec, s[6:7]
	s_cbranch_execz .LBB66_303
.LBB66_321:
	v_cmp_ne_u16_e32 vcc, 0, v3
	s_andn2_b64 s[0:1], s[0:1], exec
	s_and_b64 s[24:25], vcc, exec
	v_mov_b32_e32 v2, 0
	s_or_b64 s[0:1], s[0:1], s[24:25]
	s_or_b64 exec, exec, s[6:7]
	s_and_saveexec_b64 s[6:7], s[0:1]
	s_cbranch_execnz .LBB66_304
	s_branch .LBB66_305
.LBB66_322:
	s_mov_b64 s[0:1], -1
                                        ; implicit-def: $vgpr2
	s_branch .LBB66_327
.LBB66_323:
	s_mov_b64 s[0:1], -1
                                        ; implicit-def: $vgpr2
.LBB66_324:
	s_and_b64 vcc, exec, s[0:1]
	s_cbranch_vccz .LBB66_326
; %bb.325:
	global_load_ubyte v2, v[0:1], off
	s_mov_b32 s0, 0x7f800000
	s_waitcnt vmcnt(0)
	v_lshlrev_b32_e32 v2, 24, v2
	v_and_b32_e32 v3, 0x7f000000, v2
	v_ffbh_u32_e32 v5, v3
	v_min_u32_e32 v5, 32, v5
	v_sub_u32_e64 v5, v5, 4 clamp
	v_lshlrev_b32_e32 v7, v5, v3
	v_lshlrev_b32_e32 v5, 23, v5
	v_lshrrev_b32_e32 v7, 4, v7
	v_add_u32_e32 v6, 0x1000000, v3
	v_sub_u32_e32 v5, v7, v5
	v_ashrrev_i32_e32 v6, 8, v6
	v_add_u32_e32 v5, 0x3c000000, v5
	v_and_or_b32 v5, v6, s0, v5
	v_cmp_ne_u32_e32 vcc, 0, v3
	v_cndmask_b32_e32 v3, 0, v5, vcc
	s_brev_b32 s0, 1
	v_and_or_b32 v2, v2, s0, v3
.LBB66_326:
	s_mov_b64 s[0:1], 0
.LBB66_327:
	s_andn2_b64 vcc, exec, s[0:1]
	s_cbranch_vccnz .LBB66_329
; %bb.328:
	global_load_ubyte v2, v[0:1], off
	s_movk_i32 s0, 0x7f00
	s_brev_b32 s1, 16
	s_waitcnt vmcnt(0)
	v_lshlrev_b16_e32 v3, 8, v2
	v_lshlrev_b32_e32 v2, 25, v2
	v_lshrrev_b32_e32 v5, 4, v2
	v_and_or_b32 v6, v3, s0, 0.5
	v_or_b32_e32 v5, 0x70000000, v5
	v_add_f32_e32 v6, -0.5, v6
	v_mul_f32_e32 v5, 0x7800000, v5
	v_cmp_gt_u32_e32 vcc, s1, v2
	v_bfe_i32 v3, v3, 0, 16
	v_cndmask_b32_e32 v2, v5, v6, vcc
	s_brev_b32 s0, 1
	v_and_or_b32 v2, v3, s0, v2
.LBB66_329:
	s_mov_b64 s[6:7], 0
	s_mov_b64 s[0:1], -1
.LBB66_330:
	s_andn2_b64 vcc, exec, s[6:7]
	s_cbranch_vccnz .LBB66_343
; %bb.331:
	v_mov_b32_e32 v2, 14
	v_cmp_gt_i16_sdwa s[6:7], v8, v2 src0_sel:BYTE_0 src1_sel:DWORD
	s_and_b64 vcc, exec, s[6:7]
	s_cbranch_vccz .LBB66_334
; %bb.332:
	v_mov_b32_e32 v2, 15
	v_cmp_eq_u16_sdwa s[6:7], v8, v2 src0_sel:BYTE_0 src1_sel:DWORD
	s_and_b64 vcc, exec, s[6:7]
	s_cbranch_vccz .LBB66_337
; %bb.333:
	global_load_ushort v2, v[0:1], off
	s_mov_b64 s[0:1], -1
	s_mov_b64 s[18:19], 0
	s_waitcnt vmcnt(0)
	v_lshlrev_b32_e32 v2, 16, v2
	s_branch .LBB66_338
.LBB66_334:
	s_mov_b64 s[6:7], -1
                                        ; implicit-def: $vgpr2
	s_branch .LBB66_339
.LBB66_335:
	s_or_saveexec_b64 s[6:7], s[6:7]
	v_mov_b32_e32 v2, s15
	s_xor_b64 exec, exec, s[6:7]
	s_cbranch_execz .LBB66_316
.LBB66_336:
	v_cmp_ne_u16_e32 vcc, 0, v3
	s_andn2_b64 s[0:1], s[0:1], exec
	s_and_b64 s[24:25], vcc, exec
	v_mov_b32_e32 v2, 0
	s_or_b64 s[0:1], s[0:1], s[24:25]
	s_or_b64 exec, exec, s[6:7]
	s_and_saveexec_b64 s[6:7], s[0:1]
	s_cbranch_execnz .LBB66_317
	s_branch .LBB66_318
.LBB66_337:
	s_mov_b64 s[18:19], -1
                                        ; implicit-def: $vgpr2
.LBB66_338:
	s_mov_b64 s[6:7], 0
.LBB66_339:
	s_and_b64 vcc, exec, s[6:7]
	s_cbranch_vccz .LBB66_343
; %bb.340:
	v_mov_b32_e32 v2, 11
	v_cmp_eq_u16_sdwa s[6:7], v8, v2 src0_sel:BYTE_0 src1_sel:DWORD
	s_and_b64 vcc, exec, s[6:7]
	s_cbranch_vccz .LBB66_342
; %bb.341:
	global_load_ubyte v2, v[0:1], off
	s_mov_b64 s[0:1], -1
	s_mov_b64 s[18:19], 0
	s_waitcnt vmcnt(0)
	v_cmp_ne_u16_e32 vcc, 0, v2
	v_cndmask_b32_e64 v2, 0, 1.0, vcc
	s_branch .LBB66_343
.LBB66_342:
	s_mov_b64 s[18:19], -1
                                        ; implicit-def: $vgpr2
.LBB66_343:
	s_branch .LBB66_20
.LBB66_344:
	v_mov_b32_e32 v2, 5
	v_cmp_lt_i16_sdwa s[0:1], v8, v2 src0_sel:BYTE_0 src1_sel:DWORD
	s_and_b64 vcc, exec, s[0:1]
	s_cbranch_vccnz .LBB66_349
; %bb.345:
	v_mov_b32_e32 v2, 8
	v_cmp_lt_i16_sdwa s[0:1], v8, v2 src0_sel:BYTE_0 src1_sel:DWORD
	s_and_b64 vcc, exec, s[0:1]
	s_cbranch_vccnz .LBB66_350
; %bb.346:
	;; [unrolled: 5-line block ×3, first 2 shown]
	v_cmp_gt_i16_sdwa s[0:1], v8, v2 src0_sel:BYTE_0 src1_sel:DWORD
	s_and_b64 vcc, exec, s[0:1]
	s_cbranch_vccz .LBB66_352
; %bb.348:
	global_load_dwordx2 v[2:3], v[0:1], off
	s_mov_b64 s[0:1], 0
	s_waitcnt vmcnt(0)
	v_cvt_f32_f64_e32 v2, v[2:3]
	s_branch .LBB66_353
.LBB66_349:
	s_mov_b64 s[0:1], -1
                                        ; implicit-def: $vgpr2
	s_branch .LBB66_371
.LBB66_350:
	s_mov_b64 s[0:1], -1
                                        ; implicit-def: $vgpr2
	s_branch .LBB66_359
.LBB66_351:
	s_mov_b64 s[0:1], -1
                                        ; implicit-def: $vgpr2
	s_branch .LBB66_356
.LBB66_352:
	s_mov_b64 s[0:1], -1
                                        ; implicit-def: $vgpr2
.LBB66_353:
	s_andn2_b64 vcc, exec, s[0:1]
	s_cbranch_vccnz .LBB66_355
; %bb.354:
	global_load_dword v2, v[0:1], off
.LBB66_355:
	s_mov_b64 s[0:1], 0
.LBB66_356:
	s_andn2_b64 vcc, exec, s[0:1]
	s_cbranch_vccnz .LBB66_358
; %bb.357:
	global_load_dword v2, v[0:1], off
	s_waitcnt vmcnt(0)
	v_cvt_f32_f16_e32 v2, v2
.LBB66_358:
	s_mov_b64 s[0:1], 0
.LBB66_359:
	s_andn2_b64 vcc, exec, s[0:1]
	s_cbranch_vccnz .LBB66_370
; %bb.360:
	s_waitcnt vmcnt(0)
	v_mov_b32_e32 v2, 6
	v_cmp_lt_i16_sdwa s[0:1], v8, v2 src0_sel:BYTE_0 src1_sel:DWORD
	s_and_b64 vcc, exec, s[0:1]
	s_cbranch_vccnz .LBB66_363
; %bb.361:
	v_cmp_gt_i16_sdwa s[0:1], v8, v2 src0_sel:BYTE_0 src1_sel:DWORD
	s_and_b64 vcc, exec, s[0:1]
	s_cbranch_vccz .LBB66_364
; %bb.362:
	global_load_dwordx2 v[2:3], v[0:1], off
	s_mov_b64 s[0:1], 0
	s_waitcnt vmcnt(0)
	v_cvt_f32_f64_e32 v2, v[2:3]
	s_branch .LBB66_365
.LBB66_363:
	s_mov_b64 s[0:1], -1
                                        ; implicit-def: $vgpr2
	s_branch .LBB66_368
.LBB66_364:
	s_mov_b64 s[0:1], -1
                                        ; implicit-def: $vgpr2
.LBB66_365:
	s_andn2_b64 vcc, exec, s[0:1]
	s_cbranch_vccnz .LBB66_367
; %bb.366:
	global_load_dword v2, v[0:1], off
.LBB66_367:
	s_mov_b64 s[0:1], 0
.LBB66_368:
	s_andn2_b64 vcc, exec, s[0:1]
	s_cbranch_vccnz .LBB66_370
; %bb.369:
	global_load_ushort v2, v[0:1], off
	s_waitcnt vmcnt(0)
	v_cvt_f32_f16_e32 v2, v2
.LBB66_370:
	s_mov_b64 s[0:1], 0
.LBB66_371:
	s_andn2_b64 vcc, exec, s[0:1]
	s_cbranch_vccnz .LBB66_391
; %bb.372:
	s_waitcnt vmcnt(0)
	v_mov_b32_e32 v2, 2
	v_cmp_lt_i16_sdwa s[0:1], v8, v2 src0_sel:BYTE_0 src1_sel:DWORD
	s_and_b64 vcc, exec, s[0:1]
	s_cbranch_vccnz .LBB66_376
; %bb.373:
	v_mov_b32_e32 v2, 3
	v_cmp_lt_i16_sdwa s[0:1], v8, v2 src0_sel:BYTE_0 src1_sel:DWORD
	s_and_b64 vcc, exec, s[0:1]
	s_cbranch_vccnz .LBB66_377
; %bb.374:
	v_cmp_gt_i16_sdwa s[0:1], v8, v2 src0_sel:BYTE_0 src1_sel:DWORD
	s_and_b64 vcc, exec, s[0:1]
	s_cbranch_vccz .LBB66_378
; %bb.375:
	global_load_dwordx2 v[2:3], v[0:1], off
	s_mov_b64 s[0:1], 0
	s_waitcnt vmcnt(0)
	v_xor_b32_e32 v6, v2, v3
	v_ffbh_i32_e32 v5, v3
	v_ashrrev_i32_e32 v6, 31, v6
	v_add_u32_e32 v5, -1, v5
	v_add_u32_e32 v6, 32, v6
	v_min_u32_e32 v5, v5, v6
	v_lshlrev_b64 v[2:3], v5, v[2:3]
	v_min_u32_e32 v2, 1, v2
	v_or_b32_e32 v2, v3, v2
	v_cvt_f32_i32_e32 v2, v2
	v_sub_u32_e32 v3, 32, v5
	v_ldexp_f32 v2, v2, v3
	s_branch .LBB66_379
.LBB66_376:
	s_mov_b64 s[0:1], -1
                                        ; implicit-def: $vgpr2
	s_branch .LBB66_385
.LBB66_377:
	s_mov_b64 s[0:1], -1
                                        ; implicit-def: $vgpr2
	s_branch .LBB66_382
.LBB66_378:
	s_mov_b64 s[0:1], -1
                                        ; implicit-def: $vgpr2
.LBB66_379:
	s_andn2_b64 vcc, exec, s[0:1]
	s_cbranch_vccnz .LBB66_381
; %bb.380:
	global_load_dword v2, v[0:1], off
	s_waitcnt vmcnt(0)
	v_cvt_f32_i32_e32 v2, v2
.LBB66_381:
	s_mov_b64 s[0:1], 0
.LBB66_382:
	s_andn2_b64 vcc, exec, s[0:1]
	s_cbranch_vccnz .LBB66_384
; %bb.383:
	global_load_sshort v2, v[0:1], off
	s_waitcnt vmcnt(0)
	v_cvt_f32_i32_e32 v2, v2
.LBB66_384:
	s_mov_b64 s[0:1], 0
.LBB66_385:
	s_andn2_b64 vcc, exec, s[0:1]
	s_cbranch_vccnz .LBB66_391
; %bb.386:
	v_mov_b32_e32 v2, 0
	v_cmp_gt_i16_sdwa s[0:1], v8, v2 src0_sel:BYTE_0 src1_sel:DWORD
	s_and_b64 vcc, exec, s[0:1]
	s_cbranch_vccz .LBB66_388
; %bb.387:
	global_load_sbyte v2, v[0:1], off
	s_mov_b64 s[0:1], 0
	s_waitcnt vmcnt(0)
	v_cvt_f32_i32_e32 v2, v2
	s_branch .LBB66_389
.LBB66_388:
	s_mov_b64 s[0:1], -1
                                        ; implicit-def: $vgpr2
.LBB66_389:
	s_andn2_b64 vcc, exec, s[0:1]
	s_cbranch_vccnz .LBB66_391
; %bb.390:
	global_load_ubyte v0, v[0:1], off
	s_waitcnt vmcnt(0)
	v_cvt_f32_ubyte0_e32 v2, v0
.LBB66_391:
	s_branch .LBB66_21
.LBB66_392:
	s_mov_b64 s[0:1], 0
.LBB66_393:
                                        ; implicit-def: $vgpr11
	s_mov_b64 s[24:25], 0
.LBB66_394:
	s_and_b64 s[6:7], s[0:1], exec
	s_and_b64 s[18:19], s[18:19], exec
	;; [unrolled: 1-line block ×3, first 2 shown]
	s_orn2_b64 s[0:1], s[24:25], exec
.LBB66_395:
	s_or_b64 exec, exec, s[22:23]
	s_mov_b64 s[30:31], 0
	s_mov_b64 s[28:29], 0
                                        ; implicit-def: $vgpr2
                                        ; implicit-def: $vgpr0_vgpr1
                                        ; implicit-def: $vgpr4
	s_and_saveexec_b64 s[22:23], s[0:1]
	s_cbranch_execz .LBB66_404
; %bb.396:
	v_cmp_gt_i32_e32 vcc, s33, v11
	s_mov_b64 s[0:1], -1
	s_mov_b64 s[24:25], s[20:21]
	s_mov_b64 s[26:27], s[18:19]
	;; [unrolled: 1-line block ×3, first 2 shown]
	s_and_saveexec_b64 s[30:31], vcc
	s_cbranch_execz .LBB66_797
; %bb.397:
	v_mul_lo_u32 v0, v11, s13
	v_ashrrev_i32_e32 v1, 31, v0
	s_waitcnt vmcnt(0)
	v_mov_b32_e32 v2, s11
	v_add_co_u32_e32 v0, vcc, s10, v0
	v_addc_co_u32_e32 v1, vcc, v2, v1, vcc
	v_mov_b32_e32 v2, 11
	v_cmp_lt_i16_sdwa s[0:1], v9, v2 src0_sel:BYTE_0 src1_sel:DWORD
	s_and_b64 vcc, exec, s[0:1]
	s_cbranch_vccnz .LBB66_407
; %bb.398:
	v_mov_b32_e32 v2, 25
	v_cmp_gt_i16_sdwa s[0:1], v9, v2 src0_sel:BYTE_0 src1_sel:DWORD
	s_and_b64 vcc, exec, s[0:1]
	s_cbranch_vccz .LBB66_416
; %bb.399:
	v_mov_b32_e32 v2, 28
	v_cmp_gt_i16_sdwa s[0:1], v9, v2 src0_sel:BYTE_0 src1_sel:DWORD
	s_and_b64 vcc, exec, s[0:1]
	s_cbranch_vccz .LBB66_418
	;; [unrolled: 5-line block ×4, first 2 shown]
; %bb.402:
	v_mov_b32_e32 v2, 46
	v_cmp_eq_u16_sdwa s[0:1], v9, v2 src0_sel:BYTE_0 src1_sel:DWORD
	s_mov_b64 s[26:27], 0
	s_and_b64 vcc, exec, s[0:1]
	s_cbranch_vccz .LBB66_426
; %bb.403:
	global_load_dword v2, v[0:1], off
	s_mov_b64 s[0:1], -1
	s_mov_b64 s[24:25], 0
	s_waitcnt vmcnt(0)
	v_lshlrev_b32_e32 v4, 16, v2
	s_branch .LBB66_427
.LBB66_404:
	s_or_b64 exec, exec, s[22:23]
	s_mov_b64 s[22:23], 0
	s_and_saveexec_b64 s[0:1], s[20:21]
	s_cbranch_execnz .LBB66_1284
.LBB66_405:
	s_or_b64 exec, exec, s[0:1]
	s_and_saveexec_b64 s[0:1], s[26:27]
	s_xor_b64 s[0:1], exec, s[0:1]
	s_cbranch_execz .LBB66_1285
.LBB66_406:
	global_load_ubyte v3, v[0:1], off
	s_or_b64 s[28:29], s[28:29], exec
	s_waitcnt vmcnt(0)
	v_cmp_ne_u16_e32 vcc, 0, v3
	v_cndmask_b32_e64 v4, 0, 1.0, vcc
	s_or_b64 exec, exec, s[0:1]
	s_and_saveexec_b64 s[0:1], s[30:31]
	s_cbranch_execz .LBB66_1331
	s_branch .LBB66_1286
.LBB66_407:
	s_mov_b64 s[0:1], 0
                                        ; implicit-def: $vgpr4
	s_mov_b64 s[24:25], s[20:21]
	s_cbranch_execnz .LBB66_493
.LBB66_408:
	s_andn2_b64 vcc, exec, s[0:1]
	s_cbranch_vccnz .LBB66_541
.LBB66_409:
	v_mul_lo_u32 v0, v11, s14
	v_ashrrev_i32_e32 v1, 31, v0
	v_mov_b32_e32 v2, s3
	v_add_co_u32_e32 v0, vcc, s2, v0
	v_addc_co_u32_e32 v1, vcc, v2, v1, vcc
	v_mov_b32_e32 v2, 11
	v_cmp_lt_i16_sdwa s[0:1], v8, v2 src0_sel:BYTE_0 src1_sel:DWORD
	s_and_b64 vcc, exec, s[0:1]
	s_cbranch_vccnz .LBB66_417
; %bb.410:
	v_mov_b32_e32 v2, 25
	v_cmp_gt_i16_sdwa s[0:1], v8, v2 src0_sel:BYTE_0 src1_sel:DWORD
	s_and_b64 vcc, exec, s[0:1]
	s_cbranch_vccz .LBB66_419
; %bb.411:
	v_mov_b32_e32 v2, 28
	v_cmp_gt_i16_sdwa s[0:1], v8, v2 src0_sel:BYTE_0 src1_sel:DWORD
	s_and_b64 vcc, exec, s[0:1]
	s_cbranch_vccz .LBB66_421
	;; [unrolled: 5-line block ×4, first 2 shown]
; %bb.414:
	v_mov_b32_e32 v2, 46
	v_cmp_eq_u16_sdwa s[0:1], v8, v2 src0_sel:BYTE_0 src1_sel:DWORD
	s_mov_b64 s[28:29], 0
	s_and_b64 vcc, exec, s[0:1]
	s_cbranch_vccz .LBB66_545
; %bb.415:
	global_load_dword v2, v[0:1], off
	s_mov_b64 s[0:1], -1
	s_mov_b64 s[26:27], 0
	s_waitcnt vmcnt(0)
	v_lshlrev_b32_e32 v2, 16, v2
	s_branch .LBB66_546
.LBB66_416:
	s_mov_b64 s[26:27], -1
	s_mov_b64 s[0:1], 0
	s_mov_b64 s[24:25], s[20:21]
                                        ; implicit-def: $vgpr4
	s_branch .LBB66_457
.LBB66_417:
	s_mov_b64 s[28:29], -1
	s_mov_b64 s[0:1], 0
                                        ; implicit-def: $vgpr2
	s_mov_b64 s[26:27], s[18:19]
	s_branch .LBB66_611
.LBB66_418:
	s_mov_b64 s[26:27], -1
	s_mov_b64 s[0:1], 0
	s_mov_b64 s[24:25], s[20:21]
                                        ; implicit-def: $vgpr4
	s_branch .LBB66_438
.LBB66_419:
	s_mov_b64 s[28:29], -1
	s_mov_b64 s[0:1], 0
	s_mov_b64 s[26:27], s[18:19]
                                        ; implicit-def: $vgpr2
	s_branch .LBB66_575
.LBB66_420:
	s_mov_b64 s[26:27], -1
	s_mov_b64 s[0:1], 0
	s_mov_b64 s[24:25], s[20:21]
                                        ; implicit-def: $vgpr4
	s_branch .LBB66_433
.LBB66_421:
	s_mov_b64 s[28:29], -1
	s_mov_b64 s[0:1], 0
	s_mov_b64 s[26:27], s[18:19]
                                        ; implicit-def: $vgpr2
	s_branch .LBB66_556
.LBB66_422:
	s_mov_b64 s[26:27], -1
	s_mov_b64 s[0:1], 0
	s_mov_b64 s[24:25], s[20:21]
                                        ; implicit-def: $vgpr4
	s_branch .LBB66_427
.LBB66_423:
	s_mov_b64 s[28:29], -1
	s_mov_b64 s[0:1], 0
	s_mov_b64 s[26:27], s[18:19]
                                        ; implicit-def: $vgpr2
	s_branch .LBB66_551
.LBB66_424:
	s_or_saveexec_b64 s[28:29], s[28:29]
                                        ; implicit-def: $sgpr15
	s_xor_b64 exec, exec, s[28:29]
	s_cbranch_execz .LBB66_192
.LBB66_425:
	s_mov_b32 s15, 0x46000000
	v_add_f32_e64 v1, |v0|, s15
	v_and_b32_e32 v1, 0xff, v1
	v_cmp_ne_u32_e32 vcc, 0, v1
	s_andn2_b64 s[24:25], s[24:25], exec
	s_and_b64 s[30:31], vcc, exec
	s_mov_b32 s15, 0
	s_or_b64 s[24:25], s[24:25], s[30:31]
	s_or_b64 exec, exec, s[28:29]
	v_mov_b32_e32 v4, s15
	s_and_saveexec_b64 s[28:29], s[24:25]
	s_cbranch_execnz .LBB66_193
	s_branch .LBB66_194
.LBB66_426:
	s_mov_b64 s[24:25], -1
                                        ; implicit-def: $vgpr4
	s_mov_b64 s[0:1], 0
.LBB66_427:
	s_and_b64 vcc, exec, s[26:27]
	s_cbranch_vccz .LBB66_432
; %bb.428:
	v_mov_b32_e32 v2, 44
	v_cmp_eq_u16_sdwa s[24:25], v9, v2 src0_sel:BYTE_0 src1_sel:DWORD
	s_and_b64 vcc, exec, s[24:25]
	s_cbranch_vccz .LBB66_431
; %bb.429:
	global_load_ubyte v2, v[0:1], off
	s_movk_i32 s15, 0xff
	v_mov_b32_e32 v3, 0x7f800001
	v_mov_b32_e32 v4, 0x400000
	s_mov_b64 s[0:1], -1
	s_mov_b64 s[24:25], 0
	s_waitcnt vmcnt(0)
	v_lshlrev_b32_e32 v5, 23, v2
	v_cmp_ne_u32_e32 vcc, s15, v2
	v_cndmask_b32_e32 v3, v3, v5, vcc
	v_cmp_ne_u32_e32 vcc, 0, v2
	v_cndmask_b32_e32 v4, v4, v3, vcc
	s_branch .LBB66_432
.LBB66_430:
	s_mov_b64 s[28:29], -1
	s_mov_b64 s[0:1], 0
	s_mov_b64 s[26:27], s[18:19]
                                        ; implicit-def: $vgpr2
	s_branch .LBB66_546
.LBB66_431:
	s_mov_b64 s[24:25], -1
                                        ; implicit-def: $vgpr4
.LBB66_432:
	s_mov_b64 s[26:27], 0
.LBB66_433:
	s_and_b64 vcc, exec, s[26:27]
	s_cbranch_vccz .LBB66_437
; %bb.434:
	v_mov_b32_e32 v2, 29
	v_cmp_eq_u16_sdwa s[24:25], v9, v2 src0_sel:BYTE_0 src1_sel:DWORD
	s_and_b64 vcc, exec, s[24:25]
	s_cbranch_vccz .LBB66_436
; %bb.435:
	global_load_dwordx2 v[2:3], v[0:1], off
	s_mov_b64 s[0:1], -1
	s_mov_b64 s[24:25], 0
	s_mov_b64 s[26:27], 0
	s_waitcnt vmcnt(0)
	v_ffbh_u32_e32 v4, v3
	v_min_u32_e32 v4, 32, v4
	v_lshlrev_b64 v[2:3], v4, v[2:3]
	v_min_u32_e32 v2, 1, v2
	v_or_b32_e32 v2, v3, v2
	v_cvt_f32_u32_e32 v2, v2
	v_sub_u32_e32 v3, 32, v4
	v_ldexp_f32 v4, v2, v3
	s_branch .LBB66_438
.LBB66_436:
	s_mov_b64 s[24:25], -1
                                        ; implicit-def: $vgpr4
.LBB66_437:
	s_mov_b64 s[26:27], 0
.LBB66_438:
	s_and_b64 vcc, exec, s[26:27]
	s_cbranch_vccz .LBB66_456
; %bb.439:
	v_mov_b32_e32 v2, 27
	v_cmp_lt_i16_sdwa s[0:1], v9, v2 src0_sel:BYTE_0 src1_sel:DWORD
	s_and_b64 vcc, exec, s[0:1]
	s_cbranch_vccnz .LBB66_442
; %bb.440:
	v_cmp_gt_i16_sdwa s[0:1], v9, v2 src0_sel:BYTE_0 src1_sel:DWORD
	s_and_b64 vcc, exec, s[0:1]
	s_cbranch_vccz .LBB66_443
; %bb.441:
	global_load_dword v2, v[0:1], off
	s_mov_b64 s[0:1], 0
	s_waitcnt vmcnt(0)
	v_cvt_f32_u32_e32 v4, v2
	s_branch .LBB66_444
.LBB66_442:
	s_mov_b64 s[0:1], -1
                                        ; implicit-def: $vgpr4
	s_branch .LBB66_447
.LBB66_443:
	s_mov_b64 s[0:1], -1
                                        ; implicit-def: $vgpr4
.LBB66_444:
	s_andn2_b64 vcc, exec, s[0:1]
	s_cbranch_vccnz .LBB66_446
; %bb.445:
	global_load_ushort v2, v[0:1], off
	s_waitcnt vmcnt(0)
	v_cvt_f32_u32_e32 v4, v2
.LBB66_446:
	s_mov_b64 s[0:1], 0
.LBB66_447:
	s_andn2_b64 vcc, exec, s[0:1]
	s_cbranch_vccnz .LBB66_455
; %bb.448:
	global_load_ubyte v2, v[0:1], off
	s_movk_i32 s0, 0x7f
                                        ; implicit-def: $sgpr15
	s_waitcnt vmcnt(0)
	v_cmp_lt_i16_e32 vcc, s0, v2
	s_mov_b64 s[0:1], 0
	s_and_saveexec_b64 s[26:27], vcc
	s_xor_b64 s[26:27], exec, s[26:27]
	s_cbranch_execz .LBB66_469
; %bb.449:
	s_movk_i32 s0, 0x80
	v_cmp_eq_u16_e32 vcc, s0, v2
	s_mov_b64 s[0:1], -1
                                        ; implicit-def: $sgpr15
	s_and_saveexec_b64 s[28:29], vcc
; %bb.450:
	s_mov_b32 s15, 0x7f800001
	s_xor_b64 s[0:1], exec, -1
; %bb.451:
	s_or_b64 exec, exec, s[28:29]
	s_and_b64 s[0:1], s[0:1], exec
	s_or_saveexec_b64 s[26:27], s[26:27]
	v_mov_b32_e32 v4, s15
	s_xor_b64 exec, exec, s[26:27]
	s_cbranch_execnz .LBB66_470
.LBB66_452:
	s_or_b64 exec, exec, s[26:27]
	s_and_saveexec_b64 s[26:27], s[0:1]
	s_cbranch_execz .LBB66_454
.LBB66_453:
	v_lshlrev_b32_e32 v3, 24, v2
	v_and_b32_e32 v2, 0xffff, v2
	v_and_b32_e32 v4, 7, v2
	v_ffbh_u32_e32 v6, v4
	v_min_u32_e32 v6, 32, v6
	v_subrev_u32_e32 v7, 28, v6
	v_bfe_u32 v5, v2, 3, 4
	v_lshlrev_b32_e32 v2, v7, v2
	v_sub_u32_e32 v6, 29, v6
	v_and_b32_e32 v2, 7, v2
	v_cmp_eq_u32_e32 vcc, 0, v5
	v_cndmask_b32_e32 v5, v5, v6, vcc
	v_cndmask_b32_e32 v2, v4, v2, vcc
	v_mov_b32_e32 v4, 0x3b800000
	v_lshlrev_b32_e32 v2, 20, v2
	v_and_b32_e32 v3, 0x80000000, v3
	v_lshl_add_u32 v4, v5, 23, v4
	v_or3_b32 v4, v3, v4, v2
.LBB66_454:
	s_or_b64 exec, exec, s[26:27]
.LBB66_455:
	s_mov_b64 s[0:1], -1
.LBB66_456:
	s_mov_b64 s[26:27], 0
.LBB66_457:
	s_and_b64 vcc, exec, s[26:27]
	s_cbranch_vccz .LBB66_492
; %bb.458:
	v_mov_b32_e32 v2, 22
	v_cmp_gt_i16_sdwa s[26:27], v9, v2 src0_sel:BYTE_0 src1_sel:DWORD
	s_and_b64 vcc, exec, s[26:27]
	s_cbranch_vccz .LBB66_468
; %bb.459:
	v_mov_b32_e32 v2, 24
	v_cmp_lt_i16_sdwa s[0:1], v9, v2 src0_sel:BYTE_0 src1_sel:DWORD
	s_and_b64 vcc, exec, s[0:1]
	s_cbranch_vccnz .LBB66_471
; %bb.460:
	v_cmp_gt_i16_sdwa s[0:1], v9, v2 src0_sel:BYTE_0 src1_sel:DWORD
	s_and_b64 vcc, exec, s[0:1]
	s_cbranch_vccz .LBB66_472
; %bb.461:
	global_load_ubyte v2, v[0:1], off
	s_movk_i32 s0, 0x7f
                                        ; implicit-def: $sgpr15
	s_waitcnt vmcnt(0)
	v_cmp_lt_i16_e32 vcc, s0, v2
	s_mov_b64 s[0:1], 0
	s_and_saveexec_b64 s[26:27], vcc
	s_xor_b64 s[26:27], exec, s[26:27]
	s_cbranch_execz .LBB66_484
; %bb.462:
	s_movk_i32 s0, 0x80
	v_cmp_eq_u16_e32 vcc, s0, v2
	s_mov_b64 s[0:1], -1
                                        ; implicit-def: $sgpr15
	s_and_saveexec_b64 s[28:29], vcc
; %bb.463:
	s_mov_b32 s15, 0x7f800001
	s_xor_b64 s[0:1], exec, -1
; %bb.464:
	s_or_b64 exec, exec, s[28:29]
	s_and_b64 s[0:1], s[0:1], exec
	s_or_saveexec_b64 s[26:27], s[26:27]
	v_mov_b32_e32 v4, s15
	s_xor_b64 exec, exec, s[26:27]
	s_cbranch_execnz .LBB66_485
.LBB66_465:
	s_or_b64 exec, exec, s[26:27]
	s_and_saveexec_b64 s[26:27], s[0:1]
	s_cbranch_execz .LBB66_467
.LBB66_466:
	v_lshlrev_b32_e32 v3, 24, v2
	v_and_b32_e32 v2, 0xffff, v2
	v_and_b32_e32 v4, 3, v2
	v_ffbh_u32_e32 v6, v4
	v_min_u32_e32 v6, 32, v6
	v_subrev_u32_e32 v7, 29, v6
	v_bfe_u32 v5, v2, 2, 5
	v_lshlrev_b32_e32 v2, v7, v2
	v_sub_u32_e32 v6, 30, v6
	v_and_b32_e32 v2, 3, v2
	v_cmp_eq_u32_e32 vcc, 0, v5
	v_cndmask_b32_e32 v5, v5, v6, vcc
	v_cndmask_b32_e32 v2, v4, v2, vcc
	v_mov_b32_e32 v4, 0x37800000
	v_lshlrev_b32_e32 v2, 21, v2
	v_and_b32_e32 v3, 0x80000000, v3
	v_lshl_add_u32 v4, v5, 23, v4
	v_or3_b32 v4, v3, v4, v2
.LBB66_467:
	s_or_b64 exec, exec, s[26:27]
	s_mov_b64 s[0:1], 0
	s_branch .LBB66_473
.LBB66_468:
	s_mov_b64 s[26:27], -1
                                        ; implicit-def: $vgpr4
	s_branch .LBB66_479
.LBB66_469:
	s_or_saveexec_b64 s[26:27], s[26:27]
	v_mov_b32_e32 v4, s15
	s_xor_b64 exec, exec, s[26:27]
	s_cbranch_execz .LBB66_452
.LBB66_470:
	v_cmp_ne_u16_e32 vcc, 0, v2
	s_andn2_b64 s[0:1], s[0:1], exec
	s_and_b64 s[28:29], vcc, exec
	v_mov_b32_e32 v4, 0
	s_or_b64 s[0:1], s[0:1], s[28:29]
	s_or_b64 exec, exec, s[26:27]
	s_and_saveexec_b64 s[26:27], s[0:1]
	s_cbranch_execnz .LBB66_453
	s_branch .LBB66_454
.LBB66_471:
	s_mov_b64 s[0:1], -1
                                        ; implicit-def: $vgpr4
	s_branch .LBB66_476
.LBB66_472:
	s_mov_b64 s[0:1], -1
                                        ; implicit-def: $vgpr4
.LBB66_473:
	s_and_b64 vcc, exec, s[0:1]
	s_cbranch_vccz .LBB66_475
; %bb.474:
	global_load_ubyte v2, v[0:1], off
	s_mov_b32 s0, 0x7f800000
	s_waitcnt vmcnt(0)
	v_lshlrev_b32_e32 v2, 24, v2
	v_and_b32_e32 v3, 0x7f000000, v2
	v_ffbh_u32_e32 v4, v3
	v_min_u32_e32 v4, 32, v4
	v_sub_u32_e64 v4, v4, 4 clamp
	v_lshlrev_b32_e32 v6, v4, v3
	v_lshlrev_b32_e32 v4, 23, v4
	v_lshrrev_b32_e32 v6, 4, v6
	v_add_u32_e32 v5, 0x1000000, v3
	v_sub_u32_e32 v4, v6, v4
	v_ashrrev_i32_e32 v5, 8, v5
	v_add_u32_e32 v4, 0x3c000000, v4
	v_and_or_b32 v4, v5, s0, v4
	v_cmp_ne_u32_e32 vcc, 0, v3
	v_cndmask_b32_e32 v3, 0, v4, vcc
	s_brev_b32 s0, 1
	v_and_or_b32 v4, v2, s0, v3
.LBB66_475:
	s_mov_b64 s[0:1], 0
.LBB66_476:
	s_andn2_b64 vcc, exec, s[0:1]
	s_cbranch_vccnz .LBB66_478
; %bb.477:
	global_load_ubyte v2, v[0:1], off
	s_movk_i32 s0, 0x7f00
	s_brev_b32 s1, 16
	s_waitcnt vmcnt(0)
	v_lshlrev_b16_e32 v3, 8, v2
	v_lshlrev_b32_e32 v2, 25, v2
	v_lshrrev_b32_e32 v4, 4, v2
	v_and_or_b32 v5, v3, s0, 0.5
	v_or_b32_e32 v4, 0x70000000, v4
	v_add_f32_e32 v5, -0.5, v5
	v_mul_f32_e32 v4, 0x7800000, v4
	v_cmp_gt_u32_e32 vcc, s1, v2
	v_bfe_i32 v3, v3, 0, 16
	v_cndmask_b32_e32 v2, v4, v5, vcc
	s_brev_b32 s0, 1
	v_and_or_b32 v4, v3, s0, v2
.LBB66_478:
	s_mov_b64 s[26:27], 0
	s_mov_b64 s[0:1], -1
.LBB66_479:
	s_andn2_b64 vcc, exec, s[26:27]
	s_cbranch_vccnz .LBB66_492
; %bb.480:
	v_mov_b32_e32 v2, 14
	v_cmp_gt_i16_sdwa s[26:27], v9, v2 src0_sel:BYTE_0 src1_sel:DWORD
	s_and_b64 vcc, exec, s[26:27]
	s_cbranch_vccz .LBB66_483
; %bb.481:
	v_mov_b32_e32 v2, 15
	v_cmp_eq_u16_sdwa s[24:25], v9, v2 src0_sel:BYTE_0 src1_sel:DWORD
	s_and_b64 vcc, exec, s[24:25]
	s_cbranch_vccz .LBB66_486
; %bb.482:
	global_load_ushort v2, v[0:1], off
	s_mov_b64 s[0:1], -1
	s_mov_b64 s[24:25], 0
	s_waitcnt vmcnt(0)
	v_lshlrev_b32_e32 v4, 16, v2
	s_branch .LBB66_487
.LBB66_483:
	s_mov_b64 s[26:27], -1
                                        ; implicit-def: $vgpr4
	s_branch .LBB66_488
.LBB66_484:
	s_or_saveexec_b64 s[26:27], s[26:27]
	v_mov_b32_e32 v4, s15
	s_xor_b64 exec, exec, s[26:27]
	s_cbranch_execz .LBB66_465
.LBB66_485:
	v_cmp_ne_u16_e32 vcc, 0, v2
	s_andn2_b64 s[0:1], s[0:1], exec
	s_and_b64 s[28:29], vcc, exec
	v_mov_b32_e32 v4, 0
	s_or_b64 s[0:1], s[0:1], s[28:29]
	s_or_b64 exec, exec, s[26:27]
	s_and_saveexec_b64 s[26:27], s[0:1]
	s_cbranch_execnz .LBB66_466
	s_branch .LBB66_467
.LBB66_486:
	s_mov_b64 s[24:25], -1
                                        ; implicit-def: $vgpr4
.LBB66_487:
	s_mov_b64 s[26:27], 0
.LBB66_488:
	s_and_b64 vcc, exec, s[26:27]
	s_cbranch_vccz .LBB66_492
; %bb.489:
	v_mov_b32_e32 v2, 11
	v_cmp_eq_u16_sdwa s[24:25], v9, v2 src0_sel:BYTE_0 src1_sel:DWORD
	s_and_b64 vcc, exec, s[24:25]
	s_cbranch_vccz .LBB66_491
; %bb.490:
	global_load_ubyte v2, v[0:1], off
	s_mov_b64 s[0:1], -1
	s_mov_b64 s[24:25], 0
	s_waitcnt vmcnt(0)
	v_cmp_ne_u16_e32 vcc, 0, v2
	v_cndmask_b32_e64 v4, 0, 1.0, vcc
	s_branch .LBB66_492
.LBB66_491:
	s_mov_b64 s[24:25], -1
                                        ; implicit-def: $vgpr4
.LBB66_492:
	s_branch .LBB66_408
.LBB66_493:
	v_mov_b32_e32 v2, 5
	v_cmp_lt_i16_sdwa s[0:1], v9, v2 src0_sel:BYTE_0 src1_sel:DWORD
	s_and_b64 vcc, exec, s[0:1]
	s_cbranch_vccnz .LBB66_498
; %bb.494:
	v_mov_b32_e32 v2, 8
	v_cmp_lt_i16_sdwa s[0:1], v9, v2 src0_sel:BYTE_0 src1_sel:DWORD
	s_and_b64 vcc, exec, s[0:1]
	s_cbranch_vccnz .LBB66_499
; %bb.495:
	;; [unrolled: 5-line block ×3, first 2 shown]
	v_cmp_gt_i16_sdwa s[0:1], v9, v2 src0_sel:BYTE_0 src1_sel:DWORD
	s_and_b64 vcc, exec, s[0:1]
	s_cbranch_vccz .LBB66_501
; %bb.497:
	global_load_dwordx2 v[2:3], v[0:1], off
	s_mov_b64 s[0:1], 0
	s_waitcnt vmcnt(0)
	v_cvt_f32_f64_e32 v4, v[2:3]
	s_branch .LBB66_502
.LBB66_498:
	s_mov_b64 s[0:1], -1
                                        ; implicit-def: $vgpr4
	s_branch .LBB66_520
.LBB66_499:
	s_mov_b64 s[0:1], -1
                                        ; implicit-def: $vgpr4
	s_branch .LBB66_508
.LBB66_500:
	s_mov_b64 s[0:1], -1
                                        ; implicit-def: $vgpr4
	s_branch .LBB66_505
.LBB66_501:
	s_mov_b64 s[0:1], -1
                                        ; implicit-def: $vgpr4
.LBB66_502:
	s_andn2_b64 vcc, exec, s[0:1]
	s_cbranch_vccnz .LBB66_504
; %bb.503:
	global_load_dword v4, v[0:1], off
.LBB66_504:
	s_mov_b64 s[0:1], 0
.LBB66_505:
	s_andn2_b64 vcc, exec, s[0:1]
	s_cbranch_vccnz .LBB66_507
; %bb.506:
	global_load_dword v2, v[0:1], off
	s_waitcnt vmcnt(0)
	v_cvt_f32_f16_e32 v4, v2
.LBB66_507:
	s_mov_b64 s[0:1], 0
.LBB66_508:
	s_andn2_b64 vcc, exec, s[0:1]
	s_cbranch_vccnz .LBB66_519
; %bb.509:
	v_mov_b32_e32 v2, 6
	v_cmp_lt_i16_sdwa s[0:1], v9, v2 src0_sel:BYTE_0 src1_sel:DWORD
	s_and_b64 vcc, exec, s[0:1]
	s_cbranch_vccnz .LBB66_512
; %bb.510:
	v_cmp_gt_i16_sdwa s[0:1], v9, v2 src0_sel:BYTE_0 src1_sel:DWORD
	s_and_b64 vcc, exec, s[0:1]
	s_cbranch_vccz .LBB66_513
; %bb.511:
	global_load_dwordx2 v[2:3], v[0:1], off
	s_mov_b64 s[0:1], 0
	s_waitcnt vmcnt(0)
	v_cvt_f32_f64_e32 v4, v[2:3]
	s_branch .LBB66_514
.LBB66_512:
	s_mov_b64 s[0:1], -1
                                        ; implicit-def: $vgpr4
	s_branch .LBB66_517
.LBB66_513:
	s_mov_b64 s[0:1], -1
                                        ; implicit-def: $vgpr4
.LBB66_514:
	s_andn2_b64 vcc, exec, s[0:1]
	s_cbranch_vccnz .LBB66_516
; %bb.515:
	global_load_dword v4, v[0:1], off
.LBB66_516:
	s_mov_b64 s[0:1], 0
.LBB66_517:
	s_andn2_b64 vcc, exec, s[0:1]
	s_cbranch_vccnz .LBB66_519
; %bb.518:
	global_load_ushort v2, v[0:1], off
	s_waitcnt vmcnt(0)
	v_cvt_f32_f16_e32 v4, v2
.LBB66_519:
	s_mov_b64 s[0:1], 0
.LBB66_520:
	s_andn2_b64 vcc, exec, s[0:1]
	s_cbranch_vccnz .LBB66_540
; %bb.521:
	v_mov_b32_e32 v2, 2
	v_cmp_lt_i16_sdwa s[0:1], v9, v2 src0_sel:BYTE_0 src1_sel:DWORD
	s_and_b64 vcc, exec, s[0:1]
	s_cbranch_vccnz .LBB66_525
; %bb.522:
	v_mov_b32_e32 v2, 3
	v_cmp_lt_i16_sdwa s[0:1], v9, v2 src0_sel:BYTE_0 src1_sel:DWORD
	s_and_b64 vcc, exec, s[0:1]
	s_cbranch_vccnz .LBB66_526
; %bb.523:
	v_cmp_gt_i16_sdwa s[0:1], v9, v2 src0_sel:BYTE_0 src1_sel:DWORD
	s_and_b64 vcc, exec, s[0:1]
	s_cbranch_vccz .LBB66_527
; %bb.524:
	global_load_dwordx2 v[2:3], v[0:1], off
	s_mov_b64 s[0:1], 0
	s_waitcnt vmcnt(0)
	v_xor_b32_e32 v5, v2, v3
	v_ffbh_i32_e32 v4, v3
	v_ashrrev_i32_e32 v5, 31, v5
	v_add_u32_e32 v4, -1, v4
	v_add_u32_e32 v5, 32, v5
	v_min_u32_e32 v4, v4, v5
	v_lshlrev_b64 v[2:3], v4, v[2:3]
	v_min_u32_e32 v2, 1, v2
	v_or_b32_e32 v2, v3, v2
	v_cvt_f32_i32_e32 v2, v2
	v_sub_u32_e32 v3, 32, v4
	v_ldexp_f32 v4, v2, v3
	s_branch .LBB66_528
.LBB66_525:
	s_mov_b64 s[0:1], -1
                                        ; implicit-def: $vgpr4
	s_branch .LBB66_534
.LBB66_526:
	s_mov_b64 s[0:1], -1
                                        ; implicit-def: $vgpr4
	s_branch .LBB66_531
.LBB66_527:
	s_mov_b64 s[0:1], -1
                                        ; implicit-def: $vgpr4
.LBB66_528:
	s_andn2_b64 vcc, exec, s[0:1]
	s_cbranch_vccnz .LBB66_530
; %bb.529:
	global_load_dword v2, v[0:1], off
	s_waitcnt vmcnt(0)
	v_cvt_f32_i32_e32 v4, v2
.LBB66_530:
	s_mov_b64 s[0:1], 0
.LBB66_531:
	s_andn2_b64 vcc, exec, s[0:1]
	s_cbranch_vccnz .LBB66_533
; %bb.532:
	global_load_sshort v2, v[0:1], off
	s_waitcnt vmcnt(0)
	v_cvt_f32_i32_e32 v4, v2
.LBB66_533:
	s_mov_b64 s[0:1], 0
.LBB66_534:
	s_andn2_b64 vcc, exec, s[0:1]
	s_cbranch_vccnz .LBB66_540
; %bb.535:
	v_mov_b32_e32 v2, 0
	v_cmp_gt_i16_sdwa s[0:1], v9, v2 src0_sel:BYTE_0 src1_sel:DWORD
	s_and_b64 vcc, exec, s[0:1]
	s_cbranch_vccz .LBB66_537
; %bb.536:
	global_load_sbyte v2, v[0:1], off
	s_mov_b64 s[0:1], 0
	s_waitcnt vmcnt(0)
	v_cvt_f32_i32_e32 v4, v2
	s_branch .LBB66_538
.LBB66_537:
	s_mov_b64 s[0:1], -1
                                        ; implicit-def: $vgpr4
.LBB66_538:
	s_andn2_b64 vcc, exec, s[0:1]
	s_cbranch_vccnz .LBB66_540
; %bb.539:
	global_load_ubyte v0, v[0:1], off
	s_waitcnt vmcnt(0)
	v_cvt_f32_ubyte0_e32 v4, v0
.LBB66_540:
	s_branch .LBB66_409
.LBB66_541:
	s_mov_b64 s[34:35], 0
	s_mov_b64 s[0:1], s[6:7]
	;; [unrolled: 1-line block ×3, first 2 shown]
.LBB66_542:
                                        ; implicit-def: $vgpr11
	s_branch .LBB66_796
.LBB66_543:
	s_or_saveexec_b64 s[28:29], s[28:29]
                                        ; implicit-def: $sgpr15
	s_xor_b64 exec, exec, s[28:29]
	s_cbranch_execz .LBB66_205
.LBB66_544:
	s_mov_b32 s15, 0x42800000
	v_add_f32_e64 v1, |v0|, s15
	v_and_b32_e32 v1, 0xff, v1
	v_cmp_ne_u32_e32 vcc, 0, v1
	s_andn2_b64 s[24:25], s[24:25], exec
	s_and_b64 s[30:31], vcc, exec
	s_mov_b32 s15, 0
	s_or_b64 s[24:25], s[24:25], s[30:31]
	s_or_b64 exec, exec, s[28:29]
	v_mov_b32_e32 v4, s15
	s_and_saveexec_b64 s[28:29], s[24:25]
	s_cbranch_execnz .LBB66_206
	s_branch .LBB66_207
.LBB66_545:
	s_mov_b64 s[26:27], -1
                                        ; implicit-def: $vgpr2
	s_mov_b64 s[0:1], 0
.LBB66_546:
	s_and_b64 vcc, exec, s[28:29]
	s_cbranch_vccz .LBB66_550
; %bb.547:
	v_mov_b32_e32 v2, 44
	v_cmp_eq_u16_sdwa s[26:27], v8, v2 src0_sel:BYTE_0 src1_sel:DWORD
	s_and_b64 vcc, exec, s[26:27]
	s_cbranch_vccz .LBB66_549
; %bb.548:
	global_load_ubyte v2, v[0:1], off
	s_movk_i32 s15, 0xff
	v_mov_b32_e32 v3, 0x7f800001
	v_mov_b32_e32 v5, 0x400000
	s_mov_b64 s[0:1], -1
	s_mov_b64 s[26:27], 0
	s_waitcnt vmcnt(0)
	v_lshlrev_b32_e32 v6, 23, v2
	v_cmp_ne_u32_e32 vcc, s15, v2
	v_cndmask_b32_e32 v3, v3, v6, vcc
	v_cmp_ne_u32_e32 vcc, 0, v2
	v_cndmask_b32_e32 v2, v5, v3, vcc
	s_branch .LBB66_550
.LBB66_549:
	s_mov_b64 s[26:27], -1
                                        ; implicit-def: $vgpr2
.LBB66_550:
	s_mov_b64 s[28:29], 0
.LBB66_551:
	s_and_b64 vcc, exec, s[28:29]
	s_cbranch_vccz .LBB66_555
; %bb.552:
	v_mov_b32_e32 v2, 29
	v_cmp_eq_u16_sdwa s[26:27], v8, v2 src0_sel:BYTE_0 src1_sel:DWORD
	s_and_b64 vcc, exec, s[26:27]
	s_cbranch_vccz .LBB66_554
; %bb.553:
	global_load_dwordx2 v[2:3], v[0:1], off
	s_mov_b64 s[0:1], -1
	s_mov_b64 s[26:27], 0
	s_mov_b64 s[28:29], 0
	s_waitcnt vmcnt(0)
	v_ffbh_u32_e32 v5, v3
	v_min_u32_e32 v5, 32, v5
	v_lshlrev_b64 v[2:3], v5, v[2:3]
	v_min_u32_e32 v2, 1, v2
	v_or_b32_e32 v2, v3, v2
	v_cvt_f32_u32_e32 v2, v2
	v_sub_u32_e32 v3, 32, v5
	v_ldexp_f32 v2, v2, v3
	s_branch .LBB66_556
.LBB66_554:
	s_mov_b64 s[26:27], -1
                                        ; implicit-def: $vgpr2
.LBB66_555:
	s_mov_b64 s[28:29], 0
.LBB66_556:
	s_and_b64 vcc, exec, s[28:29]
	s_cbranch_vccz .LBB66_574
; %bb.557:
	v_mov_b32_e32 v2, 27
	v_cmp_lt_i16_sdwa s[0:1], v8, v2 src0_sel:BYTE_0 src1_sel:DWORD
	s_and_b64 vcc, exec, s[0:1]
	s_cbranch_vccnz .LBB66_560
; %bb.558:
	v_cmp_gt_i16_sdwa s[0:1], v8, v2 src0_sel:BYTE_0 src1_sel:DWORD
	s_and_b64 vcc, exec, s[0:1]
	s_cbranch_vccz .LBB66_561
; %bb.559:
	global_load_dword v2, v[0:1], off
	s_mov_b64 s[0:1], 0
	s_waitcnt vmcnt(0)
	v_cvt_f32_u32_e32 v2, v2
	s_branch .LBB66_562
.LBB66_560:
	s_mov_b64 s[0:1], -1
                                        ; implicit-def: $vgpr2
	s_branch .LBB66_565
.LBB66_561:
	s_mov_b64 s[0:1], -1
                                        ; implicit-def: $vgpr2
.LBB66_562:
	s_andn2_b64 vcc, exec, s[0:1]
	s_cbranch_vccnz .LBB66_564
; %bb.563:
	global_load_ushort v2, v[0:1], off
	s_waitcnt vmcnt(0)
	v_cvt_f32_u32_e32 v2, v2
.LBB66_564:
	s_mov_b64 s[0:1], 0
.LBB66_565:
	s_andn2_b64 vcc, exec, s[0:1]
	s_cbranch_vccnz .LBB66_573
; %bb.566:
	global_load_ubyte v3, v[0:1], off
	s_movk_i32 s0, 0x7f
                                        ; implicit-def: $sgpr15
	s_waitcnt vmcnt(0)
	v_cmp_lt_i16_e32 vcc, s0, v3
	s_mov_b64 s[0:1], 0
	s_and_saveexec_b64 s[28:29], vcc
	s_xor_b64 s[28:29], exec, s[28:29]
	s_cbranch_execz .LBB66_587
; %bb.567:
	s_movk_i32 s0, 0x80
	v_cmp_eq_u16_e32 vcc, s0, v3
	s_mov_b64 s[0:1], -1
                                        ; implicit-def: $sgpr15
	s_and_saveexec_b64 s[34:35], vcc
; %bb.568:
	s_mov_b32 s15, 0x7f800001
	s_xor_b64 s[0:1], exec, -1
; %bb.569:
	s_or_b64 exec, exec, s[34:35]
	s_and_b64 s[0:1], s[0:1], exec
	s_or_saveexec_b64 s[28:29], s[28:29]
	v_mov_b32_e32 v2, s15
	s_xor_b64 exec, exec, s[28:29]
	s_cbranch_execnz .LBB66_588
.LBB66_570:
	s_or_b64 exec, exec, s[28:29]
	s_and_saveexec_b64 s[28:29], s[0:1]
	s_cbranch_execz .LBB66_572
.LBB66_571:
	v_lshlrev_b32_e32 v2, 24, v3
	v_and_b32_e32 v3, 0xffff, v3
	v_and_b32_e32 v5, 7, v3
	v_ffbh_u32_e32 v7, v5
	v_min_u32_e32 v7, 32, v7
	v_subrev_u32_e32 v12, 28, v7
	v_bfe_u32 v6, v3, 3, 4
	v_lshlrev_b32_e32 v3, v12, v3
	v_sub_u32_e32 v7, 29, v7
	v_and_b32_e32 v3, 7, v3
	v_cmp_eq_u32_e32 vcc, 0, v6
	v_cndmask_b32_e32 v6, v6, v7, vcc
	v_cndmask_b32_e32 v3, v5, v3, vcc
	v_mov_b32_e32 v5, 0x3b800000
	v_lshlrev_b32_e32 v3, 20, v3
	v_and_b32_e32 v2, 0x80000000, v2
	v_lshl_add_u32 v5, v6, 23, v5
	v_or3_b32 v2, v2, v5, v3
.LBB66_572:
	s_or_b64 exec, exec, s[28:29]
.LBB66_573:
	s_mov_b64 s[0:1], -1
.LBB66_574:
	s_mov_b64 s[28:29], 0
.LBB66_575:
	s_and_b64 vcc, exec, s[28:29]
	s_cbranch_vccz .LBB66_610
; %bb.576:
	v_mov_b32_e32 v2, 22
	v_cmp_gt_i16_sdwa s[28:29], v8, v2 src0_sel:BYTE_0 src1_sel:DWORD
	s_and_b64 vcc, exec, s[28:29]
	s_cbranch_vccz .LBB66_586
; %bb.577:
	v_mov_b32_e32 v2, 24
	v_cmp_lt_i16_sdwa s[0:1], v8, v2 src0_sel:BYTE_0 src1_sel:DWORD
	s_and_b64 vcc, exec, s[0:1]
	s_cbranch_vccnz .LBB66_589
; %bb.578:
	v_cmp_gt_i16_sdwa s[0:1], v8, v2 src0_sel:BYTE_0 src1_sel:DWORD
	s_and_b64 vcc, exec, s[0:1]
	s_cbranch_vccz .LBB66_590
; %bb.579:
	global_load_ubyte v3, v[0:1], off
	s_movk_i32 s0, 0x7f
                                        ; implicit-def: $sgpr15
	s_waitcnt vmcnt(0)
	v_cmp_lt_i16_e32 vcc, s0, v3
	s_mov_b64 s[0:1], 0
	s_and_saveexec_b64 s[28:29], vcc
	s_xor_b64 s[28:29], exec, s[28:29]
	s_cbranch_execz .LBB66_602
; %bb.580:
	s_movk_i32 s0, 0x80
	v_cmp_eq_u16_e32 vcc, s0, v3
	s_mov_b64 s[0:1], -1
                                        ; implicit-def: $sgpr15
	s_and_saveexec_b64 s[34:35], vcc
; %bb.581:
	s_mov_b32 s15, 0x7f800001
	s_xor_b64 s[0:1], exec, -1
; %bb.582:
	s_or_b64 exec, exec, s[34:35]
	s_and_b64 s[0:1], s[0:1], exec
	s_or_saveexec_b64 s[28:29], s[28:29]
	v_mov_b32_e32 v2, s15
	s_xor_b64 exec, exec, s[28:29]
	s_cbranch_execnz .LBB66_603
.LBB66_583:
	s_or_b64 exec, exec, s[28:29]
	s_and_saveexec_b64 s[28:29], s[0:1]
	s_cbranch_execz .LBB66_585
.LBB66_584:
	v_lshlrev_b32_e32 v2, 24, v3
	v_and_b32_e32 v3, 0xffff, v3
	v_and_b32_e32 v5, 3, v3
	v_ffbh_u32_e32 v7, v5
	v_min_u32_e32 v7, 32, v7
	v_subrev_u32_e32 v12, 29, v7
	v_bfe_u32 v6, v3, 2, 5
	v_lshlrev_b32_e32 v3, v12, v3
	v_sub_u32_e32 v7, 30, v7
	v_and_b32_e32 v3, 3, v3
	v_cmp_eq_u32_e32 vcc, 0, v6
	v_cndmask_b32_e32 v6, v6, v7, vcc
	v_cndmask_b32_e32 v3, v5, v3, vcc
	v_mov_b32_e32 v5, 0x37800000
	v_lshlrev_b32_e32 v3, 21, v3
	v_and_b32_e32 v2, 0x80000000, v2
	v_lshl_add_u32 v5, v6, 23, v5
	v_or3_b32 v2, v2, v5, v3
.LBB66_585:
	s_or_b64 exec, exec, s[28:29]
	s_mov_b64 s[0:1], 0
	s_branch .LBB66_591
.LBB66_586:
	s_mov_b64 s[28:29], -1
                                        ; implicit-def: $vgpr2
	s_branch .LBB66_597
.LBB66_587:
	s_or_saveexec_b64 s[28:29], s[28:29]
	v_mov_b32_e32 v2, s15
	s_xor_b64 exec, exec, s[28:29]
	s_cbranch_execz .LBB66_570
.LBB66_588:
	v_cmp_ne_u16_e32 vcc, 0, v3
	s_andn2_b64 s[0:1], s[0:1], exec
	s_and_b64 s[34:35], vcc, exec
	v_mov_b32_e32 v2, 0
	s_or_b64 s[0:1], s[0:1], s[34:35]
	s_or_b64 exec, exec, s[28:29]
	s_and_saveexec_b64 s[28:29], s[0:1]
	s_cbranch_execnz .LBB66_571
	s_branch .LBB66_572
.LBB66_589:
	s_mov_b64 s[0:1], -1
                                        ; implicit-def: $vgpr2
	s_branch .LBB66_594
.LBB66_590:
	s_mov_b64 s[0:1], -1
                                        ; implicit-def: $vgpr2
.LBB66_591:
	s_and_b64 vcc, exec, s[0:1]
	s_cbranch_vccz .LBB66_593
; %bb.592:
	global_load_ubyte v2, v[0:1], off
	s_mov_b32 s0, 0x7f800000
	s_waitcnt vmcnt(0)
	v_lshlrev_b32_e32 v2, 24, v2
	v_and_b32_e32 v3, 0x7f000000, v2
	v_ffbh_u32_e32 v5, v3
	v_min_u32_e32 v5, 32, v5
	v_sub_u32_e64 v5, v5, 4 clamp
	v_lshlrev_b32_e32 v7, v5, v3
	v_lshlrev_b32_e32 v5, 23, v5
	v_lshrrev_b32_e32 v7, 4, v7
	v_add_u32_e32 v6, 0x1000000, v3
	v_sub_u32_e32 v5, v7, v5
	v_ashrrev_i32_e32 v6, 8, v6
	v_add_u32_e32 v5, 0x3c000000, v5
	v_and_or_b32 v5, v6, s0, v5
	v_cmp_ne_u32_e32 vcc, 0, v3
	v_cndmask_b32_e32 v3, 0, v5, vcc
	s_brev_b32 s0, 1
	v_and_or_b32 v2, v2, s0, v3
.LBB66_593:
	s_mov_b64 s[0:1], 0
.LBB66_594:
	s_andn2_b64 vcc, exec, s[0:1]
	s_cbranch_vccnz .LBB66_596
; %bb.595:
	global_load_ubyte v2, v[0:1], off
	s_movk_i32 s0, 0x7f00
	s_brev_b32 s1, 16
	s_waitcnt vmcnt(0)
	v_lshlrev_b16_e32 v3, 8, v2
	v_lshlrev_b32_e32 v2, 25, v2
	v_lshrrev_b32_e32 v5, 4, v2
	v_and_or_b32 v6, v3, s0, 0.5
	v_or_b32_e32 v5, 0x70000000, v5
	v_add_f32_e32 v6, -0.5, v6
	v_mul_f32_e32 v5, 0x7800000, v5
	v_cmp_gt_u32_e32 vcc, s1, v2
	v_bfe_i32 v3, v3, 0, 16
	v_cndmask_b32_e32 v2, v5, v6, vcc
	s_brev_b32 s0, 1
	v_and_or_b32 v2, v3, s0, v2
.LBB66_596:
	s_mov_b64 s[28:29], 0
	s_mov_b64 s[0:1], -1
.LBB66_597:
	s_andn2_b64 vcc, exec, s[28:29]
	s_cbranch_vccnz .LBB66_610
; %bb.598:
	v_mov_b32_e32 v2, 14
	v_cmp_gt_i16_sdwa s[28:29], v8, v2 src0_sel:BYTE_0 src1_sel:DWORD
	s_and_b64 vcc, exec, s[28:29]
	s_cbranch_vccz .LBB66_601
; %bb.599:
	v_mov_b32_e32 v2, 15
	v_cmp_eq_u16_sdwa s[26:27], v8, v2 src0_sel:BYTE_0 src1_sel:DWORD
	s_and_b64 vcc, exec, s[26:27]
	s_cbranch_vccz .LBB66_604
; %bb.600:
	global_load_ushort v2, v[0:1], off
	s_mov_b64 s[0:1], -1
	s_mov_b64 s[26:27], 0
	s_waitcnt vmcnt(0)
	v_lshlrev_b32_e32 v2, 16, v2
	s_branch .LBB66_605
.LBB66_601:
	s_mov_b64 s[28:29], -1
                                        ; implicit-def: $vgpr2
	s_branch .LBB66_606
.LBB66_602:
	s_or_saveexec_b64 s[28:29], s[28:29]
	v_mov_b32_e32 v2, s15
	s_xor_b64 exec, exec, s[28:29]
	s_cbranch_execz .LBB66_583
.LBB66_603:
	v_cmp_ne_u16_e32 vcc, 0, v3
	s_andn2_b64 s[0:1], s[0:1], exec
	s_and_b64 s[34:35], vcc, exec
	v_mov_b32_e32 v2, 0
	s_or_b64 s[0:1], s[0:1], s[34:35]
	s_or_b64 exec, exec, s[28:29]
	s_and_saveexec_b64 s[28:29], s[0:1]
	s_cbranch_execnz .LBB66_584
	s_branch .LBB66_585
.LBB66_604:
	s_mov_b64 s[26:27], -1
                                        ; implicit-def: $vgpr2
.LBB66_605:
	s_mov_b64 s[28:29], 0
.LBB66_606:
	s_and_b64 vcc, exec, s[28:29]
	s_cbranch_vccz .LBB66_610
; %bb.607:
	v_mov_b32_e32 v2, 11
	v_cmp_eq_u16_sdwa s[26:27], v8, v2 src0_sel:BYTE_0 src1_sel:DWORD
	s_and_b64 vcc, exec, s[26:27]
	s_cbranch_vccz .LBB66_609
; %bb.608:
	global_load_ubyte v2, v[0:1], off
	s_mov_b64 s[0:1], -1
	s_mov_b64 s[26:27], 0
	s_waitcnt vmcnt(0)
	v_cmp_ne_u16_e32 vcc, 0, v2
	v_cndmask_b32_e64 v2, 0, 1.0, vcc
	s_branch .LBB66_610
.LBB66_609:
	s_mov_b64 s[26:27], -1
                                        ; implicit-def: $vgpr2
.LBB66_610:
	s_mov_b64 s[28:29], 0
.LBB66_611:
	s_and_b64 vcc, exec, s[28:29]
	s_cbranch_vccz .LBB66_660
; %bb.612:
	v_mov_b32_e32 v2, 5
	v_cmp_lt_i16_sdwa s[0:1], v8, v2 src0_sel:BYTE_0 src1_sel:DWORD
	s_and_b64 vcc, exec, s[0:1]
	s_cbranch_vccnz .LBB66_617
; %bb.613:
	v_mov_b32_e32 v2, 8
	v_cmp_lt_i16_sdwa s[0:1], v8, v2 src0_sel:BYTE_0 src1_sel:DWORD
	s_and_b64 vcc, exec, s[0:1]
	s_cbranch_vccnz .LBB66_618
	;; [unrolled: 5-line block ×3, first 2 shown]
; %bb.615:
	v_cmp_gt_i16_sdwa s[0:1], v8, v2 src0_sel:BYTE_0 src1_sel:DWORD
	s_and_b64 vcc, exec, s[0:1]
	s_cbranch_vccz .LBB66_620
; %bb.616:
	global_load_dwordx2 v[2:3], v[0:1], off
	s_mov_b64 s[0:1], 0
	s_waitcnt vmcnt(0)
	v_cvt_f32_f64_e32 v2, v[2:3]
	s_branch .LBB66_621
.LBB66_617:
	s_mov_b64 s[0:1], -1
                                        ; implicit-def: $vgpr2
	s_branch .LBB66_639
.LBB66_618:
	s_mov_b64 s[0:1], -1
                                        ; implicit-def: $vgpr2
	s_branch .LBB66_627
.LBB66_619:
	s_mov_b64 s[0:1], -1
                                        ; implicit-def: $vgpr2
	s_branch .LBB66_624
.LBB66_620:
	s_mov_b64 s[0:1], -1
                                        ; implicit-def: $vgpr2
.LBB66_621:
	s_andn2_b64 vcc, exec, s[0:1]
	s_cbranch_vccnz .LBB66_623
; %bb.622:
	global_load_dword v2, v[0:1], off
.LBB66_623:
	s_mov_b64 s[0:1], 0
.LBB66_624:
	s_andn2_b64 vcc, exec, s[0:1]
	s_cbranch_vccnz .LBB66_626
; %bb.625:
	global_load_dword v2, v[0:1], off
	s_waitcnt vmcnt(0)
	v_cvt_f32_f16_e32 v2, v2
.LBB66_626:
	s_mov_b64 s[0:1], 0
.LBB66_627:
	s_andn2_b64 vcc, exec, s[0:1]
	s_cbranch_vccnz .LBB66_638
; %bb.628:
	s_waitcnt vmcnt(0)
	v_mov_b32_e32 v2, 6
	v_cmp_lt_i16_sdwa s[0:1], v8, v2 src0_sel:BYTE_0 src1_sel:DWORD
	s_and_b64 vcc, exec, s[0:1]
	s_cbranch_vccnz .LBB66_631
; %bb.629:
	v_cmp_gt_i16_sdwa s[0:1], v8, v2 src0_sel:BYTE_0 src1_sel:DWORD
	s_and_b64 vcc, exec, s[0:1]
	s_cbranch_vccz .LBB66_632
; %bb.630:
	global_load_dwordx2 v[2:3], v[0:1], off
	s_mov_b64 s[0:1], 0
	s_waitcnt vmcnt(0)
	v_cvt_f32_f64_e32 v2, v[2:3]
	s_branch .LBB66_633
.LBB66_631:
	s_mov_b64 s[0:1], -1
                                        ; implicit-def: $vgpr2
	s_branch .LBB66_636
.LBB66_632:
	s_mov_b64 s[0:1], -1
                                        ; implicit-def: $vgpr2
.LBB66_633:
	s_andn2_b64 vcc, exec, s[0:1]
	s_cbranch_vccnz .LBB66_635
; %bb.634:
	global_load_dword v2, v[0:1], off
.LBB66_635:
	s_mov_b64 s[0:1], 0
.LBB66_636:
	s_andn2_b64 vcc, exec, s[0:1]
	s_cbranch_vccnz .LBB66_638
; %bb.637:
	global_load_ushort v2, v[0:1], off
	s_waitcnt vmcnt(0)
	v_cvt_f32_f16_e32 v2, v2
.LBB66_638:
	s_mov_b64 s[0:1], 0
.LBB66_639:
	s_andn2_b64 vcc, exec, s[0:1]
	s_cbranch_vccnz .LBB66_659
; %bb.640:
	s_waitcnt vmcnt(0)
	v_mov_b32_e32 v2, 2
	v_cmp_lt_i16_sdwa s[0:1], v8, v2 src0_sel:BYTE_0 src1_sel:DWORD
	s_and_b64 vcc, exec, s[0:1]
	s_cbranch_vccnz .LBB66_644
; %bb.641:
	v_mov_b32_e32 v2, 3
	v_cmp_lt_i16_sdwa s[0:1], v8, v2 src0_sel:BYTE_0 src1_sel:DWORD
	s_and_b64 vcc, exec, s[0:1]
	s_cbranch_vccnz .LBB66_645
; %bb.642:
	v_cmp_gt_i16_sdwa s[0:1], v8, v2 src0_sel:BYTE_0 src1_sel:DWORD
	s_and_b64 vcc, exec, s[0:1]
	s_cbranch_vccz .LBB66_646
; %bb.643:
	global_load_dwordx2 v[2:3], v[0:1], off
	s_mov_b64 s[0:1], 0
	s_waitcnt vmcnt(0)
	v_xor_b32_e32 v6, v2, v3
	v_ffbh_i32_e32 v5, v3
	v_ashrrev_i32_e32 v6, 31, v6
	v_add_u32_e32 v5, -1, v5
	v_add_u32_e32 v6, 32, v6
	v_min_u32_e32 v5, v5, v6
	v_lshlrev_b64 v[2:3], v5, v[2:3]
	v_min_u32_e32 v2, 1, v2
	v_or_b32_e32 v2, v3, v2
	v_cvt_f32_i32_e32 v2, v2
	v_sub_u32_e32 v3, 32, v5
	v_ldexp_f32 v2, v2, v3
	s_branch .LBB66_647
.LBB66_644:
	s_mov_b64 s[0:1], -1
                                        ; implicit-def: $vgpr2
	s_branch .LBB66_653
.LBB66_645:
	s_mov_b64 s[0:1], -1
                                        ; implicit-def: $vgpr2
	s_branch .LBB66_650
.LBB66_646:
	s_mov_b64 s[0:1], -1
                                        ; implicit-def: $vgpr2
.LBB66_647:
	s_andn2_b64 vcc, exec, s[0:1]
	s_cbranch_vccnz .LBB66_649
; %bb.648:
	global_load_dword v2, v[0:1], off
	s_waitcnt vmcnt(0)
	v_cvt_f32_i32_e32 v2, v2
.LBB66_649:
	s_mov_b64 s[0:1], 0
.LBB66_650:
	s_andn2_b64 vcc, exec, s[0:1]
	s_cbranch_vccnz .LBB66_652
; %bb.651:
	global_load_sshort v2, v[0:1], off
	s_waitcnt vmcnt(0)
	v_cvt_f32_i32_e32 v2, v2
.LBB66_652:
	s_mov_b64 s[0:1], 0
.LBB66_653:
	s_andn2_b64 vcc, exec, s[0:1]
	s_cbranch_vccnz .LBB66_659
; %bb.654:
	v_mov_b32_e32 v2, 0
	v_cmp_gt_i16_sdwa s[0:1], v8, v2 src0_sel:BYTE_0 src1_sel:DWORD
	s_and_b64 vcc, exec, s[0:1]
	s_cbranch_vccz .LBB66_656
; %bb.655:
	global_load_sbyte v2, v[0:1], off
	s_mov_b64 s[0:1], 0
	s_waitcnt vmcnt(0)
	v_cvt_f32_i32_e32 v2, v2
	s_branch .LBB66_657
.LBB66_656:
	s_mov_b64 s[0:1], -1
                                        ; implicit-def: $vgpr2
.LBB66_657:
	s_andn2_b64 vcc, exec, s[0:1]
	s_cbranch_vccnz .LBB66_659
; %bb.658:
	global_load_ubyte v0, v[0:1], off
	s_waitcnt vmcnt(0)
	v_cvt_f32_ubyte0_e32 v2, v0
.LBB66_659:
	s_mov_b64 s[0:1], -1
.LBB66_660:
	s_andn2_b64 vcc, exec, s[0:1]
	s_cbranch_vccnz .LBB66_680
; %bb.661:
	s_waitcnt vmcnt(0)
	v_trunc_f32_e32 v0, v2
	s_mov_b32 s0, 0x2f800000
	v_mul_f32_e64 v1, |v0|, s0
	v_floor_f32_e32 v1, v1
	s_mov_b32 s0, 0xcf800000
	v_cvt_u32_f32_e32 v2, v1
	v_fma_f32 v1, v1, s0, |v0|
	v_cvt_u32_f32_e32 v1, v1
	v_ashrrev_i32_e32 v0, 31, v0
	v_xor_b32_e32 v3, v2, v0
	v_xor_b32_e32 v1, v1, v0
	v_sub_co_u32_e32 v2, vcc, v1, v0
	v_subb_co_u32_e32 v3, vcc, v3, v0, vcc
	v_cmp_lt_i64_e32 vcc, -1, v[2:3]
	v_mov_b32_e32 v0, 0
	s_and_saveexec_b64 s[0:1], vcc
	s_cbranch_execz .LBB66_673
; %bb.662:
	v_cmp_lt_i64_e32 vcc, 0, v[2:3]
	v_mov_b32_e32 v0, 1.0
	s_and_saveexec_b64 s[28:29], vcc
	s_cbranch_execz .LBB66_672
; %bb.663:
	v_cmp_ne_u64_e32 vcc, 1, v[2:3]
                                        ; implicit-def: $vgpr0
	s_and_saveexec_b64 s[34:35], vcc
	s_xor_b64 s[34:35], exec, s[34:35]
	s_cbranch_execz .LBB66_669
; %bb.664:
	s_mov_b64 s[36:37], 0x81
	v_cmp_gt_u64_e32 vcc, s[36:37], v[2:3]
	v_mov_b32_e32 v0, 0x7fc00000
	s_and_saveexec_b64 s[36:37], vcc
	s_cbranch_execz .LBB66_668
; %bb.665:
	s_mov_b64 s[40:41], 1
	s_mov_b64 s[38:39], 0
	v_mov_b32_e32 v1, 1.0
	v_mov_b32_e32 v0, v4
.LBB66_666:                             ; =>This Inner Loop Header: Depth=1
	s_flbit_i32_b32 s15, s41
	s_min_u32 s15, s15, 32
	s_lshl_b64 s[42:43], s[40:41], s15
	s_min_u32 s42, s42, 1
	s_or_b32 s42, s43, s42
	v_cvt_f32_u32_e32 v5, s42
	s_sub_i32 s15, 32, s15
	s_add_u32 s40, s40, 1
	s_addc_u32 s41, s41, 0
	v_ldexp_f32 v5, v5, s15
	v_cmp_eq_u64_e32 vcc, s[40:41], v[2:3]
	v_mul_f32_e32 v5, v1, v5
	s_or_b64 s[38:39], vcc, s[38:39]
	v_mov_b32_e32 v1, v0
	v_fma_f32 v0, v4, v0, -v5
	s_andn2_b64 exec, exec, s[38:39]
	s_cbranch_execnz .LBB66_666
; %bb.667:
	s_or_b64 exec, exec, s[38:39]
.LBB66_668:
	s_or_b64 exec, exec, s[36:37]
                                        ; implicit-def: $vgpr4
.LBB66_669:
	s_andn2_saveexec_b64 s[34:35], s[34:35]
; %bb.670:
	v_mov_b32_e32 v0, v4
; %bb.671:
	s_or_b64 exec, exec, s[34:35]
.LBB66_672:
	s_or_b64 exec, exec, s[28:29]
.LBB66_673:
	s_or_b64 exec, exec, s[0:1]
	v_mul_lo_u32 v1, v11, s12
	v_ashrrev_i32_e32 v3, 31, v1
	v_mov_b32_e32 v4, s9
	v_add_co_u32_e32 v2, vcc, s8, v1
	v_mov_b32_e32 v1, 11
	v_addc_co_u32_e32 v3, vcc, v4, v3, vcc
	v_cmp_lt_i16_sdwa s[0:1], v10, v1 src0_sel:BYTE_0 src1_sel:DWORD
	s_and_b64 vcc, exec, s[0:1]
	s_cbranch_vccnz .LBB66_681
; %bb.674:
	v_mov_b32_e32 v1, 25
	v_cmp_gt_i16_sdwa s[0:1], v10, v1 src0_sel:BYTE_0 src1_sel:DWORD
	s_and_b64 vcc, exec, s[0:1]
	s_cbranch_vccz .LBB66_682
; %bb.675:
	v_mov_b32_e32 v1, 28
	v_cmp_gt_i16_sdwa s[0:1], v10, v1 src0_sel:BYTE_0 src1_sel:DWORD
	s_and_b64 vcc, exec, s[0:1]
	s_cbranch_vccz .LBB66_683
	;; [unrolled: 5-line block ×4, first 2 shown]
; %bb.678:
	v_mov_b32_e32 v1, 46
	v_cmp_eq_u16_sdwa s[28:29], v10, v1 src0_sel:BYTE_0 src1_sel:DWORD
	s_mov_b64 s[34:35], 0
	s_mov_b64 s[0:1], -1
	s_and_b64 vcc, exec, s[28:29]
	s_mov_b64 s[28:29], 0
	s_cbranch_vccz .LBB66_686
; %bb.679:
	v_bfe_u32 v1, v0, 16, 1
	s_movk_i32 s0, 0x7fff
	v_add3_u32 v1, v0, v1, s0
	v_lshrrev_b32_e32 v1, 16, v1
	v_mov_b32_e32 v4, 0x7fc0
	v_cmp_o_f32_e32 vcc, v0, v0
	v_cndmask_b32_e32 v1, v4, v1, vcc
	global_store_dword v[2:3], v1, off
	s_mov_b64 s[28:29], -1
	s_mov_b64 s[0:1], 0
	s_branch .LBB66_686
.LBB66_680:
	s_mov_b64 s[34:35], 0
                                        ; implicit-def: $vgpr11
	s_mov_b64 s[0:1], s[6:7]
	s_branch .LBB66_796
.LBB66_681:
	s_mov_b64 s[34:35], -1
	s_mov_b64 s[28:29], 0
	s_mov_b64 s[0:1], s[6:7]
	s_branch .LBB66_755
.LBB66_682:
	s_mov_b64 s[34:35], -1
	s_mov_b64 s[28:29], 0
	s_mov_b64 s[0:1], s[6:7]
	s_branch .LBB66_713
.LBB66_683:
	s_mov_b64 s[34:35], -1
	s_mov_b64 s[28:29], 0
	s_mov_b64 s[0:1], s[6:7]
	s_branch .LBB66_696
.LBB66_684:
	s_mov_b64 s[34:35], -1
	s_mov_b64 s[28:29], 0
	s_mov_b64 s[0:1], s[6:7]
	s_branch .LBB66_692
.LBB66_685:
	s_mov_b64 s[34:35], -1
	s_mov_b64 s[28:29], 0
	s_mov_b64 s[0:1], s[6:7]
.LBB66_686:
	s_and_b64 vcc, exec, s[34:35]
	s_cbranch_vccz .LBB66_691
; %bb.687:
	v_mov_b32_e32 v1, 44
	v_cmp_eq_u16_sdwa s[34:35], v10, v1 src0_sel:BYTE_0 src1_sel:DWORD
	s_mov_b64 s[0:1], -1
	s_and_b64 vcc, exec, s[34:35]
	s_cbranch_vccz .LBB66_691
; %bb.688:
	v_bfe_u32 v1, v0, 23, 8
	s_movk_i32 s0, 0xff
	v_cmp_ne_u32_e32 vcc, s0, v1
	v_mov_b32_e32 v4, 0xff
	s_and_saveexec_b64 s[28:29], vcc
; %bb.689:
	s_mov_b32 s0, 0x3fffff
	v_and_b32_e32 v5, 0x400000, v0
	v_and_or_b32 v1, v0, s0, v1
	v_cmp_ne_u32_e32 vcc, 0, v5
	v_cmp_ne_u32_e64 s[0:1], 0, v1
	s_and_b64 s[0:1], vcc, s[0:1]
	v_lshrrev_b32_e32 v4, 23, v0
	v_cndmask_b32_e64 v1, 0, 1, s[0:1]
	v_add_u32_e32 v4, v4, v1
; %bb.690:
	s_or_b64 exec, exec, s[28:29]
	s_mov_b64 s[28:29], -1
	s_mov_b64 s[0:1], 0
	global_store_byte v[2:3], v4, off
.LBB66_691:
	s_mov_b64 s[34:35], 0
.LBB66_692:
	s_and_b64 vcc, exec, s[34:35]
	s_cbranch_vccz .LBB66_695
; %bb.693:
	v_mov_b32_e32 v1, 29
	v_cmp_eq_u16_sdwa s[34:35], v10, v1 src0_sel:BYTE_0 src1_sel:DWORD
	s_mov_b64 s[0:1], -1
	s_and_b64 vcc, exec, s[34:35]
	s_cbranch_vccz .LBB66_695
; %bb.694:
	v_trunc_f32_e32 v1, v0
	v_mul_f32_e32 v4, 0x2f800000, v1
	v_floor_f32_e32 v4, v4
	v_fmac_f32_e32 v1, 0xcf800000, v4
	v_cvt_u32_f32_e32 v5, v4
	v_cvt_u32_f32_e32 v4, v1
	s_mov_b64 s[28:29], -1
	s_mov_b64 s[0:1], 0
	s_mov_b64 s[34:35], 0
	global_store_dwordx2 v[2:3], v[4:5], off
	s_branch .LBB66_696
.LBB66_695:
	s_mov_b64 s[34:35], 0
.LBB66_696:
	s_and_b64 vcc, exec, s[34:35]
	s_cbranch_vccz .LBB66_712
; %bb.697:
	v_mov_b32_e32 v1, 27
	v_cmp_lt_i16_sdwa s[34:35], v10, v1 src0_sel:BYTE_0 src1_sel:DWORD
	s_mov_b64 s[28:29], -1
	s_and_b64 vcc, exec, s[34:35]
	s_cbranch_vccnz .LBB66_703
; %bb.698:
	v_cmp_gt_i16_sdwa s[34:35], v10, v1 src0_sel:BYTE_0 src1_sel:DWORD
	v_cvt_u32_f32_e32 v1, v0
	s_and_b64 vcc, exec, s[34:35]
	s_cbranch_vccz .LBB66_700
; %bb.699:
	s_mov_b64 s[28:29], 0
	global_store_dword v[2:3], v1, off
.LBB66_700:
	s_andn2_b64 vcc, exec, s[28:29]
	s_cbranch_vccnz .LBB66_702
; %bb.701:
	global_store_short v[2:3], v1, off
.LBB66_702:
	s_mov_b64 s[28:29], 0
.LBB66_703:
	s_andn2_b64 vcc, exec, s[28:29]
	s_cbranch_vccnz .LBB66_711
; %bb.704:
	v_and_b32_e32 v1, 0x7fffffff, v0
	s_mov_b32 s15, 0x43800000
	v_cmp_gt_u32_e32 vcc, s15, v1
	v_mov_b32_e32 v4, 0x80
	s_and_saveexec_b64 s[28:29], vcc
	s_cbranch_execz .LBB66_710
; %bb.705:
	s_mov_b32 s15, 0x3bffffff
	v_cmp_lt_u32_e32 vcc, s15, v1
	s_mov_b64 s[34:35], 0
                                        ; implicit-def: $vgpr1
	s_and_saveexec_b64 s[36:37], vcc
	s_xor_b64 s[36:37], exec, s[36:37]
	s_cbranch_execz .LBB66_812
; %bb.706:
	v_bfe_u32 v1, v0, 20, 1
	s_mov_b32 s15, 0x487ffff
	v_add3_u32 v1, v0, v1, s15
	s_mov_b64 s[34:35], exec
	v_lshrrev_b32_e32 v1, 20, v1
	s_or_saveexec_b64 s[36:37], s[36:37]
                                        ; implicit-def: $sgpr15
	s_xor_b64 exec, exec, s[36:37]
	s_cbranch_execnz .LBB66_813
.LBB66_707:
	s_or_b64 exec, exec, s[36:37]
	v_mov_b32_e32 v4, s15
	s_and_saveexec_b64 s[36:37], s[34:35]
.LBB66_708:
	v_lshrrev_b32_e32 v4, 24, v0
	s_movk_i32 s15, 0x80
	v_and_or_b32 v4, v4, s15, v1
.LBB66_709:
	s_or_b64 exec, exec, s[36:37]
.LBB66_710:
	s_or_b64 exec, exec, s[28:29]
	global_store_byte v[2:3], v4, off
.LBB66_711:
	s_mov_b64 s[28:29], -1
.LBB66_712:
	s_mov_b64 s[34:35], 0
.LBB66_713:
	s_and_b64 vcc, exec, s[34:35]
	s_cbranch_vccz .LBB66_754
; %bb.714:
	v_mov_b32_e32 v1, 22
	v_cmp_gt_i16_sdwa s[36:37], v10, v1 src0_sel:BYTE_0 src1_sel:DWORD
	s_mov_b64 s[34:35], -1
	s_and_b64 vcc, exec, s[36:37]
	s_cbranch_vccz .LBB66_746
; %bb.715:
	v_mov_b32_e32 v1, 24
	v_cmp_lt_i16_sdwa s[34:35], v10, v1 src0_sel:BYTE_0 src1_sel:DWORD
	s_mov_b64 s[28:29], -1
	s_and_b64 vcc, exec, s[34:35]
	s_cbranch_vccnz .LBB66_735
; %bb.716:
	v_cmp_gt_i16_sdwa s[34:35], v10, v1 src0_sel:BYTE_0 src1_sel:DWORD
	s_and_b64 vcc, exec, s[34:35]
	s_cbranch_vccz .LBB66_724
; %bb.717:
	v_and_b32_e32 v1, 0x7fffffff, v0
	s_mov_b32 s15, 0x47800000
	v_cmp_gt_u32_e32 vcc, s15, v1
	v_mov_b32_e32 v4, 0x80
	s_and_saveexec_b64 s[28:29], vcc
	s_cbranch_execz .LBB66_723
; %bb.718:
	s_mov_b32 s15, 0x37ffffff
	v_cmp_lt_u32_e32 vcc, s15, v1
	s_mov_b64 s[34:35], 0
                                        ; implicit-def: $vgpr1
	s_and_saveexec_b64 s[36:37], vcc
	s_xor_b64 s[36:37], exec, s[36:37]
	s_cbranch_execz .LBB66_944
; %bb.719:
	v_bfe_u32 v1, v0, 21, 1
	s_mov_b32 s15, 0x88fffff
	v_add3_u32 v1, v0, v1, s15
	s_mov_b64 s[34:35], exec
	v_lshrrev_b32_e32 v1, 21, v1
	s_or_saveexec_b64 s[36:37], s[36:37]
                                        ; implicit-def: $sgpr15
	s_xor_b64 exec, exec, s[36:37]
	s_cbranch_execnz .LBB66_945
.LBB66_720:
	s_or_b64 exec, exec, s[36:37]
	v_mov_b32_e32 v4, s15
	s_and_saveexec_b64 s[36:37], s[34:35]
.LBB66_721:
	v_lshrrev_b32_e32 v4, 24, v0
	s_movk_i32 s15, 0x80
	v_and_or_b32 v4, v4, s15, v1
.LBB66_722:
	s_or_b64 exec, exec, s[36:37]
.LBB66_723:
	s_or_b64 exec, exec, s[28:29]
	s_mov_b64 s[28:29], 0
	global_store_byte v[2:3], v4, off
.LBB66_724:
	s_and_b64 vcc, exec, s[28:29]
	s_cbranch_vccz .LBB66_734
; %bb.725:
	v_and_b32_e32 v4, 0x7fffffff, v0
	s_mov_b32 s15, 0x43f00000
	v_cmp_gt_u32_e32 vcc, s15, v4
                                        ; implicit-def: $vgpr1
	s_and_saveexec_b64 s[28:29], vcc
	s_xor_b64 s[28:29], exec, s[28:29]
	s_cbranch_execz .LBB66_731
; %bb.726:
	s_mov_b32 s15, 0x3c7fffff
	v_cmp_lt_u32_e32 vcc, s15, v4
                                        ; implicit-def: $vgpr1
	s_and_saveexec_b64 s[34:35], vcc
	s_xor_b64 s[34:35], exec, s[34:35]
; %bb.727:
	v_bfe_u32 v1, v0, 20, 1
	s_mov_b32 s15, 0x407ffff
	v_add3_u32 v1, v0, v1, s15
	v_lshrrev_b32_e32 v4, 20, v1
	v_and_b32_e32 v1, 0xff00000, v1
	s_mov_b32 s15, 0x7f00000
	v_mov_b32_e32 v5, 0x7e
	v_cmp_ne_u32_e32 vcc, s15, v1
	v_cndmask_b32_e32 v1, v5, v4, vcc
; %bb.728:
	s_andn2_saveexec_b64 s[34:35], s[34:35]
; %bb.729:
	s_mov_b32 s15, 0x46800000
	v_add_f32_e64 v1, |v0|, s15
; %bb.730:
	s_or_b64 exec, exec, s[34:35]
                                        ; implicit-def: $vgpr4
.LBB66_731:
	s_andn2_saveexec_b64 s[28:29], s[28:29]
; %bb.732:
	s_mov_b32 s15, 0x7f800000
	v_mov_b32_e32 v1, 0x7e
	v_mov_b32_e32 v5, 0x7f
	v_cmp_lt_u32_e32 vcc, s15, v4
	v_cndmask_b32_e32 v1, v1, v5, vcc
; %bb.733:
	s_or_b64 exec, exec, s[28:29]
	v_lshrrev_b32_e32 v4, 24, v0
	s_movk_i32 s15, 0x80
	v_and_or_b32 v1, v4, s15, v1
	global_store_byte v[2:3], v1, off
.LBB66_734:
	s_mov_b64 s[28:29], 0
.LBB66_735:
	s_andn2_b64 vcc, exec, s[28:29]
	s_cbranch_vccnz .LBB66_745
; %bb.736:
	v_and_b32_e32 v4, 0x7fffffff, v0
	s_mov_b32 s15, 0x47800000
	v_cmp_gt_u32_e32 vcc, s15, v4
                                        ; implicit-def: $vgpr1
	s_and_saveexec_b64 s[28:29], vcc
	s_xor_b64 s[28:29], exec, s[28:29]
	s_cbranch_execz .LBB66_742
; %bb.737:
	s_mov_b32 s15, 0x387fffff
	v_cmp_lt_u32_e32 vcc, s15, v4
                                        ; implicit-def: $vgpr1
	s_and_saveexec_b64 s[34:35], vcc
	s_xor_b64 s[34:35], exec, s[34:35]
; %bb.738:
	v_bfe_u32 v1, v0, 21, 1
	s_mov_b32 s15, 0x80fffff
	v_add3_u32 v1, v0, v1, s15
	v_lshrrev_b32_e32 v1, 21, v1
; %bb.739:
	s_andn2_saveexec_b64 s[34:35], s[34:35]
; %bb.740:
	s_mov_b32 s15, 0x43000000
	v_add_f32_e64 v1, |v0|, s15
; %bb.741:
	s_or_b64 exec, exec, s[34:35]
                                        ; implicit-def: $vgpr4
.LBB66_742:
	s_andn2_saveexec_b64 s[28:29], s[28:29]
; %bb.743:
	s_mov_b32 s15, 0x7f800000
	v_mov_b32_e32 v1, 0x7c
	v_mov_b32_e32 v5, 0x7f
	v_cmp_lt_u32_e32 vcc, s15, v4
	v_cndmask_b32_e32 v1, v1, v5, vcc
; %bb.744:
	s_or_b64 exec, exec, s[28:29]
	v_lshrrev_b32_e32 v4, 24, v0
	s_movk_i32 s15, 0x80
	v_and_or_b32 v1, v4, s15, v1
	global_store_byte v[2:3], v1, off
.LBB66_745:
	s_mov_b64 s[34:35], 0
	s_mov_b64 s[28:29], -1
.LBB66_746:
	s_andn2_b64 vcc, exec, s[34:35]
	s_cbranch_vccnz .LBB66_754
; %bb.747:
	v_mov_b32_e32 v1, 14
	v_cmp_gt_i16_sdwa s[36:37], v10, v1 src0_sel:BYTE_0 src1_sel:DWORD
	s_mov_b64 s[34:35], -1
	s_and_b64 vcc, exec, s[36:37]
	s_cbranch_vccz .LBB66_751
; %bb.748:
	v_mov_b32_e32 v1, 15
	v_cmp_eq_u16_sdwa s[34:35], v10, v1 src0_sel:BYTE_0 src1_sel:DWORD
	s_mov_b64 s[0:1], -1
	s_and_b64 vcc, exec, s[34:35]
	s_cbranch_vccz .LBB66_750
; %bb.749:
	v_bfe_u32 v1, v0, 16, 1
	s_movk_i32 s0, 0x7fff
	v_add3_u32 v1, v0, v1, s0
	v_lshrrev_b32_e32 v1, 16, v1
	v_mov_b32_e32 v4, 0x7fc0
	v_cmp_o_f32_e32 vcc, v0, v0
	v_cndmask_b32_e32 v1, v4, v1, vcc
	global_store_short v[2:3], v1, off
	s_mov_b64 s[28:29], -1
	s_mov_b64 s[0:1], 0
.LBB66_750:
	s_mov_b64 s[34:35], 0
.LBB66_751:
	s_and_b64 vcc, exec, s[34:35]
	s_cbranch_vccz .LBB66_754
; %bb.752:
	v_mov_b32_e32 v1, 11
	v_cmp_eq_u16_sdwa s[34:35], v10, v1 src0_sel:BYTE_0 src1_sel:DWORD
	s_mov_b64 s[0:1], -1
	s_and_b64 vcc, exec, s[34:35]
	s_cbranch_vccz .LBB66_754
; %bb.753:
	v_cmp_neq_f32_e32 vcc, 0, v0
	v_cndmask_b32_e64 v1, 0, 1, vcc
	s_mov_b64 s[28:29], -1
	s_mov_b64 s[0:1], 0
	global_store_byte v[2:3], v1, off
.LBB66_754:
	s_mov_b64 s[34:35], 0
.LBB66_755:
	s_and_b64 vcc, exec, s[34:35]
	s_cbranch_vccz .LBB66_794
; %bb.756:
	v_mov_b32_e32 v1, 5
	v_cmp_lt_i16_sdwa s[34:35], v10, v1 src0_sel:BYTE_0 src1_sel:DWORD
	s_mov_b64 s[28:29], -1
	s_and_b64 vcc, exec, s[34:35]
	s_cbranch_vccnz .LBB66_777
; %bb.757:
	v_mov_b32_e32 v1, 8
	v_cmp_lt_i16_sdwa s[34:35], v10, v1 src0_sel:BYTE_0 src1_sel:DWORD
	s_and_b64 vcc, exec, s[34:35]
	s_cbranch_vccnz .LBB66_767
; %bb.758:
	v_mov_b32_e32 v1, 9
	v_cmp_lt_i16_sdwa s[34:35], v10, v1 src0_sel:BYTE_0 src1_sel:DWORD
	s_and_b64 vcc, exec, s[34:35]
	s_cbranch_vccnz .LBB66_764
; %bb.759:
	v_cmp_gt_i16_sdwa s[34:35], v10, v1 src0_sel:BYTE_0 src1_sel:DWORD
	s_and_b64 vcc, exec, s[34:35]
	s_cbranch_vccz .LBB66_761
; %bb.760:
	v_mov_b32_e32 v6, 0
	v_cvt_f64_f32_e32 v[4:5], v0
	v_mov_b32_e32 v7, v6
	s_mov_b64 s[28:29], 0
	global_store_dwordx4 v[2:3], v[4:7], off
.LBB66_761:
	s_andn2_b64 vcc, exec, s[28:29]
	s_cbranch_vccnz .LBB66_763
; %bb.762:
	v_mov_b32_e32 v1, 0
	global_store_dwordx2 v[2:3], v[0:1], off
.LBB66_763:
	s_mov_b64 s[28:29], 0
.LBB66_764:
	s_andn2_b64 vcc, exec, s[28:29]
	s_cbranch_vccnz .LBB66_766
; %bb.765:
	v_cvt_f16_f32_e32 v1, v0
	global_store_dword v[2:3], v1, off
.LBB66_766:
	s_mov_b64 s[28:29], 0
.LBB66_767:
	s_andn2_b64 vcc, exec, s[28:29]
	s_cbranch_vccnz .LBB66_776
; %bb.768:
	v_mov_b32_e32 v1, 6
	v_cmp_lt_i16_sdwa s[34:35], v10, v1 src0_sel:BYTE_0 src1_sel:DWORD
	s_mov_b64 s[28:29], -1
	s_and_b64 vcc, exec, s[34:35]
	s_cbranch_vccnz .LBB66_774
; %bb.769:
	v_cmp_gt_i16_sdwa s[34:35], v10, v1 src0_sel:BYTE_0 src1_sel:DWORD
	s_and_b64 vcc, exec, s[34:35]
	s_cbranch_vccz .LBB66_771
; %bb.770:
	v_cvt_f64_f32_e32 v[4:5], v0
	s_mov_b64 s[28:29], 0
	global_store_dwordx2 v[2:3], v[4:5], off
.LBB66_771:
	s_andn2_b64 vcc, exec, s[28:29]
	s_cbranch_vccnz .LBB66_773
; %bb.772:
	global_store_dword v[2:3], v0, off
.LBB66_773:
	s_mov_b64 s[28:29], 0
.LBB66_774:
	s_andn2_b64 vcc, exec, s[28:29]
	s_cbranch_vccnz .LBB66_776
; %bb.775:
	v_cvt_f16_f32_e32 v1, v0
	global_store_short v[2:3], v1, off
.LBB66_776:
	s_mov_b64 s[28:29], 0
.LBB66_777:
	s_andn2_b64 vcc, exec, s[28:29]
	s_cbranch_vccnz .LBB66_793
; %bb.778:
	v_mov_b32_e32 v1, 2
	v_cmp_lt_i16_sdwa s[34:35], v10, v1 src0_sel:BYTE_0 src1_sel:DWORD
	s_mov_b64 s[28:29], -1
	s_and_b64 vcc, exec, s[34:35]
	s_cbranch_vccnz .LBB66_788
; %bb.779:
	v_mov_b32_e32 v1, 3
	v_cmp_lt_i16_sdwa s[34:35], v10, v1 src0_sel:BYTE_0 src1_sel:DWORD
	s_and_b64 vcc, exec, s[34:35]
	s_cbranch_vccnz .LBB66_785
; %bb.780:
	v_cmp_gt_i16_sdwa s[34:35], v10, v1 src0_sel:BYTE_0 src1_sel:DWORD
	s_and_b64 vcc, exec, s[34:35]
	s_cbranch_vccz .LBB66_782
; %bb.781:
	v_trunc_f32_e32 v1, v0
	s_mov_b32 s15, 0x2f800000
	v_mul_f32_e64 v4, |v1|, s15
	v_floor_f32_e32 v4, v4
	s_mov_b32 s15, 0xcf800000
	v_cvt_u32_f32_e32 v5, v4
	v_fma_f32 v4, v4, s15, |v1|
	v_cvt_u32_f32_e32 v4, v4
	v_ashrrev_i32_e32 v1, 31, v1
	v_xor_b32_e32 v5, v5, v1
	s_mov_b64 s[28:29], 0
	v_xor_b32_e32 v4, v4, v1
	v_sub_co_u32_e32 v4, vcc, v4, v1
	v_subb_co_u32_e32 v5, vcc, v5, v1, vcc
	global_store_dwordx2 v[2:3], v[4:5], off
.LBB66_782:
	s_andn2_b64 vcc, exec, s[28:29]
	s_cbranch_vccnz .LBB66_784
; %bb.783:
	v_cvt_i32_f32_e32 v1, v0
	global_store_dword v[2:3], v1, off
.LBB66_784:
	s_mov_b64 s[28:29], 0
.LBB66_785:
	s_andn2_b64 vcc, exec, s[28:29]
	s_cbranch_vccnz .LBB66_787
; %bb.786:
	v_cvt_i32_f32_e32 v1, v0
	global_store_short v[2:3], v1, off
.LBB66_787:
	s_mov_b64 s[28:29], 0
.LBB66_788:
	s_andn2_b64 vcc, exec, s[28:29]
	s_cbranch_vccnz .LBB66_793
; %bb.789:
	v_mov_b32_e32 v1, 0
	v_cmp_gt_i16_sdwa s[34:35], v10, v1 src0_sel:BYTE_0 src1_sel:DWORD
	s_mov_b64 s[28:29], -1
	s_and_b64 vcc, exec, s[34:35]
	s_cbranch_vccz .LBB66_791
; %bb.790:
	v_cvt_i32_f32_e32 v1, v0
	s_mov_b64 s[28:29], 0
	global_store_byte v[2:3], v1, off
.LBB66_791:
	s_andn2_b64 vcc, exec, s[28:29]
	s_cbranch_vccnz .LBB66_793
; %bb.792:
	v_trunc_f32_e32 v0, v0
	s_mov_b32 s15, 0x2f800000
	v_mul_f32_e64 v1, |v0|, s15
	v_floor_f32_e32 v1, v1
	s_mov_b32 s15, 0xcf800000
	v_fma_f32 v1, v1, s15, |v0|
	v_cvt_u32_f32_e32 v1, v1
	v_ashrrev_i32_e32 v0, 31, v0
	v_xor_b32_e32 v1, v1, v0
	v_sub_u32_e32 v0, v1, v0
	global_store_byte v[2:3], v0, off
.LBB66_793:
	s_mov_b64 s[28:29], -1
.LBB66_794:
	s_andn2_b64 vcc, exec, s[28:29]
	s_cbranch_vccnz .LBB66_807
; %bb.795:
	v_add_u32_e32 v11, 0x80, v11
	s_mov_b64 s[34:35], -1
.LBB66_796:
	s_andn2_b64 s[28:29], s[6:7], exec
	s_and_b64 s[0:1], s[0:1], exec
	s_or_b64 s[28:29], s[28:29], s[0:1]
	s_andn2_b64 s[0:1], s[18:19], exec
	s_and_b64 s[26:27], s[26:27], exec
	s_or_b64 s[26:27], s[0:1], s[26:27]
	;; [unrolled: 3-line block ×3, first 2 shown]
	s_orn2_b64 s[0:1], s[34:35], exec
.LBB66_797:
	s_or_b64 exec, exec, s[30:31]
	s_mov_b64 s[34:35], 0
	s_mov_b64 s[36:37], 0
	s_mov_b64 s[38:39], 0
                                        ; implicit-def: $vgpr2
                                        ; implicit-def: $vgpr0_vgpr1
                                        ; implicit-def: $vgpr4
	s_and_saveexec_b64 s[30:31], s[0:1]
	s_cbranch_execz .LBB66_1283
; %bb.798:
	v_cmp_gt_i32_e32 vcc, s33, v11
	s_mov_b64 s[46:47], -1
	s_mov_b64 s[0:1], s[24:25]
	s_mov_b64 s[38:39], s[26:27]
	;; [unrolled: 1-line block ×3, first 2 shown]
	s_and_saveexec_b64 s[34:35], vcc
	s_cbranch_execz .LBB66_1198
; %bb.799:
	v_mul_lo_u32 v0, v11, s13
	v_ashrrev_i32_e32 v1, 31, v0
	s_waitcnt vmcnt(0)
	v_mov_b32_e32 v2, s11
	v_add_co_u32_e32 v0, vcc, s10, v0
	v_addc_co_u32_e32 v1, vcc, v2, v1, vcc
	v_mov_b32_e32 v2, 11
	v_cmp_lt_i16_sdwa s[0:1], v9, v2 src0_sel:BYTE_0 src1_sel:DWORD
	s_and_b64 vcc, exec, s[0:1]
	s_cbranch_vccnz .LBB66_806
; %bb.800:
	v_mov_b32_e32 v2, 25
	v_cmp_gt_i16_sdwa s[0:1], v9, v2 src0_sel:BYTE_0 src1_sel:DWORD
	s_and_b64 vcc, exec, s[0:1]
	s_cbranch_vccz .LBB66_808
; %bb.801:
	v_mov_b32_e32 v2, 28
	v_cmp_gt_i16_sdwa s[0:1], v9, v2 src0_sel:BYTE_0 src1_sel:DWORD
	s_and_b64 vcc, exec, s[0:1]
	s_cbranch_vccz .LBB66_809
	;; [unrolled: 5-line block ×4, first 2 shown]
; %bb.804:
	v_mov_b32_e32 v2, 46
	v_cmp_eq_u16_sdwa s[0:1], v9, v2 src0_sel:BYTE_0 src1_sel:DWORD
	s_mov_b64 s[38:39], 0
	s_and_b64 vcc, exec, s[0:1]
	s_cbranch_vccz .LBB66_814
; %bb.805:
	global_load_dword v2, v[0:1], off
	s_mov_b64 s[0:1], -1
	s_waitcnt vmcnt(0)
	v_lshlrev_b32_e32 v4, 16, v2
	s_branch .LBB66_815
.LBB66_806:
	s_mov_b64 s[38:39], -1
	s_mov_b64 s[0:1], 0
                                        ; implicit-def: $vgpr4
	s_mov_b64 s[36:37], s[24:25]
	s_branch .LBB66_880
.LBB66_807:
	s_mov_b64 s[34:35], 0
	s_branch .LBB66_542
.LBB66_808:
	s_mov_b64 s[38:39], -1
	s_mov_b64 s[0:1], 0
	s_mov_b64 s[36:37], s[24:25]
                                        ; implicit-def: $vgpr4
	s_branch .LBB66_844
.LBB66_809:
	s_mov_b64 s[38:39], -1
	s_mov_b64 s[0:1], 0
	s_mov_b64 s[36:37], s[24:25]
                                        ; implicit-def: $vgpr4
	s_branch .LBB66_825
.LBB66_810:
	s_mov_b64 s[38:39], -1
	s_mov_b64 s[0:1], 0
	s_mov_b64 s[36:37], s[24:25]
                                        ; implicit-def: $vgpr4
	s_branch .LBB66_820
.LBB66_811:
	s_mov_b64 s[38:39], -1
	s_mov_b64 s[0:1], 0
	s_mov_b64 s[36:37], s[24:25]
                                        ; implicit-def: $vgpr4
	s_branch .LBB66_815
.LBB66_812:
	s_or_saveexec_b64 s[36:37], s[36:37]
                                        ; implicit-def: $sgpr15
	s_xor_b64 exec, exec, s[36:37]
	s_cbranch_execz .LBB66_707
.LBB66_813:
	s_mov_b32 s15, 0x46000000
	v_add_f32_e64 v1, |v0|, s15
	v_and_b32_e32 v1, 0xff, v1
	v_cmp_ne_u32_e32 vcc, 0, v1
	s_andn2_b64 s[34:35], s[34:35], exec
	s_and_b64 s[38:39], vcc, exec
	s_mov_b32 s15, 0
	s_or_b64 s[34:35], s[34:35], s[38:39]
	s_or_b64 exec, exec, s[36:37]
	v_mov_b32_e32 v4, s15
	s_and_saveexec_b64 s[36:37], s[34:35]
	s_cbranch_execnz .LBB66_708
	s_branch .LBB66_709
.LBB66_814:
	s_mov_b64 s[36:37], -1
                                        ; implicit-def: $vgpr4
	s_mov_b64 s[0:1], 0
.LBB66_815:
	s_and_b64 vcc, exec, s[38:39]
	s_cbranch_vccz .LBB66_819
; %bb.816:
	v_mov_b32_e32 v2, 44
	v_cmp_eq_u16_sdwa s[36:37], v9, v2 src0_sel:BYTE_0 src1_sel:DWORD
	s_and_b64 vcc, exec, s[36:37]
	s_cbranch_vccz .LBB66_818
; %bb.817:
	global_load_ubyte v2, v[0:1], off
	s_movk_i32 s15, 0xff
	v_mov_b32_e32 v3, 0x7f800001
	v_mov_b32_e32 v4, 0x400000
	s_mov_b64 s[0:1], -1
	s_mov_b64 s[36:37], 0
	s_waitcnt vmcnt(0)
	v_lshlrev_b32_e32 v5, 23, v2
	v_cmp_ne_u32_e32 vcc, s15, v2
	v_cndmask_b32_e32 v3, v3, v5, vcc
	v_cmp_ne_u32_e32 vcc, 0, v2
	v_cndmask_b32_e32 v4, v4, v3, vcc
	s_branch .LBB66_819
.LBB66_818:
	s_mov_b64 s[36:37], -1
                                        ; implicit-def: $vgpr4
.LBB66_819:
	s_mov_b64 s[38:39], 0
.LBB66_820:
	s_and_b64 vcc, exec, s[38:39]
	s_cbranch_vccz .LBB66_824
; %bb.821:
	v_mov_b32_e32 v2, 29
	v_cmp_eq_u16_sdwa s[36:37], v9, v2 src0_sel:BYTE_0 src1_sel:DWORD
	s_and_b64 vcc, exec, s[36:37]
	s_cbranch_vccz .LBB66_823
; %bb.822:
	global_load_dwordx2 v[2:3], v[0:1], off
	s_mov_b64 s[0:1], -1
	s_mov_b64 s[36:37], 0
	s_mov_b64 s[38:39], 0
	s_waitcnt vmcnt(0)
	v_ffbh_u32_e32 v4, v3
	v_min_u32_e32 v4, 32, v4
	v_lshlrev_b64 v[2:3], v4, v[2:3]
	v_min_u32_e32 v2, 1, v2
	v_or_b32_e32 v2, v3, v2
	v_cvt_f32_u32_e32 v2, v2
	v_sub_u32_e32 v3, 32, v4
	v_ldexp_f32 v4, v2, v3
	s_branch .LBB66_825
.LBB66_823:
	s_mov_b64 s[36:37], -1
                                        ; implicit-def: $vgpr4
.LBB66_824:
	s_mov_b64 s[38:39], 0
.LBB66_825:
	s_and_b64 vcc, exec, s[38:39]
	s_cbranch_vccz .LBB66_843
; %bb.826:
	v_mov_b32_e32 v2, 27
	v_cmp_lt_i16_sdwa s[0:1], v9, v2 src0_sel:BYTE_0 src1_sel:DWORD
	s_and_b64 vcc, exec, s[0:1]
	s_cbranch_vccnz .LBB66_829
; %bb.827:
	v_cmp_gt_i16_sdwa s[0:1], v9, v2 src0_sel:BYTE_0 src1_sel:DWORD
	s_and_b64 vcc, exec, s[0:1]
	s_cbranch_vccz .LBB66_830
; %bb.828:
	global_load_dword v2, v[0:1], off
	s_mov_b64 s[0:1], 0
	s_waitcnt vmcnt(0)
	v_cvt_f32_u32_e32 v4, v2
	s_branch .LBB66_831
.LBB66_829:
	s_mov_b64 s[0:1], -1
                                        ; implicit-def: $vgpr4
	s_branch .LBB66_834
.LBB66_830:
	s_mov_b64 s[0:1], -1
                                        ; implicit-def: $vgpr4
.LBB66_831:
	s_andn2_b64 vcc, exec, s[0:1]
	s_cbranch_vccnz .LBB66_833
; %bb.832:
	global_load_ushort v2, v[0:1], off
	s_waitcnt vmcnt(0)
	v_cvt_f32_u32_e32 v4, v2
.LBB66_833:
	s_mov_b64 s[0:1], 0
.LBB66_834:
	s_andn2_b64 vcc, exec, s[0:1]
	s_cbranch_vccnz .LBB66_842
; %bb.835:
	global_load_ubyte v2, v[0:1], off
	s_movk_i32 s0, 0x7f
                                        ; implicit-def: $sgpr15
	s_waitcnt vmcnt(0)
	v_cmp_lt_i16_e32 vcc, s0, v2
	s_mov_b64 s[0:1], 0
	s_and_saveexec_b64 s[38:39], vcc
	s_xor_b64 s[38:39], exec, s[38:39]
	s_cbranch_execz .LBB66_856
; %bb.836:
	s_movk_i32 s0, 0x80
	v_cmp_eq_u16_e32 vcc, s0, v2
	s_mov_b64 s[0:1], -1
                                        ; implicit-def: $sgpr15
	s_and_saveexec_b64 s[40:41], vcc
; %bb.837:
	s_mov_b32 s15, 0x7f800001
	s_xor_b64 s[0:1], exec, -1
; %bb.838:
	s_or_b64 exec, exec, s[40:41]
	s_and_b64 s[0:1], s[0:1], exec
	s_or_saveexec_b64 s[38:39], s[38:39]
	v_mov_b32_e32 v4, s15
	s_xor_b64 exec, exec, s[38:39]
	s_cbranch_execnz .LBB66_857
.LBB66_839:
	s_or_b64 exec, exec, s[38:39]
	s_and_saveexec_b64 s[38:39], s[0:1]
	s_cbranch_execz .LBB66_841
.LBB66_840:
	v_lshlrev_b32_e32 v3, 24, v2
	v_and_b32_e32 v2, 0xffff, v2
	v_and_b32_e32 v4, 7, v2
	v_ffbh_u32_e32 v6, v4
	v_min_u32_e32 v6, 32, v6
	v_subrev_u32_e32 v7, 28, v6
	v_bfe_u32 v5, v2, 3, 4
	v_lshlrev_b32_e32 v2, v7, v2
	v_sub_u32_e32 v6, 29, v6
	v_and_b32_e32 v2, 7, v2
	v_cmp_eq_u32_e32 vcc, 0, v5
	v_cndmask_b32_e32 v5, v5, v6, vcc
	v_cndmask_b32_e32 v2, v4, v2, vcc
	v_mov_b32_e32 v4, 0x3b800000
	v_lshlrev_b32_e32 v2, 20, v2
	v_and_b32_e32 v3, 0x80000000, v3
	v_lshl_add_u32 v4, v5, 23, v4
	v_or3_b32 v4, v3, v4, v2
.LBB66_841:
	s_or_b64 exec, exec, s[38:39]
.LBB66_842:
	s_mov_b64 s[0:1], -1
.LBB66_843:
	s_mov_b64 s[38:39], 0
.LBB66_844:
	s_and_b64 vcc, exec, s[38:39]
	s_cbranch_vccz .LBB66_879
; %bb.845:
	v_mov_b32_e32 v2, 22
	v_cmp_gt_i16_sdwa s[38:39], v9, v2 src0_sel:BYTE_0 src1_sel:DWORD
	s_and_b64 vcc, exec, s[38:39]
	s_cbranch_vccz .LBB66_855
; %bb.846:
	v_mov_b32_e32 v2, 24
	v_cmp_lt_i16_sdwa s[0:1], v9, v2 src0_sel:BYTE_0 src1_sel:DWORD
	s_and_b64 vcc, exec, s[0:1]
	s_cbranch_vccnz .LBB66_858
; %bb.847:
	v_cmp_gt_i16_sdwa s[0:1], v9, v2 src0_sel:BYTE_0 src1_sel:DWORD
	s_and_b64 vcc, exec, s[0:1]
	s_cbranch_vccz .LBB66_859
; %bb.848:
	global_load_ubyte v2, v[0:1], off
	s_movk_i32 s0, 0x7f
                                        ; implicit-def: $sgpr15
	s_waitcnt vmcnt(0)
	v_cmp_lt_i16_e32 vcc, s0, v2
	s_mov_b64 s[0:1], 0
	s_and_saveexec_b64 s[38:39], vcc
	s_xor_b64 s[38:39], exec, s[38:39]
	s_cbranch_execz .LBB66_871
; %bb.849:
	s_movk_i32 s0, 0x80
	v_cmp_eq_u16_e32 vcc, s0, v2
	s_mov_b64 s[0:1], -1
                                        ; implicit-def: $sgpr15
	s_and_saveexec_b64 s[40:41], vcc
; %bb.850:
	s_mov_b32 s15, 0x7f800001
	s_xor_b64 s[0:1], exec, -1
; %bb.851:
	s_or_b64 exec, exec, s[40:41]
	s_and_b64 s[0:1], s[0:1], exec
	s_or_saveexec_b64 s[38:39], s[38:39]
	v_mov_b32_e32 v4, s15
	s_xor_b64 exec, exec, s[38:39]
	s_cbranch_execnz .LBB66_872
.LBB66_852:
	s_or_b64 exec, exec, s[38:39]
	s_and_saveexec_b64 s[38:39], s[0:1]
	s_cbranch_execz .LBB66_854
.LBB66_853:
	v_lshlrev_b32_e32 v3, 24, v2
	v_and_b32_e32 v2, 0xffff, v2
	v_and_b32_e32 v4, 3, v2
	v_ffbh_u32_e32 v6, v4
	v_min_u32_e32 v6, 32, v6
	v_subrev_u32_e32 v7, 29, v6
	v_bfe_u32 v5, v2, 2, 5
	v_lshlrev_b32_e32 v2, v7, v2
	v_sub_u32_e32 v6, 30, v6
	v_and_b32_e32 v2, 3, v2
	v_cmp_eq_u32_e32 vcc, 0, v5
	v_cndmask_b32_e32 v5, v5, v6, vcc
	v_cndmask_b32_e32 v2, v4, v2, vcc
	v_mov_b32_e32 v4, 0x37800000
	v_lshlrev_b32_e32 v2, 21, v2
	v_and_b32_e32 v3, 0x80000000, v3
	v_lshl_add_u32 v4, v5, 23, v4
	v_or3_b32 v4, v3, v4, v2
.LBB66_854:
	s_or_b64 exec, exec, s[38:39]
	s_mov_b64 s[0:1], 0
	s_branch .LBB66_860
.LBB66_855:
	s_mov_b64 s[38:39], -1
                                        ; implicit-def: $vgpr4
	s_branch .LBB66_866
.LBB66_856:
	s_or_saveexec_b64 s[38:39], s[38:39]
	v_mov_b32_e32 v4, s15
	s_xor_b64 exec, exec, s[38:39]
	s_cbranch_execz .LBB66_839
.LBB66_857:
	v_cmp_ne_u16_e32 vcc, 0, v2
	s_andn2_b64 s[0:1], s[0:1], exec
	s_and_b64 s[40:41], vcc, exec
	v_mov_b32_e32 v4, 0
	s_or_b64 s[0:1], s[0:1], s[40:41]
	s_or_b64 exec, exec, s[38:39]
	s_and_saveexec_b64 s[38:39], s[0:1]
	s_cbranch_execnz .LBB66_840
	s_branch .LBB66_841
.LBB66_858:
	s_mov_b64 s[0:1], -1
                                        ; implicit-def: $vgpr4
	s_branch .LBB66_863
.LBB66_859:
	s_mov_b64 s[0:1], -1
                                        ; implicit-def: $vgpr4
.LBB66_860:
	s_and_b64 vcc, exec, s[0:1]
	s_cbranch_vccz .LBB66_862
; %bb.861:
	global_load_ubyte v2, v[0:1], off
	s_mov_b32 s0, 0x7f800000
	s_waitcnt vmcnt(0)
	v_lshlrev_b32_e32 v2, 24, v2
	v_and_b32_e32 v3, 0x7f000000, v2
	v_ffbh_u32_e32 v4, v3
	v_min_u32_e32 v4, 32, v4
	v_sub_u32_e64 v4, v4, 4 clamp
	v_lshlrev_b32_e32 v6, v4, v3
	v_lshlrev_b32_e32 v4, 23, v4
	v_lshrrev_b32_e32 v6, 4, v6
	v_add_u32_e32 v5, 0x1000000, v3
	v_sub_u32_e32 v4, v6, v4
	v_ashrrev_i32_e32 v5, 8, v5
	v_add_u32_e32 v4, 0x3c000000, v4
	v_and_or_b32 v4, v5, s0, v4
	v_cmp_ne_u32_e32 vcc, 0, v3
	v_cndmask_b32_e32 v3, 0, v4, vcc
	s_brev_b32 s0, 1
	v_and_or_b32 v4, v2, s0, v3
.LBB66_862:
	s_mov_b64 s[0:1], 0
.LBB66_863:
	s_andn2_b64 vcc, exec, s[0:1]
	s_cbranch_vccnz .LBB66_865
; %bb.864:
	global_load_ubyte v2, v[0:1], off
	s_movk_i32 s0, 0x7f00
	s_brev_b32 s1, 16
	s_waitcnt vmcnt(0)
	v_lshlrev_b16_e32 v3, 8, v2
	v_lshlrev_b32_e32 v2, 25, v2
	v_lshrrev_b32_e32 v4, 4, v2
	v_and_or_b32 v5, v3, s0, 0.5
	v_or_b32_e32 v4, 0x70000000, v4
	v_add_f32_e32 v5, -0.5, v5
	v_mul_f32_e32 v4, 0x7800000, v4
	v_cmp_gt_u32_e32 vcc, s1, v2
	v_bfe_i32 v3, v3, 0, 16
	v_cndmask_b32_e32 v2, v4, v5, vcc
	s_brev_b32 s0, 1
	v_and_or_b32 v4, v3, s0, v2
.LBB66_865:
	s_mov_b64 s[38:39], 0
	s_mov_b64 s[0:1], -1
.LBB66_866:
	s_andn2_b64 vcc, exec, s[38:39]
	s_cbranch_vccnz .LBB66_879
; %bb.867:
	v_mov_b32_e32 v2, 14
	v_cmp_gt_i16_sdwa s[38:39], v9, v2 src0_sel:BYTE_0 src1_sel:DWORD
	s_and_b64 vcc, exec, s[38:39]
	s_cbranch_vccz .LBB66_870
; %bb.868:
	v_mov_b32_e32 v2, 15
	v_cmp_eq_u16_sdwa s[36:37], v9, v2 src0_sel:BYTE_0 src1_sel:DWORD
	s_and_b64 vcc, exec, s[36:37]
	s_cbranch_vccz .LBB66_873
; %bb.869:
	global_load_ushort v2, v[0:1], off
	s_mov_b64 s[0:1], -1
	s_mov_b64 s[36:37], 0
	s_waitcnt vmcnt(0)
	v_lshlrev_b32_e32 v4, 16, v2
	s_branch .LBB66_874
.LBB66_870:
	s_mov_b64 s[38:39], -1
                                        ; implicit-def: $vgpr4
	s_branch .LBB66_875
.LBB66_871:
	s_or_saveexec_b64 s[38:39], s[38:39]
	v_mov_b32_e32 v4, s15
	s_xor_b64 exec, exec, s[38:39]
	s_cbranch_execz .LBB66_852
.LBB66_872:
	v_cmp_ne_u16_e32 vcc, 0, v2
	s_andn2_b64 s[0:1], s[0:1], exec
	s_and_b64 s[40:41], vcc, exec
	v_mov_b32_e32 v4, 0
	s_or_b64 s[0:1], s[0:1], s[40:41]
	s_or_b64 exec, exec, s[38:39]
	s_and_saveexec_b64 s[38:39], s[0:1]
	s_cbranch_execnz .LBB66_853
	s_branch .LBB66_854
.LBB66_873:
	s_mov_b64 s[36:37], -1
                                        ; implicit-def: $vgpr4
.LBB66_874:
	s_mov_b64 s[38:39], 0
.LBB66_875:
	s_and_b64 vcc, exec, s[38:39]
	s_cbranch_vccz .LBB66_879
; %bb.876:
	v_mov_b32_e32 v2, 11
	v_cmp_eq_u16_sdwa s[36:37], v9, v2 src0_sel:BYTE_0 src1_sel:DWORD
	s_and_b64 vcc, exec, s[36:37]
	s_cbranch_vccz .LBB66_878
; %bb.877:
	global_load_ubyte v2, v[0:1], off
	s_mov_b64 s[0:1], -1
	s_mov_b64 s[36:37], 0
	s_waitcnt vmcnt(0)
	v_cmp_ne_u16_e32 vcc, 0, v2
	v_cndmask_b32_e64 v4, 0, 1.0, vcc
	s_branch .LBB66_879
.LBB66_878:
	s_mov_b64 s[36:37], -1
                                        ; implicit-def: $vgpr4
.LBB66_879:
	s_mov_b64 s[38:39], 0
.LBB66_880:
	s_and_b64 vcc, exec, s[38:39]
	s_cbranch_vccz .LBB66_929
; %bb.881:
	v_mov_b32_e32 v2, 5
	v_cmp_lt_i16_sdwa s[0:1], v9, v2 src0_sel:BYTE_0 src1_sel:DWORD
	s_and_b64 vcc, exec, s[0:1]
	s_cbranch_vccnz .LBB66_886
; %bb.882:
	v_mov_b32_e32 v2, 8
	v_cmp_lt_i16_sdwa s[0:1], v9, v2 src0_sel:BYTE_0 src1_sel:DWORD
	s_and_b64 vcc, exec, s[0:1]
	s_cbranch_vccnz .LBB66_887
	;; [unrolled: 5-line block ×3, first 2 shown]
; %bb.884:
	v_cmp_gt_i16_sdwa s[0:1], v9, v2 src0_sel:BYTE_0 src1_sel:DWORD
	s_and_b64 vcc, exec, s[0:1]
	s_cbranch_vccz .LBB66_889
; %bb.885:
	global_load_dwordx2 v[2:3], v[0:1], off
	s_mov_b64 s[0:1], 0
	s_waitcnt vmcnt(0)
	v_cvt_f32_f64_e32 v4, v[2:3]
	s_branch .LBB66_890
.LBB66_886:
	s_mov_b64 s[0:1], -1
                                        ; implicit-def: $vgpr4
	s_branch .LBB66_908
.LBB66_887:
	s_mov_b64 s[0:1], -1
                                        ; implicit-def: $vgpr4
	s_branch .LBB66_896
.LBB66_888:
	s_mov_b64 s[0:1], -1
                                        ; implicit-def: $vgpr4
	s_branch .LBB66_893
.LBB66_889:
	s_mov_b64 s[0:1], -1
                                        ; implicit-def: $vgpr4
.LBB66_890:
	s_andn2_b64 vcc, exec, s[0:1]
	s_cbranch_vccnz .LBB66_892
; %bb.891:
	global_load_dword v4, v[0:1], off
.LBB66_892:
	s_mov_b64 s[0:1], 0
.LBB66_893:
	s_andn2_b64 vcc, exec, s[0:1]
	s_cbranch_vccnz .LBB66_895
; %bb.894:
	global_load_dword v2, v[0:1], off
	s_waitcnt vmcnt(0)
	v_cvt_f32_f16_e32 v4, v2
.LBB66_895:
	s_mov_b64 s[0:1], 0
.LBB66_896:
	s_andn2_b64 vcc, exec, s[0:1]
	s_cbranch_vccnz .LBB66_907
; %bb.897:
	v_mov_b32_e32 v2, 6
	v_cmp_lt_i16_sdwa s[0:1], v9, v2 src0_sel:BYTE_0 src1_sel:DWORD
	s_and_b64 vcc, exec, s[0:1]
	s_cbranch_vccnz .LBB66_900
; %bb.898:
	v_cmp_gt_i16_sdwa s[0:1], v9, v2 src0_sel:BYTE_0 src1_sel:DWORD
	s_and_b64 vcc, exec, s[0:1]
	s_cbranch_vccz .LBB66_901
; %bb.899:
	global_load_dwordx2 v[2:3], v[0:1], off
	s_mov_b64 s[0:1], 0
	s_waitcnt vmcnt(0)
	v_cvt_f32_f64_e32 v4, v[2:3]
	s_branch .LBB66_902
.LBB66_900:
	s_mov_b64 s[0:1], -1
                                        ; implicit-def: $vgpr4
	s_branch .LBB66_905
.LBB66_901:
	s_mov_b64 s[0:1], -1
                                        ; implicit-def: $vgpr4
.LBB66_902:
	s_andn2_b64 vcc, exec, s[0:1]
	s_cbranch_vccnz .LBB66_904
; %bb.903:
	global_load_dword v4, v[0:1], off
.LBB66_904:
	s_mov_b64 s[0:1], 0
.LBB66_905:
	s_andn2_b64 vcc, exec, s[0:1]
	s_cbranch_vccnz .LBB66_907
; %bb.906:
	global_load_ushort v2, v[0:1], off
	s_waitcnt vmcnt(0)
	v_cvt_f32_f16_e32 v4, v2
.LBB66_907:
	s_mov_b64 s[0:1], 0
.LBB66_908:
	s_andn2_b64 vcc, exec, s[0:1]
	s_cbranch_vccnz .LBB66_928
; %bb.909:
	v_mov_b32_e32 v2, 2
	v_cmp_lt_i16_sdwa s[0:1], v9, v2 src0_sel:BYTE_0 src1_sel:DWORD
	s_and_b64 vcc, exec, s[0:1]
	s_cbranch_vccnz .LBB66_913
; %bb.910:
	v_mov_b32_e32 v2, 3
	v_cmp_lt_i16_sdwa s[0:1], v9, v2 src0_sel:BYTE_0 src1_sel:DWORD
	s_and_b64 vcc, exec, s[0:1]
	s_cbranch_vccnz .LBB66_914
; %bb.911:
	v_cmp_gt_i16_sdwa s[0:1], v9, v2 src0_sel:BYTE_0 src1_sel:DWORD
	s_and_b64 vcc, exec, s[0:1]
	s_cbranch_vccz .LBB66_915
; %bb.912:
	global_load_dwordx2 v[2:3], v[0:1], off
	s_mov_b64 s[0:1], 0
	s_waitcnt vmcnt(0)
	v_xor_b32_e32 v5, v2, v3
	v_ffbh_i32_e32 v4, v3
	v_ashrrev_i32_e32 v5, 31, v5
	v_add_u32_e32 v4, -1, v4
	v_add_u32_e32 v5, 32, v5
	v_min_u32_e32 v4, v4, v5
	v_lshlrev_b64 v[2:3], v4, v[2:3]
	v_min_u32_e32 v2, 1, v2
	v_or_b32_e32 v2, v3, v2
	v_cvt_f32_i32_e32 v2, v2
	v_sub_u32_e32 v3, 32, v4
	v_ldexp_f32 v4, v2, v3
	s_branch .LBB66_916
.LBB66_913:
	s_mov_b64 s[0:1], -1
                                        ; implicit-def: $vgpr4
	s_branch .LBB66_922
.LBB66_914:
	s_mov_b64 s[0:1], -1
                                        ; implicit-def: $vgpr4
	s_branch .LBB66_919
.LBB66_915:
	s_mov_b64 s[0:1], -1
                                        ; implicit-def: $vgpr4
.LBB66_916:
	s_andn2_b64 vcc, exec, s[0:1]
	s_cbranch_vccnz .LBB66_918
; %bb.917:
	global_load_dword v2, v[0:1], off
	s_waitcnt vmcnt(0)
	v_cvt_f32_i32_e32 v4, v2
.LBB66_918:
	s_mov_b64 s[0:1], 0
.LBB66_919:
	s_andn2_b64 vcc, exec, s[0:1]
	s_cbranch_vccnz .LBB66_921
; %bb.920:
	global_load_sshort v2, v[0:1], off
	s_waitcnt vmcnt(0)
	v_cvt_f32_i32_e32 v4, v2
.LBB66_921:
	s_mov_b64 s[0:1], 0
.LBB66_922:
	s_andn2_b64 vcc, exec, s[0:1]
	s_cbranch_vccnz .LBB66_928
; %bb.923:
	v_mov_b32_e32 v2, 0
	v_cmp_gt_i16_sdwa s[0:1], v9, v2 src0_sel:BYTE_0 src1_sel:DWORD
	s_and_b64 vcc, exec, s[0:1]
	s_cbranch_vccz .LBB66_925
; %bb.924:
	global_load_sbyte v2, v[0:1], off
	s_mov_b64 s[0:1], 0
	s_waitcnt vmcnt(0)
	v_cvt_f32_i32_e32 v4, v2
	s_branch .LBB66_926
.LBB66_925:
	s_mov_b64 s[0:1], -1
                                        ; implicit-def: $vgpr4
.LBB66_926:
	s_andn2_b64 vcc, exec, s[0:1]
	s_cbranch_vccnz .LBB66_928
; %bb.927:
	global_load_ubyte v0, v[0:1], off
	s_waitcnt vmcnt(0)
	v_cvt_f32_ubyte0_e32 v4, v0
.LBB66_928:
	s_mov_b64 s[0:1], -1
.LBB66_929:
	s_andn2_b64 vcc, exec, s[0:1]
	s_cbranch_vccnz .LBB66_937
; %bb.930:
	v_mul_lo_u32 v0, v11, s14
	v_ashrrev_i32_e32 v1, 31, v0
	v_mov_b32_e32 v2, s3
	v_add_co_u32_e32 v0, vcc, s2, v0
	v_addc_co_u32_e32 v1, vcc, v2, v1, vcc
	v_mov_b32_e32 v2, 11
	v_cmp_lt_i16_sdwa s[0:1], v8, v2 src0_sel:BYTE_0 src1_sel:DWORD
	s_and_b64 vcc, exec, s[0:1]
	s_cbranch_vccnz .LBB66_939
; %bb.931:
	v_mov_b32_e32 v2, 25
	v_cmp_gt_i16_sdwa s[0:1], v8, v2 src0_sel:BYTE_0 src1_sel:DWORD
	s_and_b64 vcc, exec, s[0:1]
	s_cbranch_vccz .LBB66_940
; %bb.932:
	v_mov_b32_e32 v2, 28
	v_cmp_gt_i16_sdwa s[0:1], v8, v2 src0_sel:BYTE_0 src1_sel:DWORD
	s_and_b64 vcc, exec, s[0:1]
	s_cbranch_vccz .LBB66_941
	;; [unrolled: 5-line block ×4, first 2 shown]
; %bb.935:
	v_mov_b32_e32 v2, 46
	v_cmp_eq_u16_sdwa s[0:1], v8, v2 src0_sel:BYTE_0 src1_sel:DWORD
	s_mov_b64 s[40:41], 0
	s_and_b64 vcc, exec, s[0:1]
	s_cbranch_vccz .LBB66_946
; %bb.936:
	global_load_dword v2, v[0:1], off
	s_mov_b64 s[0:1], -1
	s_mov_b64 s[38:39], 0
	s_waitcnt vmcnt(0)
	v_lshlrev_b32_e32 v2, 16, v2
	s_branch .LBB66_947
.LBB66_937:
	s_mov_b64 s[42:43], 0
	s_mov_b64 s[0:1], s[28:29]
	;; [unrolled: 1-line block ×3, first 2 shown]
.LBB66_938:
                                        ; implicit-def: $vgpr11
	s_branch .LBB66_1197
.LBB66_939:
	s_mov_b64 s[40:41], -1
	s_mov_b64 s[0:1], 0
                                        ; implicit-def: $vgpr2
	s_mov_b64 s[38:39], s[26:27]
	s_branch .LBB66_1012
.LBB66_940:
	s_mov_b64 s[40:41], -1
	s_mov_b64 s[0:1], 0
	s_mov_b64 s[38:39], s[26:27]
                                        ; implicit-def: $vgpr2
	s_branch .LBB66_976
.LBB66_941:
	s_mov_b64 s[40:41], -1
	s_mov_b64 s[0:1], 0
	s_mov_b64 s[38:39], s[26:27]
                                        ; implicit-def: $vgpr2
	s_branch .LBB66_957
.LBB66_942:
	s_mov_b64 s[40:41], -1
	s_mov_b64 s[0:1], 0
	s_mov_b64 s[38:39], s[26:27]
                                        ; implicit-def: $vgpr2
	s_branch .LBB66_952
.LBB66_943:
	s_mov_b64 s[40:41], -1
	s_mov_b64 s[0:1], 0
	s_mov_b64 s[38:39], s[26:27]
                                        ; implicit-def: $vgpr2
	s_branch .LBB66_947
.LBB66_944:
	s_or_saveexec_b64 s[36:37], s[36:37]
                                        ; implicit-def: $sgpr15
	s_xor_b64 exec, exec, s[36:37]
	s_cbranch_execz .LBB66_720
.LBB66_945:
	s_mov_b32 s15, 0x42800000
	v_add_f32_e64 v1, |v0|, s15
	v_and_b32_e32 v1, 0xff, v1
	v_cmp_ne_u32_e32 vcc, 0, v1
	s_andn2_b64 s[34:35], s[34:35], exec
	s_and_b64 s[38:39], vcc, exec
	s_mov_b32 s15, 0
	s_or_b64 s[34:35], s[34:35], s[38:39]
	s_or_b64 exec, exec, s[36:37]
	v_mov_b32_e32 v4, s15
	s_and_saveexec_b64 s[36:37], s[34:35]
	s_cbranch_execnz .LBB66_721
	s_branch .LBB66_722
.LBB66_946:
	s_mov_b64 s[38:39], -1
                                        ; implicit-def: $vgpr2
	s_mov_b64 s[0:1], 0
.LBB66_947:
	s_and_b64 vcc, exec, s[40:41]
	s_cbranch_vccz .LBB66_951
; %bb.948:
	v_mov_b32_e32 v2, 44
	v_cmp_eq_u16_sdwa s[38:39], v8, v2 src0_sel:BYTE_0 src1_sel:DWORD
	s_and_b64 vcc, exec, s[38:39]
	s_cbranch_vccz .LBB66_950
; %bb.949:
	global_load_ubyte v2, v[0:1], off
	s_movk_i32 s15, 0xff
	v_mov_b32_e32 v3, 0x7f800001
	v_mov_b32_e32 v5, 0x400000
	s_mov_b64 s[0:1], -1
	s_mov_b64 s[38:39], 0
	s_waitcnt vmcnt(0)
	v_lshlrev_b32_e32 v6, 23, v2
	v_cmp_ne_u32_e32 vcc, s15, v2
	v_cndmask_b32_e32 v3, v3, v6, vcc
	v_cmp_ne_u32_e32 vcc, 0, v2
	v_cndmask_b32_e32 v2, v5, v3, vcc
	s_branch .LBB66_951
.LBB66_950:
	s_mov_b64 s[38:39], -1
                                        ; implicit-def: $vgpr2
.LBB66_951:
	s_mov_b64 s[40:41], 0
.LBB66_952:
	s_and_b64 vcc, exec, s[40:41]
	s_cbranch_vccz .LBB66_956
; %bb.953:
	v_mov_b32_e32 v2, 29
	v_cmp_eq_u16_sdwa s[38:39], v8, v2 src0_sel:BYTE_0 src1_sel:DWORD
	s_and_b64 vcc, exec, s[38:39]
	s_cbranch_vccz .LBB66_955
; %bb.954:
	global_load_dwordx2 v[2:3], v[0:1], off
	s_mov_b64 s[0:1], -1
	s_mov_b64 s[38:39], 0
	s_mov_b64 s[40:41], 0
	s_waitcnt vmcnt(0)
	v_ffbh_u32_e32 v5, v3
	v_min_u32_e32 v5, 32, v5
	v_lshlrev_b64 v[2:3], v5, v[2:3]
	v_min_u32_e32 v2, 1, v2
	v_or_b32_e32 v2, v3, v2
	v_cvt_f32_u32_e32 v2, v2
	v_sub_u32_e32 v3, 32, v5
	v_ldexp_f32 v2, v2, v3
	s_branch .LBB66_957
.LBB66_955:
	s_mov_b64 s[38:39], -1
                                        ; implicit-def: $vgpr2
.LBB66_956:
	s_mov_b64 s[40:41], 0
.LBB66_957:
	s_and_b64 vcc, exec, s[40:41]
	s_cbranch_vccz .LBB66_975
; %bb.958:
	v_mov_b32_e32 v2, 27
	v_cmp_lt_i16_sdwa s[0:1], v8, v2 src0_sel:BYTE_0 src1_sel:DWORD
	s_and_b64 vcc, exec, s[0:1]
	s_cbranch_vccnz .LBB66_961
; %bb.959:
	v_cmp_gt_i16_sdwa s[0:1], v8, v2 src0_sel:BYTE_0 src1_sel:DWORD
	s_and_b64 vcc, exec, s[0:1]
	s_cbranch_vccz .LBB66_962
; %bb.960:
	global_load_dword v2, v[0:1], off
	s_mov_b64 s[0:1], 0
	s_waitcnt vmcnt(0)
	v_cvt_f32_u32_e32 v2, v2
	s_branch .LBB66_963
.LBB66_961:
	s_mov_b64 s[0:1], -1
                                        ; implicit-def: $vgpr2
	s_branch .LBB66_966
.LBB66_962:
	s_mov_b64 s[0:1], -1
                                        ; implicit-def: $vgpr2
.LBB66_963:
	s_andn2_b64 vcc, exec, s[0:1]
	s_cbranch_vccnz .LBB66_965
; %bb.964:
	global_load_ushort v2, v[0:1], off
	s_waitcnt vmcnt(0)
	v_cvt_f32_u32_e32 v2, v2
.LBB66_965:
	s_mov_b64 s[0:1], 0
.LBB66_966:
	s_andn2_b64 vcc, exec, s[0:1]
	s_cbranch_vccnz .LBB66_974
; %bb.967:
	global_load_ubyte v3, v[0:1], off
	s_movk_i32 s0, 0x7f
                                        ; implicit-def: $sgpr15
	s_waitcnt vmcnt(0)
	v_cmp_lt_i16_e32 vcc, s0, v3
	s_mov_b64 s[0:1], 0
	s_and_saveexec_b64 s[40:41], vcc
	s_xor_b64 s[40:41], exec, s[40:41]
	s_cbranch_execz .LBB66_988
; %bb.968:
	s_movk_i32 s0, 0x80
	v_cmp_eq_u16_e32 vcc, s0, v3
	s_mov_b64 s[0:1], -1
                                        ; implicit-def: $sgpr15
	s_and_saveexec_b64 s[42:43], vcc
; %bb.969:
	s_mov_b32 s15, 0x7f800001
	s_xor_b64 s[0:1], exec, -1
; %bb.970:
	s_or_b64 exec, exec, s[42:43]
	s_and_b64 s[0:1], s[0:1], exec
	s_or_saveexec_b64 s[40:41], s[40:41]
	v_mov_b32_e32 v2, s15
	s_xor_b64 exec, exec, s[40:41]
	s_cbranch_execnz .LBB66_989
.LBB66_971:
	s_or_b64 exec, exec, s[40:41]
	s_and_saveexec_b64 s[40:41], s[0:1]
	s_cbranch_execz .LBB66_973
.LBB66_972:
	v_lshlrev_b32_e32 v2, 24, v3
	v_and_b32_e32 v3, 0xffff, v3
	v_and_b32_e32 v5, 7, v3
	v_ffbh_u32_e32 v7, v5
	v_min_u32_e32 v7, 32, v7
	v_subrev_u32_e32 v12, 28, v7
	v_bfe_u32 v6, v3, 3, 4
	v_lshlrev_b32_e32 v3, v12, v3
	v_sub_u32_e32 v7, 29, v7
	v_and_b32_e32 v3, 7, v3
	v_cmp_eq_u32_e32 vcc, 0, v6
	v_cndmask_b32_e32 v6, v6, v7, vcc
	v_cndmask_b32_e32 v3, v5, v3, vcc
	v_mov_b32_e32 v5, 0x3b800000
	v_lshlrev_b32_e32 v3, 20, v3
	v_and_b32_e32 v2, 0x80000000, v2
	v_lshl_add_u32 v5, v6, 23, v5
	v_or3_b32 v2, v2, v5, v3
.LBB66_973:
	s_or_b64 exec, exec, s[40:41]
.LBB66_974:
	s_mov_b64 s[0:1], -1
.LBB66_975:
	s_mov_b64 s[40:41], 0
.LBB66_976:
	s_and_b64 vcc, exec, s[40:41]
	s_cbranch_vccz .LBB66_1011
; %bb.977:
	v_mov_b32_e32 v2, 22
	v_cmp_gt_i16_sdwa s[40:41], v8, v2 src0_sel:BYTE_0 src1_sel:DWORD
	s_and_b64 vcc, exec, s[40:41]
	s_cbranch_vccz .LBB66_987
; %bb.978:
	v_mov_b32_e32 v2, 24
	v_cmp_lt_i16_sdwa s[0:1], v8, v2 src0_sel:BYTE_0 src1_sel:DWORD
	s_and_b64 vcc, exec, s[0:1]
	s_cbranch_vccnz .LBB66_990
; %bb.979:
	v_cmp_gt_i16_sdwa s[0:1], v8, v2 src0_sel:BYTE_0 src1_sel:DWORD
	s_and_b64 vcc, exec, s[0:1]
	s_cbranch_vccz .LBB66_991
; %bb.980:
	global_load_ubyte v3, v[0:1], off
	s_movk_i32 s0, 0x7f
                                        ; implicit-def: $sgpr15
	s_waitcnt vmcnt(0)
	v_cmp_lt_i16_e32 vcc, s0, v3
	s_mov_b64 s[0:1], 0
	s_and_saveexec_b64 s[40:41], vcc
	s_xor_b64 s[40:41], exec, s[40:41]
	s_cbranch_execz .LBB66_1003
; %bb.981:
	s_movk_i32 s0, 0x80
	v_cmp_eq_u16_e32 vcc, s0, v3
	s_mov_b64 s[0:1], -1
                                        ; implicit-def: $sgpr15
	s_and_saveexec_b64 s[42:43], vcc
; %bb.982:
	s_mov_b32 s15, 0x7f800001
	s_xor_b64 s[0:1], exec, -1
; %bb.983:
	s_or_b64 exec, exec, s[42:43]
	s_and_b64 s[0:1], s[0:1], exec
	s_or_saveexec_b64 s[40:41], s[40:41]
	v_mov_b32_e32 v2, s15
	s_xor_b64 exec, exec, s[40:41]
	s_cbranch_execnz .LBB66_1004
.LBB66_984:
	s_or_b64 exec, exec, s[40:41]
	s_and_saveexec_b64 s[40:41], s[0:1]
	s_cbranch_execz .LBB66_986
.LBB66_985:
	v_lshlrev_b32_e32 v2, 24, v3
	v_and_b32_e32 v3, 0xffff, v3
	v_and_b32_e32 v5, 3, v3
	v_ffbh_u32_e32 v7, v5
	v_min_u32_e32 v7, 32, v7
	v_subrev_u32_e32 v12, 29, v7
	v_bfe_u32 v6, v3, 2, 5
	v_lshlrev_b32_e32 v3, v12, v3
	v_sub_u32_e32 v7, 30, v7
	v_and_b32_e32 v3, 3, v3
	v_cmp_eq_u32_e32 vcc, 0, v6
	v_cndmask_b32_e32 v6, v6, v7, vcc
	v_cndmask_b32_e32 v3, v5, v3, vcc
	v_mov_b32_e32 v5, 0x37800000
	v_lshlrev_b32_e32 v3, 21, v3
	v_and_b32_e32 v2, 0x80000000, v2
	v_lshl_add_u32 v5, v6, 23, v5
	v_or3_b32 v2, v2, v5, v3
.LBB66_986:
	s_or_b64 exec, exec, s[40:41]
	s_mov_b64 s[0:1], 0
	s_branch .LBB66_992
.LBB66_987:
	s_mov_b64 s[40:41], -1
                                        ; implicit-def: $vgpr2
	s_branch .LBB66_998
.LBB66_988:
	s_or_saveexec_b64 s[40:41], s[40:41]
	v_mov_b32_e32 v2, s15
	s_xor_b64 exec, exec, s[40:41]
	s_cbranch_execz .LBB66_971
.LBB66_989:
	v_cmp_ne_u16_e32 vcc, 0, v3
	s_andn2_b64 s[0:1], s[0:1], exec
	s_and_b64 s[42:43], vcc, exec
	v_mov_b32_e32 v2, 0
	s_or_b64 s[0:1], s[0:1], s[42:43]
	s_or_b64 exec, exec, s[40:41]
	s_and_saveexec_b64 s[40:41], s[0:1]
	s_cbranch_execnz .LBB66_972
	s_branch .LBB66_973
.LBB66_990:
	s_mov_b64 s[0:1], -1
                                        ; implicit-def: $vgpr2
	s_branch .LBB66_995
.LBB66_991:
	s_mov_b64 s[0:1], -1
                                        ; implicit-def: $vgpr2
.LBB66_992:
	s_and_b64 vcc, exec, s[0:1]
	s_cbranch_vccz .LBB66_994
; %bb.993:
	global_load_ubyte v2, v[0:1], off
	s_mov_b32 s0, 0x7f800000
	s_waitcnt vmcnt(0)
	v_lshlrev_b32_e32 v2, 24, v2
	v_and_b32_e32 v3, 0x7f000000, v2
	v_ffbh_u32_e32 v5, v3
	v_min_u32_e32 v5, 32, v5
	v_sub_u32_e64 v5, v5, 4 clamp
	v_lshlrev_b32_e32 v7, v5, v3
	v_lshlrev_b32_e32 v5, 23, v5
	v_lshrrev_b32_e32 v7, 4, v7
	v_add_u32_e32 v6, 0x1000000, v3
	v_sub_u32_e32 v5, v7, v5
	v_ashrrev_i32_e32 v6, 8, v6
	v_add_u32_e32 v5, 0x3c000000, v5
	v_and_or_b32 v5, v6, s0, v5
	v_cmp_ne_u32_e32 vcc, 0, v3
	v_cndmask_b32_e32 v3, 0, v5, vcc
	s_brev_b32 s0, 1
	v_and_or_b32 v2, v2, s0, v3
.LBB66_994:
	s_mov_b64 s[0:1], 0
.LBB66_995:
	s_andn2_b64 vcc, exec, s[0:1]
	s_cbranch_vccnz .LBB66_997
; %bb.996:
	global_load_ubyte v2, v[0:1], off
	s_movk_i32 s0, 0x7f00
	s_brev_b32 s1, 16
	s_waitcnt vmcnt(0)
	v_lshlrev_b16_e32 v3, 8, v2
	v_lshlrev_b32_e32 v2, 25, v2
	v_lshrrev_b32_e32 v5, 4, v2
	v_and_or_b32 v6, v3, s0, 0.5
	v_or_b32_e32 v5, 0x70000000, v5
	v_add_f32_e32 v6, -0.5, v6
	v_mul_f32_e32 v5, 0x7800000, v5
	v_cmp_gt_u32_e32 vcc, s1, v2
	v_bfe_i32 v3, v3, 0, 16
	v_cndmask_b32_e32 v2, v5, v6, vcc
	s_brev_b32 s0, 1
	v_and_or_b32 v2, v3, s0, v2
.LBB66_997:
	s_mov_b64 s[40:41], 0
	s_mov_b64 s[0:1], -1
.LBB66_998:
	s_andn2_b64 vcc, exec, s[40:41]
	s_cbranch_vccnz .LBB66_1011
; %bb.999:
	v_mov_b32_e32 v2, 14
	v_cmp_gt_i16_sdwa s[40:41], v8, v2 src0_sel:BYTE_0 src1_sel:DWORD
	s_and_b64 vcc, exec, s[40:41]
	s_cbranch_vccz .LBB66_1002
; %bb.1000:
	v_mov_b32_e32 v2, 15
	v_cmp_eq_u16_sdwa s[38:39], v8, v2 src0_sel:BYTE_0 src1_sel:DWORD
	s_and_b64 vcc, exec, s[38:39]
	s_cbranch_vccz .LBB66_1005
; %bb.1001:
	global_load_ushort v2, v[0:1], off
	s_mov_b64 s[0:1], -1
	s_mov_b64 s[38:39], 0
	s_waitcnt vmcnt(0)
	v_lshlrev_b32_e32 v2, 16, v2
	s_branch .LBB66_1006
.LBB66_1002:
	s_mov_b64 s[40:41], -1
                                        ; implicit-def: $vgpr2
	s_branch .LBB66_1007
.LBB66_1003:
	s_or_saveexec_b64 s[40:41], s[40:41]
	v_mov_b32_e32 v2, s15
	s_xor_b64 exec, exec, s[40:41]
	s_cbranch_execz .LBB66_984
.LBB66_1004:
	v_cmp_ne_u16_e32 vcc, 0, v3
	s_andn2_b64 s[0:1], s[0:1], exec
	s_and_b64 s[42:43], vcc, exec
	v_mov_b32_e32 v2, 0
	s_or_b64 s[0:1], s[0:1], s[42:43]
	s_or_b64 exec, exec, s[40:41]
	s_and_saveexec_b64 s[40:41], s[0:1]
	s_cbranch_execnz .LBB66_985
	s_branch .LBB66_986
.LBB66_1005:
	s_mov_b64 s[38:39], -1
                                        ; implicit-def: $vgpr2
.LBB66_1006:
	s_mov_b64 s[40:41], 0
.LBB66_1007:
	s_and_b64 vcc, exec, s[40:41]
	s_cbranch_vccz .LBB66_1011
; %bb.1008:
	v_mov_b32_e32 v2, 11
	v_cmp_eq_u16_sdwa s[38:39], v8, v2 src0_sel:BYTE_0 src1_sel:DWORD
	s_and_b64 vcc, exec, s[38:39]
	s_cbranch_vccz .LBB66_1010
; %bb.1009:
	global_load_ubyte v2, v[0:1], off
	s_mov_b64 s[0:1], -1
	s_mov_b64 s[38:39], 0
	s_waitcnt vmcnt(0)
	v_cmp_ne_u16_e32 vcc, 0, v2
	v_cndmask_b32_e64 v2, 0, 1.0, vcc
	s_branch .LBB66_1011
.LBB66_1010:
	s_mov_b64 s[38:39], -1
                                        ; implicit-def: $vgpr2
.LBB66_1011:
	s_mov_b64 s[40:41], 0
.LBB66_1012:
	s_and_b64 vcc, exec, s[40:41]
	s_cbranch_vccz .LBB66_1061
; %bb.1013:
	v_mov_b32_e32 v2, 5
	v_cmp_lt_i16_sdwa s[0:1], v8, v2 src0_sel:BYTE_0 src1_sel:DWORD
	s_and_b64 vcc, exec, s[0:1]
	s_cbranch_vccnz .LBB66_1018
; %bb.1014:
	v_mov_b32_e32 v2, 8
	v_cmp_lt_i16_sdwa s[0:1], v8, v2 src0_sel:BYTE_0 src1_sel:DWORD
	s_and_b64 vcc, exec, s[0:1]
	s_cbranch_vccnz .LBB66_1019
	;; [unrolled: 5-line block ×3, first 2 shown]
; %bb.1016:
	v_cmp_gt_i16_sdwa s[0:1], v8, v2 src0_sel:BYTE_0 src1_sel:DWORD
	s_and_b64 vcc, exec, s[0:1]
	s_cbranch_vccz .LBB66_1021
; %bb.1017:
	global_load_dwordx2 v[2:3], v[0:1], off
	s_mov_b64 s[0:1], 0
	s_waitcnt vmcnt(0)
	v_cvt_f32_f64_e32 v2, v[2:3]
	s_branch .LBB66_1022
.LBB66_1018:
	s_mov_b64 s[0:1], -1
                                        ; implicit-def: $vgpr2
	s_branch .LBB66_1040
.LBB66_1019:
	s_mov_b64 s[0:1], -1
                                        ; implicit-def: $vgpr2
	s_branch .LBB66_1028
.LBB66_1020:
	s_mov_b64 s[0:1], -1
                                        ; implicit-def: $vgpr2
	s_branch .LBB66_1025
.LBB66_1021:
	s_mov_b64 s[0:1], -1
                                        ; implicit-def: $vgpr2
.LBB66_1022:
	s_andn2_b64 vcc, exec, s[0:1]
	s_cbranch_vccnz .LBB66_1024
; %bb.1023:
	global_load_dword v2, v[0:1], off
.LBB66_1024:
	s_mov_b64 s[0:1], 0
.LBB66_1025:
	s_andn2_b64 vcc, exec, s[0:1]
	s_cbranch_vccnz .LBB66_1027
; %bb.1026:
	global_load_dword v2, v[0:1], off
	s_waitcnt vmcnt(0)
	v_cvt_f32_f16_e32 v2, v2
.LBB66_1027:
	s_mov_b64 s[0:1], 0
.LBB66_1028:
	s_andn2_b64 vcc, exec, s[0:1]
	s_cbranch_vccnz .LBB66_1039
; %bb.1029:
	s_waitcnt vmcnt(0)
	v_mov_b32_e32 v2, 6
	v_cmp_lt_i16_sdwa s[0:1], v8, v2 src0_sel:BYTE_0 src1_sel:DWORD
	s_and_b64 vcc, exec, s[0:1]
	s_cbranch_vccnz .LBB66_1032
; %bb.1030:
	v_cmp_gt_i16_sdwa s[0:1], v8, v2 src0_sel:BYTE_0 src1_sel:DWORD
	s_and_b64 vcc, exec, s[0:1]
	s_cbranch_vccz .LBB66_1033
; %bb.1031:
	global_load_dwordx2 v[2:3], v[0:1], off
	s_mov_b64 s[0:1], 0
	s_waitcnt vmcnt(0)
	v_cvt_f32_f64_e32 v2, v[2:3]
	s_branch .LBB66_1034
.LBB66_1032:
	s_mov_b64 s[0:1], -1
                                        ; implicit-def: $vgpr2
	s_branch .LBB66_1037
.LBB66_1033:
	s_mov_b64 s[0:1], -1
                                        ; implicit-def: $vgpr2
.LBB66_1034:
	s_andn2_b64 vcc, exec, s[0:1]
	s_cbranch_vccnz .LBB66_1036
; %bb.1035:
	global_load_dword v2, v[0:1], off
.LBB66_1036:
	s_mov_b64 s[0:1], 0
.LBB66_1037:
	s_andn2_b64 vcc, exec, s[0:1]
	s_cbranch_vccnz .LBB66_1039
; %bb.1038:
	global_load_ushort v2, v[0:1], off
	s_waitcnt vmcnt(0)
	v_cvt_f32_f16_e32 v2, v2
.LBB66_1039:
	s_mov_b64 s[0:1], 0
.LBB66_1040:
	s_andn2_b64 vcc, exec, s[0:1]
	s_cbranch_vccnz .LBB66_1060
; %bb.1041:
	s_waitcnt vmcnt(0)
	v_mov_b32_e32 v2, 2
	v_cmp_lt_i16_sdwa s[0:1], v8, v2 src0_sel:BYTE_0 src1_sel:DWORD
	s_and_b64 vcc, exec, s[0:1]
	s_cbranch_vccnz .LBB66_1045
; %bb.1042:
	v_mov_b32_e32 v2, 3
	v_cmp_lt_i16_sdwa s[0:1], v8, v2 src0_sel:BYTE_0 src1_sel:DWORD
	s_and_b64 vcc, exec, s[0:1]
	s_cbranch_vccnz .LBB66_1046
; %bb.1043:
	v_cmp_gt_i16_sdwa s[0:1], v8, v2 src0_sel:BYTE_0 src1_sel:DWORD
	s_and_b64 vcc, exec, s[0:1]
	s_cbranch_vccz .LBB66_1047
; %bb.1044:
	global_load_dwordx2 v[2:3], v[0:1], off
	s_mov_b64 s[0:1], 0
	s_waitcnt vmcnt(0)
	v_xor_b32_e32 v6, v2, v3
	v_ffbh_i32_e32 v5, v3
	v_ashrrev_i32_e32 v6, 31, v6
	v_add_u32_e32 v5, -1, v5
	v_add_u32_e32 v6, 32, v6
	v_min_u32_e32 v5, v5, v6
	v_lshlrev_b64 v[2:3], v5, v[2:3]
	v_min_u32_e32 v2, 1, v2
	v_or_b32_e32 v2, v3, v2
	v_cvt_f32_i32_e32 v2, v2
	v_sub_u32_e32 v3, 32, v5
	v_ldexp_f32 v2, v2, v3
	s_branch .LBB66_1048
.LBB66_1045:
	s_mov_b64 s[0:1], -1
                                        ; implicit-def: $vgpr2
	s_branch .LBB66_1054
.LBB66_1046:
	s_mov_b64 s[0:1], -1
                                        ; implicit-def: $vgpr2
	s_branch .LBB66_1051
.LBB66_1047:
	s_mov_b64 s[0:1], -1
                                        ; implicit-def: $vgpr2
.LBB66_1048:
	s_andn2_b64 vcc, exec, s[0:1]
	s_cbranch_vccnz .LBB66_1050
; %bb.1049:
	global_load_dword v2, v[0:1], off
	s_waitcnt vmcnt(0)
	v_cvt_f32_i32_e32 v2, v2
.LBB66_1050:
	s_mov_b64 s[0:1], 0
.LBB66_1051:
	s_andn2_b64 vcc, exec, s[0:1]
	s_cbranch_vccnz .LBB66_1053
; %bb.1052:
	global_load_sshort v2, v[0:1], off
	s_waitcnt vmcnt(0)
	v_cvt_f32_i32_e32 v2, v2
.LBB66_1053:
	s_mov_b64 s[0:1], 0
.LBB66_1054:
	s_andn2_b64 vcc, exec, s[0:1]
	s_cbranch_vccnz .LBB66_1060
; %bb.1055:
	v_mov_b32_e32 v2, 0
	v_cmp_gt_i16_sdwa s[0:1], v8, v2 src0_sel:BYTE_0 src1_sel:DWORD
	s_and_b64 vcc, exec, s[0:1]
	s_cbranch_vccz .LBB66_1057
; %bb.1056:
	global_load_sbyte v2, v[0:1], off
	s_mov_b64 s[0:1], 0
	s_waitcnt vmcnt(0)
	v_cvt_f32_i32_e32 v2, v2
	s_branch .LBB66_1058
.LBB66_1057:
	s_mov_b64 s[0:1], -1
                                        ; implicit-def: $vgpr2
.LBB66_1058:
	s_andn2_b64 vcc, exec, s[0:1]
	s_cbranch_vccnz .LBB66_1060
; %bb.1059:
	global_load_ubyte v0, v[0:1], off
	s_waitcnt vmcnt(0)
	v_cvt_f32_ubyte0_e32 v2, v0
.LBB66_1060:
	s_mov_b64 s[0:1], -1
.LBB66_1061:
	s_andn2_b64 vcc, exec, s[0:1]
	s_cbranch_vccnz .LBB66_1081
; %bb.1062:
	s_waitcnt vmcnt(0)
	v_trunc_f32_e32 v0, v2
	s_mov_b32 s0, 0x2f800000
	v_mul_f32_e64 v1, |v0|, s0
	v_floor_f32_e32 v1, v1
	s_mov_b32 s0, 0xcf800000
	v_cvt_u32_f32_e32 v2, v1
	v_fma_f32 v1, v1, s0, |v0|
	v_cvt_u32_f32_e32 v1, v1
	v_ashrrev_i32_e32 v0, 31, v0
	v_xor_b32_e32 v3, v2, v0
	v_xor_b32_e32 v1, v1, v0
	v_sub_co_u32_e32 v2, vcc, v1, v0
	v_subb_co_u32_e32 v3, vcc, v3, v0, vcc
	v_cmp_lt_i64_e32 vcc, -1, v[2:3]
	v_mov_b32_e32 v0, 0
	s_and_saveexec_b64 s[0:1], vcc
	s_cbranch_execz .LBB66_1074
; %bb.1063:
	v_cmp_lt_i64_e32 vcc, 0, v[2:3]
	v_mov_b32_e32 v0, 1.0
	s_and_saveexec_b64 s[40:41], vcc
	s_cbranch_execz .LBB66_1073
; %bb.1064:
	v_cmp_ne_u64_e32 vcc, 1, v[2:3]
                                        ; implicit-def: $vgpr0
	s_and_saveexec_b64 s[42:43], vcc
	s_xor_b64 s[42:43], exec, s[42:43]
	s_cbranch_execz .LBB66_1070
; %bb.1065:
	s_mov_b64 s[44:45], 0x81
	v_cmp_gt_u64_e32 vcc, s[44:45], v[2:3]
	v_mov_b32_e32 v0, 0x7fc00000
	s_and_saveexec_b64 s[44:45], vcc
	s_cbranch_execz .LBB66_1069
; %bb.1066:
	s_mov_b64 s[48:49], 1
	s_mov_b64 s[46:47], 0
	v_mov_b32_e32 v1, 1.0
	v_mov_b32_e32 v0, v4
.LBB66_1067:                            ; =>This Inner Loop Header: Depth=1
	s_flbit_i32_b32 s15, s49
	s_min_u32 s15, s15, 32
	s_lshl_b64 s[50:51], s[48:49], s15
	s_min_u32 s50, s50, 1
	s_or_b32 s50, s51, s50
	v_cvt_f32_u32_e32 v5, s50
	s_sub_i32 s15, 32, s15
	s_add_u32 s48, s48, 1
	s_addc_u32 s49, s49, 0
	v_ldexp_f32 v5, v5, s15
	v_cmp_eq_u64_e32 vcc, s[48:49], v[2:3]
	v_mul_f32_e32 v5, v1, v5
	s_or_b64 s[46:47], vcc, s[46:47]
	v_mov_b32_e32 v1, v0
	v_fma_f32 v0, v4, v0, -v5
	s_andn2_b64 exec, exec, s[46:47]
	s_cbranch_execnz .LBB66_1067
; %bb.1068:
	s_or_b64 exec, exec, s[46:47]
.LBB66_1069:
	s_or_b64 exec, exec, s[44:45]
                                        ; implicit-def: $vgpr4
.LBB66_1070:
	s_andn2_saveexec_b64 s[42:43], s[42:43]
; %bb.1071:
	v_mov_b32_e32 v0, v4
; %bb.1072:
	s_or_b64 exec, exec, s[42:43]
.LBB66_1073:
	s_or_b64 exec, exec, s[40:41]
.LBB66_1074:
	s_or_b64 exec, exec, s[0:1]
	v_mul_lo_u32 v1, v11, s12
	v_ashrrev_i32_e32 v3, 31, v1
	v_mov_b32_e32 v4, s9
	v_add_co_u32_e32 v2, vcc, s8, v1
	v_mov_b32_e32 v1, 11
	v_addc_co_u32_e32 v3, vcc, v4, v3, vcc
	v_cmp_lt_i16_sdwa s[0:1], v10, v1 src0_sel:BYTE_0 src1_sel:DWORD
	s_and_b64 vcc, exec, s[0:1]
	s_cbranch_vccnz .LBB66_1082
; %bb.1075:
	v_mov_b32_e32 v1, 25
	v_cmp_gt_i16_sdwa s[0:1], v10, v1 src0_sel:BYTE_0 src1_sel:DWORD
	s_and_b64 vcc, exec, s[0:1]
	s_cbranch_vccz .LBB66_1083
; %bb.1076:
	v_mov_b32_e32 v1, 28
	v_cmp_gt_i16_sdwa s[0:1], v10, v1 src0_sel:BYTE_0 src1_sel:DWORD
	s_and_b64 vcc, exec, s[0:1]
	s_cbranch_vccz .LBB66_1084
	;; [unrolled: 5-line block ×4, first 2 shown]
; %bb.1079:
	v_mov_b32_e32 v1, 46
	v_cmp_eq_u16_sdwa s[40:41], v10, v1 src0_sel:BYTE_0 src1_sel:DWORD
	s_mov_b64 s[42:43], 0
	s_mov_b64 s[0:1], -1
	s_and_b64 vcc, exec, s[40:41]
	s_mov_b64 s[40:41], 0
	s_cbranch_vccz .LBB66_1087
; %bb.1080:
	v_bfe_u32 v1, v0, 16, 1
	s_movk_i32 s0, 0x7fff
	v_add3_u32 v1, v0, v1, s0
	v_lshrrev_b32_e32 v1, 16, v1
	v_mov_b32_e32 v4, 0x7fc0
	v_cmp_o_f32_e32 vcc, v0, v0
	v_cndmask_b32_e32 v1, v4, v1, vcc
	global_store_dword v[2:3], v1, off
	s_mov_b64 s[40:41], -1
	s_mov_b64 s[0:1], 0
	s_branch .LBB66_1087
.LBB66_1081:
	s_mov_b64 s[42:43], 0
                                        ; implicit-def: $vgpr11
	s_mov_b64 s[0:1], s[28:29]
	s_branch .LBB66_1197
.LBB66_1082:
	s_mov_b64 s[42:43], -1
	s_mov_b64 s[40:41], 0
	s_mov_b64 s[0:1], s[28:29]
	s_branch .LBB66_1156
.LBB66_1083:
	s_mov_b64 s[42:43], -1
	s_mov_b64 s[40:41], 0
	s_mov_b64 s[0:1], s[28:29]
	s_branch .LBB66_1114
.LBB66_1084:
	s_mov_b64 s[42:43], -1
	s_mov_b64 s[40:41], 0
	s_mov_b64 s[0:1], s[28:29]
	s_branch .LBB66_1097
.LBB66_1085:
	s_mov_b64 s[42:43], -1
	s_mov_b64 s[40:41], 0
	s_mov_b64 s[0:1], s[28:29]
	s_branch .LBB66_1093
.LBB66_1086:
	s_mov_b64 s[42:43], -1
	s_mov_b64 s[40:41], 0
	s_mov_b64 s[0:1], s[28:29]
.LBB66_1087:
	s_and_b64 vcc, exec, s[42:43]
	s_cbranch_vccz .LBB66_1092
; %bb.1088:
	v_mov_b32_e32 v1, 44
	v_cmp_eq_u16_sdwa s[42:43], v10, v1 src0_sel:BYTE_0 src1_sel:DWORD
	s_mov_b64 s[0:1], -1
	s_and_b64 vcc, exec, s[42:43]
	s_cbranch_vccz .LBB66_1092
; %bb.1089:
	v_bfe_u32 v1, v0, 23, 8
	s_movk_i32 s0, 0xff
	v_cmp_ne_u32_e32 vcc, s0, v1
	v_mov_b32_e32 v4, 0xff
	s_and_saveexec_b64 s[40:41], vcc
; %bb.1090:
	s_mov_b32 s0, 0x3fffff
	v_and_b32_e32 v5, 0x400000, v0
	v_and_or_b32 v1, v0, s0, v1
	v_cmp_ne_u32_e32 vcc, 0, v5
	v_cmp_ne_u32_e64 s[0:1], 0, v1
	s_and_b64 s[0:1], vcc, s[0:1]
	v_lshrrev_b32_e32 v4, 23, v0
	v_cndmask_b32_e64 v1, 0, 1, s[0:1]
	v_add_u32_e32 v4, v4, v1
; %bb.1091:
	s_or_b64 exec, exec, s[40:41]
	s_mov_b64 s[40:41], -1
	s_mov_b64 s[0:1], 0
	global_store_byte v[2:3], v4, off
.LBB66_1092:
	s_mov_b64 s[42:43], 0
.LBB66_1093:
	s_and_b64 vcc, exec, s[42:43]
	s_cbranch_vccz .LBB66_1096
; %bb.1094:
	v_mov_b32_e32 v1, 29
	v_cmp_eq_u16_sdwa s[42:43], v10, v1 src0_sel:BYTE_0 src1_sel:DWORD
	s_mov_b64 s[0:1], -1
	s_and_b64 vcc, exec, s[42:43]
	s_cbranch_vccz .LBB66_1096
; %bb.1095:
	v_trunc_f32_e32 v1, v0
	v_mul_f32_e32 v4, 0x2f800000, v1
	v_floor_f32_e32 v4, v4
	v_fmac_f32_e32 v1, 0xcf800000, v4
	v_cvt_u32_f32_e32 v5, v4
	v_cvt_u32_f32_e32 v4, v1
	s_mov_b64 s[40:41], -1
	s_mov_b64 s[0:1], 0
	s_mov_b64 s[42:43], 0
	global_store_dwordx2 v[2:3], v[4:5], off
	s_branch .LBB66_1097
.LBB66_1096:
	s_mov_b64 s[42:43], 0
.LBB66_1097:
	s_and_b64 vcc, exec, s[42:43]
	s_cbranch_vccz .LBB66_1113
; %bb.1098:
	v_mov_b32_e32 v1, 27
	v_cmp_lt_i16_sdwa s[42:43], v10, v1 src0_sel:BYTE_0 src1_sel:DWORD
	s_mov_b64 s[40:41], -1
	s_and_b64 vcc, exec, s[42:43]
	s_cbranch_vccnz .LBB66_1104
; %bb.1099:
	v_cmp_gt_i16_sdwa s[42:43], v10, v1 src0_sel:BYTE_0 src1_sel:DWORD
	v_cvt_u32_f32_e32 v1, v0
	s_and_b64 vcc, exec, s[42:43]
	s_cbranch_vccz .LBB66_1101
; %bb.1100:
	s_mov_b64 s[40:41], 0
	global_store_dword v[2:3], v1, off
.LBB66_1101:
	s_andn2_b64 vcc, exec, s[40:41]
	s_cbranch_vccnz .LBB66_1103
; %bb.1102:
	global_store_short v[2:3], v1, off
.LBB66_1103:
	s_mov_b64 s[40:41], 0
.LBB66_1104:
	s_andn2_b64 vcc, exec, s[40:41]
	s_cbranch_vccnz .LBB66_1112
; %bb.1105:
	v_and_b32_e32 v1, 0x7fffffff, v0
	s_mov_b32 s15, 0x43800000
	v_cmp_gt_u32_e32 vcc, s15, v1
	v_mov_b32_e32 v4, 0x80
	s_and_saveexec_b64 s[40:41], vcc
	s_cbranch_execz .LBB66_1111
; %bb.1106:
	s_mov_b32 s15, 0x3bffffff
	v_cmp_lt_u32_e32 vcc, s15, v1
	s_mov_b64 s[42:43], 0
                                        ; implicit-def: $vgpr1
	s_and_saveexec_b64 s[44:45], vcc
	s_xor_b64 s[44:45], exec, s[44:45]
	s_cbranch_execz .LBB66_1213
; %bb.1107:
	v_bfe_u32 v1, v0, 20, 1
	s_mov_b32 s15, 0x487ffff
	v_add3_u32 v1, v0, v1, s15
	s_mov_b64 s[42:43], exec
	v_lshrrev_b32_e32 v1, 20, v1
	s_or_saveexec_b64 s[44:45], s[44:45]
                                        ; implicit-def: $sgpr15
	s_xor_b64 exec, exec, s[44:45]
	s_cbranch_execnz .LBB66_1214
.LBB66_1108:
	s_or_b64 exec, exec, s[44:45]
	v_mov_b32_e32 v4, s15
	s_and_saveexec_b64 s[44:45], s[42:43]
.LBB66_1109:
	v_lshrrev_b32_e32 v4, 24, v0
	s_movk_i32 s15, 0x80
	v_and_or_b32 v4, v4, s15, v1
.LBB66_1110:
	s_or_b64 exec, exec, s[44:45]
.LBB66_1111:
	s_or_b64 exec, exec, s[40:41]
	global_store_byte v[2:3], v4, off
.LBB66_1112:
	s_mov_b64 s[40:41], -1
.LBB66_1113:
	s_mov_b64 s[42:43], 0
.LBB66_1114:
	s_and_b64 vcc, exec, s[42:43]
	s_cbranch_vccz .LBB66_1155
; %bb.1115:
	v_mov_b32_e32 v1, 22
	v_cmp_gt_i16_sdwa s[44:45], v10, v1 src0_sel:BYTE_0 src1_sel:DWORD
	s_mov_b64 s[42:43], -1
	s_and_b64 vcc, exec, s[44:45]
	s_cbranch_vccz .LBB66_1147
; %bb.1116:
	v_mov_b32_e32 v1, 24
	v_cmp_lt_i16_sdwa s[42:43], v10, v1 src0_sel:BYTE_0 src1_sel:DWORD
	s_mov_b64 s[40:41], -1
	s_and_b64 vcc, exec, s[42:43]
	s_cbranch_vccnz .LBB66_1136
; %bb.1117:
	v_cmp_gt_i16_sdwa s[42:43], v10, v1 src0_sel:BYTE_0 src1_sel:DWORD
	s_and_b64 vcc, exec, s[42:43]
	s_cbranch_vccz .LBB66_1125
; %bb.1118:
	v_and_b32_e32 v1, 0x7fffffff, v0
	s_mov_b32 s15, 0x47800000
	v_cmp_gt_u32_e32 vcc, s15, v1
	v_mov_b32_e32 v4, 0x80
	s_and_saveexec_b64 s[40:41], vcc
	s_cbranch_execz .LBB66_1124
; %bb.1119:
	s_mov_b32 s15, 0x37ffffff
	v_cmp_lt_u32_e32 vcc, s15, v1
	s_mov_b64 s[42:43], 0
                                        ; implicit-def: $vgpr1
	s_and_saveexec_b64 s[44:45], vcc
	s_xor_b64 s[44:45], exec, s[44:45]
	s_cbranch_execz .LBB66_2272
; %bb.1120:
	v_bfe_u32 v1, v0, 21, 1
	s_mov_b32 s15, 0x88fffff
	v_add3_u32 v1, v0, v1, s15
	s_mov_b64 s[42:43], exec
	v_lshrrev_b32_e32 v1, 21, v1
	s_or_saveexec_b64 s[44:45], s[44:45]
                                        ; implicit-def: $sgpr15
	s_xor_b64 exec, exec, s[44:45]
	s_cbranch_execnz .LBB66_2273
.LBB66_1121:
	s_or_b64 exec, exec, s[44:45]
	v_mov_b32_e32 v4, s15
	s_and_saveexec_b64 s[44:45], s[42:43]
.LBB66_1122:
	v_lshrrev_b32_e32 v4, 24, v0
	s_movk_i32 s15, 0x80
	v_and_or_b32 v4, v4, s15, v1
.LBB66_1123:
	s_or_b64 exec, exec, s[44:45]
.LBB66_1124:
	s_or_b64 exec, exec, s[40:41]
	s_mov_b64 s[40:41], 0
	global_store_byte v[2:3], v4, off
.LBB66_1125:
	s_and_b64 vcc, exec, s[40:41]
	s_cbranch_vccz .LBB66_1135
; %bb.1126:
	v_and_b32_e32 v4, 0x7fffffff, v0
	s_mov_b32 s15, 0x43f00000
	v_cmp_gt_u32_e32 vcc, s15, v4
                                        ; implicit-def: $vgpr1
	s_and_saveexec_b64 s[40:41], vcc
	s_xor_b64 s[40:41], exec, s[40:41]
	s_cbranch_execz .LBB66_1132
; %bb.1127:
	s_mov_b32 s15, 0x3c7fffff
	v_cmp_lt_u32_e32 vcc, s15, v4
                                        ; implicit-def: $vgpr1
	s_and_saveexec_b64 s[42:43], vcc
	s_xor_b64 s[42:43], exec, s[42:43]
; %bb.1128:
	v_bfe_u32 v1, v0, 20, 1
	s_mov_b32 s15, 0x407ffff
	v_add3_u32 v1, v0, v1, s15
	v_lshrrev_b32_e32 v4, 20, v1
	v_and_b32_e32 v1, 0xff00000, v1
	s_mov_b32 s15, 0x7f00000
	v_mov_b32_e32 v5, 0x7e
	v_cmp_ne_u32_e32 vcc, s15, v1
	v_cndmask_b32_e32 v1, v5, v4, vcc
; %bb.1129:
	s_andn2_saveexec_b64 s[42:43], s[42:43]
; %bb.1130:
	s_mov_b32 s15, 0x46800000
	v_add_f32_e64 v1, |v0|, s15
; %bb.1131:
	s_or_b64 exec, exec, s[42:43]
                                        ; implicit-def: $vgpr4
.LBB66_1132:
	s_andn2_saveexec_b64 s[40:41], s[40:41]
; %bb.1133:
	s_mov_b32 s15, 0x7f800000
	v_mov_b32_e32 v1, 0x7e
	v_mov_b32_e32 v5, 0x7f
	v_cmp_lt_u32_e32 vcc, s15, v4
	v_cndmask_b32_e32 v1, v1, v5, vcc
; %bb.1134:
	s_or_b64 exec, exec, s[40:41]
	v_lshrrev_b32_e32 v4, 24, v0
	s_movk_i32 s15, 0x80
	v_and_or_b32 v1, v4, s15, v1
	global_store_byte v[2:3], v1, off
.LBB66_1135:
	s_mov_b64 s[40:41], 0
.LBB66_1136:
	s_andn2_b64 vcc, exec, s[40:41]
	s_cbranch_vccnz .LBB66_1146
; %bb.1137:
	v_and_b32_e32 v4, 0x7fffffff, v0
	s_mov_b32 s15, 0x47800000
	v_cmp_gt_u32_e32 vcc, s15, v4
                                        ; implicit-def: $vgpr1
	s_and_saveexec_b64 s[40:41], vcc
	s_xor_b64 s[40:41], exec, s[40:41]
	s_cbranch_execz .LBB66_1143
; %bb.1138:
	s_mov_b32 s15, 0x387fffff
	v_cmp_lt_u32_e32 vcc, s15, v4
                                        ; implicit-def: $vgpr1
	s_and_saveexec_b64 s[42:43], vcc
	s_xor_b64 s[42:43], exec, s[42:43]
; %bb.1139:
	v_bfe_u32 v1, v0, 21, 1
	s_mov_b32 s15, 0x80fffff
	v_add3_u32 v1, v0, v1, s15
	v_lshrrev_b32_e32 v1, 21, v1
; %bb.1140:
	s_andn2_saveexec_b64 s[42:43], s[42:43]
; %bb.1141:
	s_mov_b32 s15, 0x43000000
	v_add_f32_e64 v1, |v0|, s15
; %bb.1142:
	s_or_b64 exec, exec, s[42:43]
                                        ; implicit-def: $vgpr4
.LBB66_1143:
	s_andn2_saveexec_b64 s[40:41], s[40:41]
; %bb.1144:
	s_mov_b32 s15, 0x7f800000
	v_mov_b32_e32 v1, 0x7c
	v_mov_b32_e32 v5, 0x7f
	v_cmp_lt_u32_e32 vcc, s15, v4
	v_cndmask_b32_e32 v1, v1, v5, vcc
; %bb.1145:
	s_or_b64 exec, exec, s[40:41]
	v_lshrrev_b32_e32 v4, 24, v0
	s_movk_i32 s15, 0x80
	v_and_or_b32 v1, v4, s15, v1
	global_store_byte v[2:3], v1, off
.LBB66_1146:
	s_mov_b64 s[42:43], 0
	s_mov_b64 s[40:41], -1
.LBB66_1147:
	s_andn2_b64 vcc, exec, s[42:43]
	s_cbranch_vccnz .LBB66_1155
; %bb.1148:
	v_mov_b32_e32 v1, 14
	v_cmp_gt_i16_sdwa s[44:45], v10, v1 src0_sel:BYTE_0 src1_sel:DWORD
	s_mov_b64 s[42:43], -1
	s_and_b64 vcc, exec, s[44:45]
	s_cbranch_vccz .LBB66_1152
; %bb.1149:
	v_mov_b32_e32 v1, 15
	v_cmp_eq_u16_sdwa s[42:43], v10, v1 src0_sel:BYTE_0 src1_sel:DWORD
	s_mov_b64 s[0:1], -1
	s_and_b64 vcc, exec, s[42:43]
	s_cbranch_vccz .LBB66_1151
; %bb.1150:
	v_bfe_u32 v1, v0, 16, 1
	s_movk_i32 s0, 0x7fff
	v_add3_u32 v1, v0, v1, s0
	v_lshrrev_b32_e32 v1, 16, v1
	v_mov_b32_e32 v4, 0x7fc0
	v_cmp_o_f32_e32 vcc, v0, v0
	v_cndmask_b32_e32 v1, v4, v1, vcc
	global_store_short v[2:3], v1, off
	s_mov_b64 s[40:41], -1
	s_mov_b64 s[0:1], 0
.LBB66_1151:
	s_mov_b64 s[42:43], 0
.LBB66_1152:
	s_and_b64 vcc, exec, s[42:43]
	s_cbranch_vccz .LBB66_1155
; %bb.1153:
	v_mov_b32_e32 v1, 11
	v_cmp_eq_u16_sdwa s[42:43], v10, v1 src0_sel:BYTE_0 src1_sel:DWORD
	s_mov_b64 s[0:1], -1
	s_and_b64 vcc, exec, s[42:43]
	s_cbranch_vccz .LBB66_1155
; %bb.1154:
	v_cmp_neq_f32_e32 vcc, 0, v0
	v_cndmask_b32_e64 v1, 0, 1, vcc
	s_mov_b64 s[40:41], -1
	s_mov_b64 s[0:1], 0
	global_store_byte v[2:3], v1, off
.LBB66_1155:
	s_mov_b64 s[42:43], 0
.LBB66_1156:
	s_and_b64 vcc, exec, s[42:43]
	s_cbranch_vccz .LBB66_1195
; %bb.1157:
	v_mov_b32_e32 v1, 5
	v_cmp_lt_i16_sdwa s[42:43], v10, v1 src0_sel:BYTE_0 src1_sel:DWORD
	s_mov_b64 s[40:41], -1
	s_and_b64 vcc, exec, s[42:43]
	s_cbranch_vccnz .LBB66_1178
; %bb.1158:
	v_mov_b32_e32 v1, 8
	v_cmp_lt_i16_sdwa s[42:43], v10, v1 src0_sel:BYTE_0 src1_sel:DWORD
	s_and_b64 vcc, exec, s[42:43]
	s_cbranch_vccnz .LBB66_1168
; %bb.1159:
	v_mov_b32_e32 v1, 9
	v_cmp_lt_i16_sdwa s[42:43], v10, v1 src0_sel:BYTE_0 src1_sel:DWORD
	s_and_b64 vcc, exec, s[42:43]
	s_cbranch_vccnz .LBB66_1165
; %bb.1160:
	v_cmp_gt_i16_sdwa s[42:43], v10, v1 src0_sel:BYTE_0 src1_sel:DWORD
	s_and_b64 vcc, exec, s[42:43]
	s_cbranch_vccz .LBB66_1162
; %bb.1161:
	v_mov_b32_e32 v6, 0
	v_cvt_f64_f32_e32 v[4:5], v0
	v_mov_b32_e32 v7, v6
	s_mov_b64 s[40:41], 0
	global_store_dwordx4 v[2:3], v[4:7], off
.LBB66_1162:
	s_andn2_b64 vcc, exec, s[40:41]
	s_cbranch_vccnz .LBB66_1164
; %bb.1163:
	v_mov_b32_e32 v1, 0
	global_store_dwordx2 v[2:3], v[0:1], off
.LBB66_1164:
	s_mov_b64 s[40:41], 0
.LBB66_1165:
	s_andn2_b64 vcc, exec, s[40:41]
	s_cbranch_vccnz .LBB66_1167
; %bb.1166:
	v_cvt_f16_f32_e32 v1, v0
	global_store_dword v[2:3], v1, off
.LBB66_1167:
	s_mov_b64 s[40:41], 0
.LBB66_1168:
	s_andn2_b64 vcc, exec, s[40:41]
	s_cbranch_vccnz .LBB66_1177
; %bb.1169:
	v_mov_b32_e32 v1, 6
	v_cmp_lt_i16_sdwa s[42:43], v10, v1 src0_sel:BYTE_0 src1_sel:DWORD
	s_mov_b64 s[40:41], -1
	s_and_b64 vcc, exec, s[42:43]
	s_cbranch_vccnz .LBB66_1175
; %bb.1170:
	v_cmp_gt_i16_sdwa s[42:43], v10, v1 src0_sel:BYTE_0 src1_sel:DWORD
	s_and_b64 vcc, exec, s[42:43]
	s_cbranch_vccz .LBB66_1172
; %bb.1171:
	v_cvt_f64_f32_e32 v[4:5], v0
	s_mov_b64 s[40:41], 0
	global_store_dwordx2 v[2:3], v[4:5], off
.LBB66_1172:
	s_andn2_b64 vcc, exec, s[40:41]
	s_cbranch_vccnz .LBB66_1174
; %bb.1173:
	global_store_dword v[2:3], v0, off
.LBB66_1174:
	s_mov_b64 s[40:41], 0
.LBB66_1175:
	s_andn2_b64 vcc, exec, s[40:41]
	s_cbranch_vccnz .LBB66_1177
; %bb.1176:
	v_cvt_f16_f32_e32 v1, v0
	global_store_short v[2:3], v1, off
.LBB66_1177:
	s_mov_b64 s[40:41], 0
.LBB66_1178:
	s_andn2_b64 vcc, exec, s[40:41]
	s_cbranch_vccnz .LBB66_1194
; %bb.1179:
	v_mov_b32_e32 v1, 2
	v_cmp_lt_i16_sdwa s[42:43], v10, v1 src0_sel:BYTE_0 src1_sel:DWORD
	s_mov_b64 s[40:41], -1
	s_and_b64 vcc, exec, s[42:43]
	s_cbranch_vccnz .LBB66_1189
; %bb.1180:
	v_mov_b32_e32 v1, 3
	v_cmp_lt_i16_sdwa s[42:43], v10, v1 src0_sel:BYTE_0 src1_sel:DWORD
	s_and_b64 vcc, exec, s[42:43]
	s_cbranch_vccnz .LBB66_1186
; %bb.1181:
	v_cmp_gt_i16_sdwa s[42:43], v10, v1 src0_sel:BYTE_0 src1_sel:DWORD
	s_and_b64 vcc, exec, s[42:43]
	s_cbranch_vccz .LBB66_1183
; %bb.1182:
	v_trunc_f32_e32 v1, v0
	s_mov_b32 s15, 0x2f800000
	v_mul_f32_e64 v4, |v1|, s15
	v_floor_f32_e32 v4, v4
	s_mov_b32 s15, 0xcf800000
	v_cvt_u32_f32_e32 v5, v4
	v_fma_f32 v4, v4, s15, |v1|
	v_cvt_u32_f32_e32 v4, v4
	v_ashrrev_i32_e32 v1, 31, v1
	v_xor_b32_e32 v5, v5, v1
	s_mov_b64 s[40:41], 0
	v_xor_b32_e32 v4, v4, v1
	v_sub_co_u32_e32 v4, vcc, v4, v1
	v_subb_co_u32_e32 v5, vcc, v5, v1, vcc
	global_store_dwordx2 v[2:3], v[4:5], off
.LBB66_1183:
	s_andn2_b64 vcc, exec, s[40:41]
	s_cbranch_vccnz .LBB66_1185
; %bb.1184:
	v_cvt_i32_f32_e32 v1, v0
	global_store_dword v[2:3], v1, off
.LBB66_1185:
	s_mov_b64 s[40:41], 0
.LBB66_1186:
	s_andn2_b64 vcc, exec, s[40:41]
	s_cbranch_vccnz .LBB66_1188
; %bb.1187:
	v_cvt_i32_f32_e32 v1, v0
	global_store_short v[2:3], v1, off
.LBB66_1188:
	s_mov_b64 s[40:41], 0
.LBB66_1189:
	s_andn2_b64 vcc, exec, s[40:41]
	s_cbranch_vccnz .LBB66_1194
; %bb.1190:
	v_mov_b32_e32 v1, 0
	v_cmp_gt_i16_sdwa s[42:43], v10, v1 src0_sel:BYTE_0 src1_sel:DWORD
	s_mov_b64 s[40:41], -1
	s_and_b64 vcc, exec, s[42:43]
	s_cbranch_vccz .LBB66_1192
; %bb.1191:
	v_cvt_i32_f32_e32 v1, v0
	s_mov_b64 s[40:41], 0
	global_store_byte v[2:3], v1, off
.LBB66_1192:
	s_andn2_b64 vcc, exec, s[40:41]
	s_cbranch_vccnz .LBB66_1194
; %bb.1193:
	v_trunc_f32_e32 v0, v0
	s_mov_b32 s15, 0x2f800000
	v_mul_f32_e64 v1, |v0|, s15
	v_floor_f32_e32 v1, v1
	s_mov_b32 s15, 0xcf800000
	v_fma_f32 v1, v1, s15, |v0|
	v_cvt_u32_f32_e32 v1, v1
	v_ashrrev_i32_e32 v0, 31, v0
	v_xor_b32_e32 v1, v1, v0
	v_sub_u32_e32 v0, v1, v0
	global_store_byte v[2:3], v0, off
.LBB66_1194:
	s_mov_b64 s[40:41], -1
.LBB66_1195:
	s_andn2_b64 vcc, exec, s[40:41]
	s_cbranch_vccnz .LBB66_1208
; %bb.1196:
	v_add_u32_e32 v11, 0x80, v11
	s_mov_b64 s[42:43], -1
.LBB66_1197:
	s_andn2_b64 s[40:41], s[28:29], exec
	s_and_b64 s[0:1], s[0:1], exec
	s_or_b64 s[40:41], s[40:41], s[0:1]
	s_andn2_b64 s[0:1], s[26:27], exec
	s_and_b64 s[38:39], s[38:39], exec
	s_or_b64 s[38:39], s[0:1], s[38:39]
	;; [unrolled: 3-line block ×3, first 2 shown]
	s_orn2_b64 s[46:47], s[42:43], exec
.LBB66_1198:
	s_or_b64 exec, exec, s[34:35]
	s_mov_b64 s[42:43], 0
	s_mov_b64 s[36:37], 0
	;; [unrolled: 1-line block ×3, first 2 shown]
                                        ; implicit-def: $vgpr2
                                        ; implicit-def: $vgpr0_vgpr1
                                        ; implicit-def: $vgpr4
	s_and_saveexec_b64 s[34:35], s[46:47]
	s_cbranch_execz .LBB66_1282
; %bb.1199:
	v_cmp_gt_i32_e32 vcc, s33, v11
	s_mov_b64 s[46:47], 0
	s_mov_b64 s[48:49], s[0:1]
	;; [unrolled: 1-line block ×4, first 2 shown]
                                        ; implicit-def: $vgpr2
                                        ; implicit-def: $vgpr0_vgpr1
                                        ; implicit-def: $vgpr4
	s_and_saveexec_b64 s[36:37], vcc
	s_cbranch_execz .LBB66_1281
; %bb.1200:
	v_mul_lo_u32 v0, v11, s13
	v_ashrrev_i32_e32 v1, 31, v0
	s_waitcnt vmcnt(0)
	v_mov_b32_e32 v2, s11
	v_add_co_u32_e32 v0, vcc, s10, v0
	v_addc_co_u32_e32 v1, vcc, v2, v1, vcc
	v_and_b32_e32 v2, 0xff, v9
	v_cmp_gt_i16_e32 vcc, 11, v2
	s_cbranch_vccnz .LBB66_1207
; %bb.1201:
	v_cmp_lt_i16_e32 vcc, 25, v2
	s_cbranch_vccz .LBB66_1209
; %bb.1202:
	v_cmp_lt_i16_e32 vcc, 28, v2
	s_cbranch_vccz .LBB66_1210
	;; [unrolled: 3-line block ×4, first 2 shown]
; %bb.1205:
	v_cmp_eq_u16_e32 vcc, 46, v2
	s_mov_b64 s[48:49], 0
	s_cbranch_vccz .LBB66_1215
; %bb.1206:
	global_load_dword v3, v[0:1], off
	s_mov_b64 s[46:47], -1
	s_waitcnt vmcnt(0)
	v_lshlrev_b32_e32 v4, 16, v3
	s_branch .LBB66_1217
.LBB66_1207:
	s_mov_b64 s[48:49], -1
                                        ; implicit-def: $vgpr4
	s_mov_b64 s[42:43], s[0:1]
	s_branch .LBB66_1280
.LBB66_1208:
	s_mov_b64 s[42:43], 0
	s_branch .LBB66_938
.LBB66_1209:
	s_mov_b64 s[48:49], -1
	s_mov_b64 s[42:43], s[0:1]
                                        ; implicit-def: $vgpr4
	s_branch .LBB66_1246
.LBB66_1210:
	s_mov_b64 s[48:49], -1
	s_mov_b64 s[42:43], s[0:1]
                                        ; implicit-def: $vgpr4
	s_branch .LBB66_1227
.LBB66_1211:
	s_mov_b64 s[48:49], -1
	s_mov_b64 s[42:43], s[0:1]
                                        ; implicit-def: $vgpr4
	s_branch .LBB66_1222
.LBB66_1212:
	s_mov_b64 s[48:49], -1
	s_mov_b64 s[42:43], s[0:1]
	s_branch .LBB66_1216
.LBB66_1213:
	s_or_saveexec_b64 s[44:45], s[44:45]
                                        ; implicit-def: $sgpr15
	s_xor_b64 exec, exec, s[44:45]
	s_cbranch_execz .LBB66_1108
.LBB66_1214:
	s_mov_b32 s15, 0x46000000
	v_add_f32_e64 v1, |v0|, s15
	v_and_b32_e32 v1, 0xff, v1
	v_cmp_ne_u32_e32 vcc, 0, v1
	s_andn2_b64 s[42:43], s[42:43], exec
	s_and_b64 s[46:47], vcc, exec
	s_mov_b32 s15, 0
	s_or_b64 s[42:43], s[42:43], s[46:47]
	s_or_b64 exec, exec, s[44:45]
	v_mov_b32_e32 v4, s15
	s_and_saveexec_b64 s[44:45], s[42:43]
	s_cbranch_execnz .LBB66_1109
	s_branch .LBB66_1110
.LBB66_1215:
	s_mov_b64 s[42:43], -1
.LBB66_1216:
                                        ; implicit-def: $vgpr4
.LBB66_1217:
	s_and_b64 vcc, exec, s[48:49]
	s_cbranch_vccz .LBB66_1221
; %bb.1218:
	v_cmp_eq_u16_e32 vcc, 44, v2
	s_cbranch_vccz .LBB66_1220
; %bb.1219:
	global_load_ubyte v3, v[0:1], off
	s_movk_i32 s15, 0xff
	v_mov_b32_e32 v4, 0x7f800001
	v_mov_b32_e32 v5, 0x400000
	s_mov_b64 s[42:43], 0
	s_mov_b64 s[46:47], -1
	s_waitcnt vmcnt(0)
	v_lshlrev_b32_e32 v6, 23, v3
	v_cmp_ne_u32_e32 vcc, s15, v3
	v_cndmask_b32_e32 v4, v4, v6, vcc
	v_cmp_ne_u32_e32 vcc, 0, v3
	v_cndmask_b32_e32 v4, v5, v4, vcc
	s_branch .LBB66_1221
.LBB66_1220:
	s_mov_b64 s[42:43], -1
                                        ; implicit-def: $vgpr4
.LBB66_1221:
	s_mov_b64 s[48:49], 0
.LBB66_1222:
	s_and_b64 vcc, exec, s[48:49]
	s_cbranch_vccz .LBB66_1226
; %bb.1223:
	v_cmp_eq_u16_e32 vcc, 29, v2
	s_cbranch_vccz .LBB66_1225
; %bb.1224:
	global_load_dwordx2 v[4:5], v[0:1], off
	s_mov_b64 s[42:43], 0
	s_mov_b64 s[46:47], -1
	s_mov_b64 s[48:49], 0
	s_waitcnt vmcnt(0)
	v_ffbh_u32_e32 v3, v5
	v_min_u32_e32 v3, 32, v3
	v_lshlrev_b64 v[4:5], v3, v[4:5]
	v_min_u32_e32 v4, 1, v4
	v_or_b32_e32 v4, v5, v4
	v_cvt_f32_u32_e32 v4, v4
	v_sub_u32_e32 v3, 32, v3
	v_ldexp_f32 v4, v4, v3
	s_branch .LBB66_1227
.LBB66_1225:
	s_mov_b64 s[42:43], -1
                                        ; implicit-def: $vgpr4
.LBB66_1226:
	s_mov_b64 s[48:49], 0
.LBB66_1227:
	s_and_b64 vcc, exec, s[48:49]
	s_cbranch_vccz .LBB66_1245
; %bb.1228:
	v_cmp_gt_i16_e32 vcc, 27, v2
	s_cbranch_vccnz .LBB66_1231
; %bb.1229:
	v_cmp_lt_i16_e32 vcc, 27, v2
	s_cbranch_vccz .LBB66_1232
; %bb.1230:
	global_load_dword v3, v[0:1], off
	s_mov_b64 s[46:47], 0
	s_waitcnt vmcnt(0)
	v_cvt_f32_u32_e32 v4, v3
	s_branch .LBB66_1233
.LBB66_1231:
	s_mov_b64 s[46:47], -1
                                        ; implicit-def: $vgpr4
	s_branch .LBB66_1236
.LBB66_1232:
	s_mov_b64 s[46:47], -1
                                        ; implicit-def: $vgpr4
.LBB66_1233:
	s_andn2_b64 vcc, exec, s[46:47]
	s_cbranch_vccnz .LBB66_1235
; %bb.1234:
	global_load_ushort v3, v[0:1], off
	s_waitcnt vmcnt(0)
	v_cvt_f32_u32_e32 v4, v3
.LBB66_1235:
	s_mov_b64 s[46:47], 0
.LBB66_1236:
	s_andn2_b64 vcc, exec, s[46:47]
	s_cbranch_vccnz .LBB66_1244
; %bb.1237:
	global_load_ubyte v3, v[0:1], off
	s_movk_i32 s15, 0x7f
	s_mov_b64 s[46:47], 0
	s_waitcnt vmcnt(0)
	v_cmp_lt_i16_e32 vcc, s15, v3
                                        ; implicit-def: $sgpr15
	s_and_saveexec_b64 s[48:49], vcc
	s_xor_b64 s[48:49], exec, s[48:49]
	s_cbranch_execz .LBB66_1258
; %bb.1238:
	s_movk_i32 s15, 0x80
	v_cmp_eq_u16_e32 vcc, s15, v3
	s_mov_b64 s[46:47], -1
                                        ; implicit-def: $sgpr15
	s_and_saveexec_b64 s[50:51], vcc
; %bb.1239:
	s_mov_b32 s15, 0x7f800001
	s_xor_b64 s[46:47], exec, -1
; %bb.1240:
	s_or_b64 exec, exec, s[50:51]
	s_and_b64 s[46:47], s[46:47], exec
	s_or_saveexec_b64 s[48:49], s[48:49]
	v_mov_b32_e32 v4, s15
	s_xor_b64 exec, exec, s[48:49]
	s_cbranch_execnz .LBB66_1259
.LBB66_1241:
	s_or_b64 exec, exec, s[48:49]
	s_and_saveexec_b64 s[48:49], s[46:47]
	s_cbranch_execz .LBB66_1243
.LBB66_1242:
	v_lshlrev_b32_e32 v4, 24, v3
	v_and_b32_e32 v3, 0xffff, v3
	v_and_b32_e32 v5, 7, v3
	v_ffbh_u32_e32 v7, v5
	v_min_u32_e32 v7, 32, v7
	v_subrev_u32_e32 v9, 28, v7
	v_bfe_u32 v6, v3, 3, 4
	v_lshlrev_b32_e32 v3, v9, v3
	v_sub_u32_e32 v7, 29, v7
	v_and_b32_e32 v3, 7, v3
	v_cmp_eq_u32_e32 vcc, 0, v6
	v_cndmask_b32_e32 v6, v6, v7, vcc
	v_cndmask_b32_e32 v3, v5, v3, vcc
	v_mov_b32_e32 v5, 0x3b800000
	v_lshlrev_b32_e32 v3, 20, v3
	v_and_b32_e32 v4, 0x80000000, v4
	v_lshl_add_u32 v5, v6, 23, v5
	v_or3_b32 v4, v4, v5, v3
.LBB66_1243:
	s_or_b64 exec, exec, s[48:49]
.LBB66_1244:
	s_mov_b64 s[46:47], -1
.LBB66_1245:
	s_mov_b64 s[48:49], 0
.LBB66_1246:
	s_and_b64 vcc, exec, s[48:49]
	s_cbranch_vccz .LBB66_1279
; %bb.1247:
	v_cmp_lt_i16_e32 vcc, 22, v2
	s_cbranch_vccz .LBB66_1257
; %bb.1248:
	v_cmp_gt_i16_e32 vcc, 24, v2
	s_cbranch_vccnz .LBB66_1260
; %bb.1249:
	v_cmp_lt_i16_e32 vcc, 24, v2
	s_cbranch_vccz .LBB66_1261
; %bb.1250:
	global_load_ubyte v3, v[0:1], off
	s_movk_i32 s15, 0x7f
	s_waitcnt vmcnt(0)
	v_cmp_lt_i16_e32 vcc, s15, v3
                                        ; implicit-def: $sgpr15
	s_and_saveexec_b64 s[46:47], vcc
	s_xor_b64 s[46:47], exec, s[46:47]
	s_cbranch_execz .LBB66_1273
; %bb.1251:
	s_movk_i32 s15, 0x80
	v_cmp_eq_u16_e32 vcc, s15, v3
	s_mov_b64 s[44:45], -1
                                        ; implicit-def: $sgpr15
	s_and_saveexec_b64 s[48:49], vcc
; %bb.1252:
	s_mov_b32 s15, 0x7f800001
	s_xor_b64 s[44:45], exec, -1
; %bb.1253:
	s_or_b64 exec, exec, s[48:49]
	s_and_b64 s[44:45], s[44:45], exec
	s_or_saveexec_b64 s[46:47], s[46:47]
	v_mov_b32_e32 v4, s15
	s_xor_b64 exec, exec, s[46:47]
	s_cbranch_execnz .LBB66_1274
.LBB66_1254:
	s_or_b64 exec, exec, s[46:47]
	s_and_saveexec_b64 s[46:47], s[44:45]
	s_cbranch_execz .LBB66_1256
.LBB66_1255:
	v_lshlrev_b32_e32 v4, 24, v3
	v_and_b32_e32 v3, 0xffff, v3
	v_and_b32_e32 v5, 3, v3
	v_ffbh_u32_e32 v7, v5
	v_min_u32_e32 v7, 32, v7
	v_subrev_u32_e32 v9, 29, v7
	v_bfe_u32 v6, v3, 2, 5
	v_lshlrev_b32_e32 v3, v9, v3
	v_sub_u32_e32 v7, 30, v7
	v_and_b32_e32 v3, 3, v3
	v_cmp_eq_u32_e32 vcc, 0, v6
	v_cndmask_b32_e32 v6, v6, v7, vcc
	v_cndmask_b32_e32 v3, v5, v3, vcc
	v_mov_b32_e32 v5, 0x37800000
	v_lshlrev_b32_e32 v3, 21, v3
	v_and_b32_e32 v4, 0x80000000, v4
	v_lshl_add_u32 v5, v6, 23, v5
	v_or3_b32 v4, v4, v5, v3
.LBB66_1256:
	s_or_b64 exec, exec, s[46:47]
	s_mov_b64 s[44:45], 0
	s_branch .LBB66_1262
.LBB66_1257:
	s_mov_b64 s[44:45], -1
                                        ; implicit-def: $vgpr4
	s_branch .LBB66_1268
.LBB66_1258:
	s_or_saveexec_b64 s[48:49], s[48:49]
	v_mov_b32_e32 v4, s15
	s_xor_b64 exec, exec, s[48:49]
	s_cbranch_execz .LBB66_1241
.LBB66_1259:
	v_cmp_ne_u16_e32 vcc, 0, v3
	s_andn2_b64 s[46:47], s[46:47], exec
	s_and_b64 s[50:51], vcc, exec
	v_mov_b32_e32 v4, 0
	s_or_b64 s[46:47], s[46:47], s[50:51]
	s_or_b64 exec, exec, s[48:49]
	s_and_saveexec_b64 s[48:49], s[46:47]
	s_cbranch_execnz .LBB66_1242
	s_branch .LBB66_1243
.LBB66_1260:
	s_mov_b64 s[44:45], -1
                                        ; implicit-def: $vgpr4
	s_branch .LBB66_1265
.LBB66_1261:
	s_mov_b64 s[44:45], -1
                                        ; implicit-def: $vgpr4
.LBB66_1262:
	s_and_b64 vcc, exec, s[44:45]
	s_cbranch_vccz .LBB66_1264
; %bb.1263:
	global_load_ubyte v3, v[0:1], off
	s_mov_b32 s15, 0x7f800000
	s_waitcnt vmcnt(0)
	v_lshlrev_b32_e32 v3, 24, v3
	v_and_b32_e32 v4, 0x7f000000, v3
	v_ffbh_u32_e32 v5, v4
	v_min_u32_e32 v5, 32, v5
	v_sub_u32_e64 v5, v5, 4 clamp
	v_lshlrev_b32_e32 v7, v5, v4
	v_lshlrev_b32_e32 v5, 23, v5
	v_lshrrev_b32_e32 v7, 4, v7
	v_add_u32_e32 v6, 0x1000000, v4
	v_sub_u32_e32 v5, v7, v5
	v_ashrrev_i32_e32 v6, 8, v6
	v_add_u32_e32 v5, 0x3c000000, v5
	v_and_or_b32 v5, v6, s15, v5
	v_cmp_ne_u32_e32 vcc, 0, v4
	v_cndmask_b32_e32 v4, 0, v5, vcc
	s_brev_b32 s15, 1
	v_and_or_b32 v4, v3, s15, v4
.LBB66_1264:
	s_mov_b64 s[44:45], 0
.LBB66_1265:
	s_andn2_b64 vcc, exec, s[44:45]
	s_cbranch_vccnz .LBB66_1267
; %bb.1266:
	global_load_ubyte v3, v[0:1], off
	s_movk_i32 s15, 0x7f00
	s_brev_b32 s33, 16
	s_waitcnt vmcnt(0)
	v_lshlrev_b16_e32 v4, 8, v3
	v_lshlrev_b32_e32 v3, 25, v3
	v_lshrrev_b32_e32 v5, 4, v3
	v_and_or_b32 v6, v4, s15, 0.5
	v_or_b32_e32 v5, 0x70000000, v5
	v_add_f32_e32 v6, -0.5, v6
	v_mul_f32_e32 v5, 0x7800000, v5
	v_cmp_gt_u32_e32 vcc, s33, v3
	v_bfe_i32 v4, v4, 0, 16
	v_cndmask_b32_e32 v3, v5, v6, vcc
	s_brev_b32 s15, 1
	v_and_or_b32 v4, v4, s15, v3
.LBB66_1267:
	s_mov_b64 s[44:45], 0
	s_mov_b64 s[46:47], -1
.LBB66_1268:
	s_andn2_b64 vcc, exec, s[44:45]
	s_mov_b64 s[44:45], 0
	s_cbranch_vccnz .LBB66_1279
; %bb.1269:
	v_cmp_lt_i16_e32 vcc, 14, v2
	s_cbranch_vccz .LBB66_1272
; %bb.1270:
	v_cmp_eq_u16_e32 vcc, 15, v2
	s_cbranch_vccz .LBB66_1275
; %bb.1271:
	global_load_ushort v3, v[0:1], off
	s_mov_b64 s[42:43], 0
	s_mov_b64 s[46:47], -1
	s_waitcnt vmcnt(0)
	v_lshlrev_b32_e32 v4, 16, v3
	s_branch .LBB66_1276
.LBB66_1272:
	s_mov_b64 s[48:49], -1
                                        ; implicit-def: $vgpr4
	s_branch .LBB66_1277
.LBB66_1273:
	s_or_saveexec_b64 s[46:47], s[46:47]
	v_mov_b32_e32 v4, s15
	s_xor_b64 exec, exec, s[46:47]
	s_cbranch_execz .LBB66_1254
.LBB66_1274:
	v_cmp_ne_u16_e32 vcc, 0, v3
	s_andn2_b64 s[44:45], s[44:45], exec
	s_and_b64 s[48:49], vcc, exec
	v_mov_b32_e32 v4, 0
	s_or_b64 s[44:45], s[44:45], s[48:49]
	s_or_b64 exec, exec, s[46:47]
	s_and_saveexec_b64 s[46:47], s[44:45]
	s_cbranch_execnz .LBB66_1255
	s_branch .LBB66_1256
.LBB66_1275:
	s_mov_b64 s[42:43], -1
                                        ; implicit-def: $vgpr4
.LBB66_1276:
	s_mov_b64 s[48:49], 0
.LBB66_1277:
	s_and_b64 vcc, exec, s[48:49]
	s_cbranch_vccz .LBB66_1279
; %bb.1278:
	v_cmp_ne_u16_e32 vcc, 11, v2
	s_andn2_b64 s[42:43], s[42:43], exec
	s_and_b64 s[48:49], vcc, exec
	s_mov_b64 s[44:45], -1
	s_or_b64 s[42:43], s[42:43], s[48:49]
                                        ; implicit-def: $vgpr4
.LBB66_1279:
	s_mov_b64 s[48:49], 0
.LBB66_1280:
	s_and_b64 s[52:53], s[46:47], exec
	s_and_b64 s[46:47], s[44:45], exec
	s_andn2_b64 s[44:45], s[0:1], exec
	s_and_b64 s[42:43], s[42:43], exec
	s_and_b64 s[50:51], s[48:49], exec
	s_or_b64 s[48:49], s[44:45], s[42:43]
.LBB66_1281:
	s_or_b64 exec, exec, s[36:37]
	s_and_b64 s[42:43], s[46:47], exec
	s_andn2_b64 s[0:1], s[0:1], exec
	s_and_b64 s[46:47], s[48:49], exec
	s_and_b64 s[44:45], s[52:53], exec
	;; [unrolled: 1-line block ×3, first 2 shown]
	s_or_b64 s[0:1], s[0:1], s[46:47]
.LBB66_1282:
	s_or_b64 exec, exec, s[34:35]
	s_andn2_b64 s[28:29], s[28:29], exec
	s_and_b64 s[34:35], s[40:41], exec
	s_or_b64 s[28:29], s[28:29], s[34:35]
	s_andn2_b64 s[26:27], s[26:27], exec
	s_and_b64 s[34:35], s[38:39], exec
	s_andn2_b64 s[24:25], s[24:25], exec
	s_and_b64 s[0:1], s[0:1], exec
	s_or_b64 s[26:27], s[26:27], s[34:35]
	s_and_b64 s[38:39], s[44:45], exec
	s_and_b64 s[36:37], s[36:37], exec
	;; [unrolled: 1-line block ×3, first 2 shown]
	s_or_b64 s[24:25], s[24:25], s[0:1]
.LBB66_1283:
	s_or_b64 exec, exec, s[30:31]
	s_andn2_b64 s[0:1], s[6:7], exec
	s_and_b64 s[6:7], s[28:29], exec
	s_or_b64 s[6:7], s[0:1], s[6:7]
	s_andn2_b64 s[0:1], s[18:19], exec
	s_and_b64 s[18:19], s[26:27], exec
	s_or_b64 s[18:19], s[0:1], s[18:19]
	s_andn2_b64 s[0:1], s[20:21], exec
	s_and_b64 s[20:21], s[24:25], exec
	s_and_b64 s[28:29], s[38:39], exec
	;; [unrolled: 1-line block ×4, first 2 shown]
	s_or_b64 s[20:21], s[0:1], s[20:21]
	s_or_b64 exec, exec, s[22:23]
	s_mov_b64 s[22:23], 0
	s_and_saveexec_b64 s[0:1], s[20:21]
	s_cbranch_execz .LBB66_405
.LBB66_1284:
	s_mov_b64 s[22:23], exec
	s_andn2_b64 s[26:27], s[26:27], exec
	s_trap 2
                                        ; implicit-def: $vgpr4
	s_or_b64 exec, exec, s[0:1]
	s_and_saveexec_b64 s[0:1], s[26:27]
	s_xor_b64 s[0:1], exec, s[0:1]
	s_cbranch_execnz .LBB66_406
.LBB66_1285:
	s_or_b64 exec, exec, s[0:1]
	s_and_saveexec_b64 s[0:1], s[30:31]
	s_cbranch_execz .LBB66_1331
.LBB66_1286:
	s_waitcnt vmcnt(0)
	v_cmp_gt_i16_e32 vcc, 5, v2
	s_cbranch_vccnz .LBB66_1291
; %bb.1287:
	v_cmp_gt_i16_e32 vcc, 8, v2
	s_cbranch_vccnz .LBB66_1292
; %bb.1288:
	v_cmp_gt_i16_e32 vcc, 9, v2
	s_cbranch_vccnz .LBB66_1293
; %bb.1289:
	v_cmp_lt_i16_e32 vcc, 9, v2
	s_cbranch_vccz .LBB66_1294
; %bb.1290:
	global_load_dwordx2 v[4:5], v[0:1], off
	s_mov_b64 s[20:21], 0
	s_waitcnt vmcnt(0)
	v_cvt_f32_f64_e32 v4, v[4:5]
	s_branch .LBB66_1295
.LBB66_1291:
                                        ; implicit-def: $vgpr4
	s_branch .LBB66_1312
.LBB66_1292:
                                        ; implicit-def: $vgpr4
	s_branch .LBB66_1301
.LBB66_1293:
	s_mov_b64 s[20:21], -1
                                        ; implicit-def: $vgpr4
	s_branch .LBB66_1298
.LBB66_1294:
	s_mov_b64 s[20:21], -1
                                        ; implicit-def: $vgpr4
.LBB66_1295:
	s_andn2_b64 vcc, exec, s[20:21]
	s_cbranch_vccnz .LBB66_1297
; %bb.1296:
	global_load_dword v4, v[0:1], off
.LBB66_1297:
	s_mov_b64 s[20:21], 0
.LBB66_1298:
	s_andn2_b64 vcc, exec, s[20:21]
	s_cbranch_vccnz .LBB66_1300
; %bb.1299:
	global_load_dword v3, v[0:1], off
	s_waitcnt vmcnt(0)
	v_cvt_f32_f16_e32 v4, v3
.LBB66_1300:
	s_cbranch_execnz .LBB66_1311
.LBB66_1301:
	v_cmp_gt_i16_e32 vcc, 6, v2
	s_cbranch_vccnz .LBB66_1304
; %bb.1302:
	v_cmp_lt_i16_e32 vcc, 6, v2
	s_cbranch_vccz .LBB66_1305
; %bb.1303:
	global_load_dwordx2 v[4:5], v[0:1], off
	s_mov_b64 s[20:21], 0
	s_waitcnt vmcnt(0)
	v_cvt_f32_f64_e32 v4, v[4:5]
	s_branch .LBB66_1306
.LBB66_1304:
	s_mov_b64 s[20:21], -1
                                        ; implicit-def: $vgpr4
	s_branch .LBB66_1309
.LBB66_1305:
	s_mov_b64 s[20:21], -1
                                        ; implicit-def: $vgpr4
.LBB66_1306:
	s_andn2_b64 vcc, exec, s[20:21]
	s_cbranch_vccnz .LBB66_1308
; %bb.1307:
	global_load_dword v4, v[0:1], off
.LBB66_1308:
	s_mov_b64 s[20:21], 0
.LBB66_1309:
	s_andn2_b64 vcc, exec, s[20:21]
	s_cbranch_vccnz .LBB66_1311
; %bb.1310:
	global_load_ushort v3, v[0:1], off
	s_waitcnt vmcnt(0)
	v_cvt_f32_f16_e32 v4, v3
.LBB66_1311:
	s_cbranch_execnz .LBB66_1330
.LBB66_1312:
	v_cmp_gt_i16_e32 vcc, 2, v2
	s_cbranch_vccnz .LBB66_1316
; %bb.1313:
	v_cmp_gt_i16_e32 vcc, 3, v2
	s_cbranch_vccnz .LBB66_1317
; %bb.1314:
	v_cmp_lt_i16_e32 vcc, 3, v2
	s_cbranch_vccz .LBB66_1318
; %bb.1315:
	global_load_dwordx2 v[4:5], v[0:1], off
	s_mov_b64 s[20:21], 0
	s_waitcnt vmcnt(0)
	v_xor_b32_e32 v6, v4, v5
	v_ffbh_i32_e32 v3, v5
	v_ashrrev_i32_e32 v6, 31, v6
	v_add_u32_e32 v3, -1, v3
	v_add_u32_e32 v6, 32, v6
	v_min_u32_e32 v3, v3, v6
	v_lshlrev_b64 v[4:5], v3, v[4:5]
	v_min_u32_e32 v4, 1, v4
	v_or_b32_e32 v4, v5, v4
	v_cvt_f32_i32_e32 v4, v4
	v_sub_u32_e32 v3, 32, v3
	v_ldexp_f32 v4, v4, v3
	s_branch .LBB66_1319
.LBB66_1316:
                                        ; implicit-def: $vgpr4
	s_branch .LBB66_1325
.LBB66_1317:
	s_mov_b64 s[20:21], -1
                                        ; implicit-def: $vgpr4
	s_branch .LBB66_1322
.LBB66_1318:
	s_mov_b64 s[20:21], -1
                                        ; implicit-def: $vgpr4
.LBB66_1319:
	s_andn2_b64 vcc, exec, s[20:21]
	s_cbranch_vccnz .LBB66_1321
; %bb.1320:
	global_load_dword v3, v[0:1], off
	s_waitcnt vmcnt(0)
	v_cvt_f32_i32_e32 v4, v3
.LBB66_1321:
	s_mov_b64 s[20:21], 0
.LBB66_1322:
	s_andn2_b64 vcc, exec, s[20:21]
	s_cbranch_vccnz .LBB66_1324
; %bb.1323:
	global_load_sshort v3, v[0:1], off
	s_waitcnt vmcnt(0)
	v_cvt_f32_i32_e32 v4, v3
.LBB66_1324:
	s_cbranch_execnz .LBB66_1330
.LBB66_1325:
	v_cmp_lt_i16_e32 vcc, 0, v2
	s_cbranch_vccz .LBB66_1327
; %bb.1326:
	global_load_sbyte v2, v[0:1], off
	s_mov_b64 s[20:21], 0
	s_waitcnt vmcnt(0)
	v_cvt_f32_i32_e32 v4, v2
	s_branch .LBB66_1328
.LBB66_1327:
	s_mov_b64 s[20:21], -1
                                        ; implicit-def: $vgpr4
.LBB66_1328:
	s_andn2_b64 vcc, exec, s[20:21]
	s_cbranch_vccnz .LBB66_1330
; %bb.1329:
	global_load_ubyte v0, v[0:1], off
	s_waitcnt vmcnt(0)
	v_cvt_f32_ubyte0_e32 v4, v0
.LBB66_1330:
	s_or_b64 s[28:29], s[28:29], exec
.LBB66_1331:
	s_or_b64 exec, exec, s[0:1]
	s_mov_b64 s[24:25], 0
	s_mov_b64 s[30:31], 0
	;; [unrolled: 1-line block ×3, first 2 shown]
                                        ; implicit-def: $vgpr2
                                        ; implicit-def: $vgpr0_vgpr1
                                        ; implicit-def: $vgpr6
	s_and_saveexec_b64 s[0:1], s[28:29]
	s_cbranch_execz .LBB66_1339
; %bb.1332:
	v_mul_lo_u32 v0, v11, s14
	v_ashrrev_i32_e32 v1, 31, v0
	s_waitcnt vmcnt(0)
	v_mov_b32_e32 v2, s3
	v_add_co_u32_e32 v0, vcc, s2, v0
	v_addc_co_u32_e32 v1, vcc, v2, v1, vcc
	v_and_b32_e32 v2, 0xff, v8
	v_cmp_gt_i16_e32 vcc, 11, v2
	s_cbranch_vccnz .LBB66_1342
; %bb.1333:
	v_cmp_lt_i16_e32 vcc, 25, v2
	s_cbranch_vccz .LBB66_1343
; %bb.1334:
	v_cmp_lt_i16_e32 vcc, 28, v2
	s_cbranch_vccz .LBB66_1344
	;; [unrolled: 3-line block ×4, first 2 shown]
; %bb.1337:
	v_cmp_eq_u16_e32 vcc, 46, v2
	s_mov_b64 s[28:29], 0
	s_cbranch_vccz .LBB66_1347
; %bb.1338:
	global_load_dword v3, v[0:1], off
	s_mov_b64 s[20:21], 0
	s_mov_b64 s[26:27], -1
	s_waitcnt vmcnt(0)
	v_lshlrev_b32_e32 v6, 16, v3
	s_branch .LBB66_1349
.LBB66_1339:
	s_or_b64 exec, exec, s[0:1]
	s_and_saveexec_b64 s[0:1], s[18:19]
	s_cbranch_execnz .LBB66_1412
.LBB66_1340:
	s_or_b64 exec, exec, s[0:1]
	s_and_saveexec_b64 s[0:1], s[24:25]
	s_xor_b64 s[0:1], exec, s[0:1]
	s_cbranch_execz .LBB66_1413
.LBB66_1341:
	global_load_ubyte v3, v[0:1], off
	s_or_b64 s[26:27], s[26:27], exec
	s_waitcnt vmcnt(0)
	v_cmp_ne_u16_e32 vcc, 0, v3
	v_cndmask_b32_e64 v6, 0, 1.0, vcc
	s_or_b64 exec, exec, s[0:1]
	s_and_saveexec_b64 s[0:1], s[30:31]
	s_cbranch_execz .LBB66_1459
	s_branch .LBB66_1414
.LBB66_1342:
	s_mov_b64 s[28:29], -1
                                        ; implicit-def: $vgpr6
	s_mov_b64 s[20:21], s[18:19]
	s_branch .LBB66_1411
.LBB66_1343:
	s_mov_b64 s[20:21], s[18:19]
                                        ; implicit-def: $vgpr6
	s_cbranch_execnz .LBB66_1378
	s_branch .LBB66_1410
.LBB66_1344:
	s_mov_b64 s[28:29], -1
	s_mov_b64 s[20:21], s[18:19]
                                        ; implicit-def: $vgpr6
	s_branch .LBB66_1359
.LBB66_1345:
	s_mov_b64 s[28:29], -1
	s_mov_b64 s[20:21], s[18:19]
                                        ; implicit-def: $vgpr6
	s_branch .LBB66_1354
.LBB66_1346:
	s_mov_b64 s[28:29], -1
	s_mov_b64 s[20:21], s[18:19]
	s_branch .LBB66_1348
.LBB66_1347:
	s_mov_b64 s[20:21], -1
.LBB66_1348:
                                        ; implicit-def: $vgpr6
.LBB66_1349:
	s_and_b64 vcc, exec, s[28:29]
	s_cbranch_vccz .LBB66_1353
; %bb.1350:
	v_cmp_eq_u16_e32 vcc, 44, v2
	s_cbranch_vccz .LBB66_1352
; %bb.1351:
	global_load_ubyte v3, v[0:1], off
	s_movk_i32 s15, 0xff
	v_mov_b32_e32 v5, 0x7f800001
	v_mov_b32_e32 v6, 0x400000
	s_mov_b64 s[20:21], 0
	s_mov_b64 s[26:27], -1
	s_waitcnt vmcnt(0)
	v_lshlrev_b32_e32 v7, 23, v3
	v_cmp_ne_u32_e32 vcc, s15, v3
	v_cndmask_b32_e32 v5, v5, v7, vcc
	v_cmp_ne_u32_e32 vcc, 0, v3
	v_cndmask_b32_e32 v6, v6, v5, vcc
	s_branch .LBB66_1353
.LBB66_1352:
	s_mov_b64 s[20:21], -1
                                        ; implicit-def: $vgpr6
.LBB66_1353:
	s_mov_b64 s[28:29], 0
.LBB66_1354:
	s_and_b64 vcc, exec, s[28:29]
	s_cbranch_vccz .LBB66_1358
; %bb.1355:
	v_cmp_eq_u16_e32 vcc, 29, v2
	s_cbranch_vccz .LBB66_1357
; %bb.1356:
	global_load_dwordx2 v[6:7], v[0:1], off
	s_mov_b64 s[20:21], 0
	s_mov_b64 s[26:27], -1
	s_mov_b64 s[28:29], 0
	s_waitcnt vmcnt(0)
	v_ffbh_u32_e32 v3, v7
	v_min_u32_e32 v3, 32, v3
	v_lshlrev_b64 v[6:7], v3, v[6:7]
	v_min_u32_e32 v5, 1, v6
	v_or_b32_e32 v5, v7, v5
	v_cvt_f32_u32_e32 v5, v5
	v_sub_u32_e32 v3, 32, v3
	v_ldexp_f32 v6, v5, v3
	s_branch .LBB66_1359
.LBB66_1357:
	s_mov_b64 s[20:21], -1
                                        ; implicit-def: $vgpr6
.LBB66_1358:
	s_mov_b64 s[28:29], 0
.LBB66_1359:
	s_and_b64 vcc, exec, s[28:29]
	s_cbranch_vccz .LBB66_1377
; %bb.1360:
	v_cmp_gt_i16_e32 vcc, 27, v2
	s_cbranch_vccnz .LBB66_1363
; %bb.1361:
	v_cmp_lt_i16_e32 vcc, 27, v2
	s_cbranch_vccz .LBB66_1364
; %bb.1362:
	global_load_dword v3, v[0:1], off
	s_mov_b64 s[26:27], 0
	s_waitcnt vmcnt(0)
	v_cvt_f32_u32_e32 v6, v3
	s_branch .LBB66_1365
.LBB66_1363:
	s_mov_b64 s[26:27], -1
                                        ; implicit-def: $vgpr6
	s_branch .LBB66_1368
.LBB66_1364:
	s_mov_b64 s[26:27], -1
                                        ; implicit-def: $vgpr6
.LBB66_1365:
	s_andn2_b64 vcc, exec, s[26:27]
	s_cbranch_vccnz .LBB66_1367
; %bb.1366:
	global_load_ushort v3, v[0:1], off
	s_waitcnt vmcnt(0)
	v_cvt_f32_u32_e32 v6, v3
.LBB66_1367:
	s_mov_b64 s[26:27], 0
.LBB66_1368:
	s_andn2_b64 vcc, exec, s[26:27]
	s_cbranch_vccnz .LBB66_1376
; %bb.1369:
	global_load_ubyte v3, v[0:1], off
	s_movk_i32 s15, 0x7f
	s_mov_b64 s[26:27], 0
	s_waitcnt vmcnt(0)
	v_cmp_lt_i16_e32 vcc, s15, v3
                                        ; implicit-def: $sgpr15
	s_and_saveexec_b64 s[28:29], vcc
	s_xor_b64 s[28:29], exec, s[28:29]
	s_cbranch_execz .LBB66_1389
; %bb.1370:
	s_movk_i32 s15, 0x80
	v_cmp_eq_u16_e32 vcc, s15, v3
	s_mov_b64 s[26:27], -1
                                        ; implicit-def: $sgpr15
	s_and_saveexec_b64 s[30:31], vcc
; %bb.1371:
	s_mov_b32 s15, 0x7f800001
	s_xor_b64 s[26:27], exec, -1
; %bb.1372:
	s_or_b64 exec, exec, s[30:31]
	s_and_b64 s[26:27], s[26:27], exec
	s_or_saveexec_b64 s[28:29], s[28:29]
	v_mov_b32_e32 v6, s15
	s_xor_b64 exec, exec, s[28:29]
	s_cbranch_execnz .LBB66_1390
.LBB66_1373:
	s_or_b64 exec, exec, s[28:29]
	s_and_saveexec_b64 s[28:29], s[26:27]
	s_cbranch_execz .LBB66_1375
.LBB66_1374:
	v_lshlrev_b32_e32 v5, 24, v3
	v_and_b32_e32 v3, 0xffff, v3
	v_and_b32_e32 v6, 7, v3
	v_ffbh_u32_e32 v8, v6
	v_min_u32_e32 v8, 32, v8
	v_subrev_u32_e32 v9, 28, v8
	v_bfe_u32 v7, v3, 3, 4
	v_lshlrev_b32_e32 v3, v9, v3
	v_sub_u32_e32 v8, 29, v8
	v_and_b32_e32 v3, 7, v3
	v_cmp_eq_u32_e32 vcc, 0, v7
	v_cndmask_b32_e32 v7, v7, v8, vcc
	v_cndmask_b32_e32 v3, v6, v3, vcc
	v_mov_b32_e32 v6, 0x3b800000
	v_lshlrev_b32_e32 v3, 20, v3
	v_and_b32_e32 v5, 0x80000000, v5
	v_lshl_add_u32 v6, v7, 23, v6
	v_or3_b32 v6, v5, v6, v3
.LBB66_1375:
	s_or_b64 exec, exec, s[28:29]
.LBB66_1376:
	s_mov_b64 s[26:27], -1
.LBB66_1377:
	s_branch .LBB66_1410
.LBB66_1378:
	v_cmp_lt_i16_e32 vcc, 22, v2
	s_cbranch_vccz .LBB66_1388
; %bb.1379:
	v_cmp_gt_i16_e32 vcc, 24, v2
	s_cbranch_vccnz .LBB66_1391
; %bb.1380:
	v_cmp_lt_i16_e32 vcc, 24, v2
	s_cbranch_vccz .LBB66_1392
; %bb.1381:
	global_load_ubyte v3, v[0:1], off
	s_movk_i32 s15, 0x7f
	s_waitcnt vmcnt(0)
	v_cmp_lt_i16_e32 vcc, s15, v3
                                        ; implicit-def: $sgpr15
	s_and_saveexec_b64 s[26:27], vcc
	s_xor_b64 s[26:27], exec, s[26:27]
	s_cbranch_execz .LBB66_1404
; %bb.1382:
	s_movk_i32 s15, 0x80
	v_cmp_eq_u16_e32 vcc, s15, v3
	s_mov_b64 s[24:25], -1
                                        ; implicit-def: $sgpr15
	s_and_saveexec_b64 s[28:29], vcc
; %bb.1383:
	s_mov_b32 s15, 0x7f800001
	s_xor_b64 s[24:25], exec, -1
; %bb.1384:
	s_or_b64 exec, exec, s[28:29]
	s_and_b64 s[24:25], s[24:25], exec
	s_or_saveexec_b64 s[26:27], s[26:27]
	v_mov_b32_e32 v6, s15
	s_xor_b64 exec, exec, s[26:27]
	s_cbranch_execnz .LBB66_1405
.LBB66_1385:
	s_or_b64 exec, exec, s[26:27]
	s_and_saveexec_b64 s[26:27], s[24:25]
	s_cbranch_execz .LBB66_1387
.LBB66_1386:
	v_lshlrev_b32_e32 v5, 24, v3
	v_and_b32_e32 v3, 0xffff, v3
	v_and_b32_e32 v6, 3, v3
	v_ffbh_u32_e32 v8, v6
	v_min_u32_e32 v8, 32, v8
	v_subrev_u32_e32 v9, 29, v8
	v_bfe_u32 v7, v3, 2, 5
	v_lshlrev_b32_e32 v3, v9, v3
	v_sub_u32_e32 v8, 30, v8
	v_and_b32_e32 v3, 3, v3
	v_cmp_eq_u32_e32 vcc, 0, v7
	v_cndmask_b32_e32 v7, v7, v8, vcc
	v_cndmask_b32_e32 v3, v6, v3, vcc
	v_mov_b32_e32 v6, 0x37800000
	v_lshlrev_b32_e32 v3, 21, v3
	v_and_b32_e32 v5, 0x80000000, v5
	v_lshl_add_u32 v6, v7, 23, v6
	v_or3_b32 v6, v5, v6, v3
.LBB66_1387:
	s_or_b64 exec, exec, s[26:27]
	s_mov_b64 s[24:25], 0
	s_branch .LBB66_1393
.LBB66_1388:
	s_mov_b64 s[24:25], -1
                                        ; implicit-def: $vgpr6
	s_branch .LBB66_1399
.LBB66_1389:
	s_or_saveexec_b64 s[28:29], s[28:29]
	v_mov_b32_e32 v6, s15
	s_xor_b64 exec, exec, s[28:29]
	s_cbranch_execz .LBB66_1373
.LBB66_1390:
	v_cmp_ne_u16_e32 vcc, 0, v3
	s_andn2_b64 s[26:27], s[26:27], exec
	s_and_b64 s[30:31], vcc, exec
	v_mov_b32_e32 v6, 0
	s_or_b64 s[26:27], s[26:27], s[30:31]
	s_or_b64 exec, exec, s[28:29]
	s_and_saveexec_b64 s[28:29], s[26:27]
	s_cbranch_execnz .LBB66_1374
	s_branch .LBB66_1375
.LBB66_1391:
	s_mov_b64 s[24:25], -1
                                        ; implicit-def: $vgpr6
	s_branch .LBB66_1396
.LBB66_1392:
	s_mov_b64 s[24:25], -1
                                        ; implicit-def: $vgpr6
.LBB66_1393:
	s_and_b64 vcc, exec, s[24:25]
	s_cbranch_vccz .LBB66_1395
; %bb.1394:
	global_load_ubyte v3, v[0:1], off
	s_mov_b32 s15, 0x7f800000
	s_waitcnt vmcnt(0)
	v_lshlrev_b32_e32 v3, 24, v3
	v_and_b32_e32 v5, 0x7f000000, v3
	v_ffbh_u32_e32 v6, v5
	v_min_u32_e32 v6, 32, v6
	v_sub_u32_e64 v6, v6, 4 clamp
	v_lshlrev_b32_e32 v8, v6, v5
	v_lshlrev_b32_e32 v6, 23, v6
	v_lshrrev_b32_e32 v8, 4, v8
	v_add_u32_e32 v7, 0x1000000, v5
	v_sub_u32_e32 v6, v8, v6
	v_ashrrev_i32_e32 v7, 8, v7
	v_add_u32_e32 v6, 0x3c000000, v6
	v_and_or_b32 v6, v7, s15, v6
	v_cmp_ne_u32_e32 vcc, 0, v5
	v_cndmask_b32_e32 v5, 0, v6, vcc
	s_brev_b32 s15, 1
	v_and_or_b32 v6, v3, s15, v5
.LBB66_1395:
	s_mov_b64 s[24:25], 0
.LBB66_1396:
	s_andn2_b64 vcc, exec, s[24:25]
	s_cbranch_vccnz .LBB66_1398
; %bb.1397:
	global_load_ubyte v3, v[0:1], off
	s_movk_i32 s15, 0x7f00
	s_brev_b32 s24, 16
	s_waitcnt vmcnt(0)
	v_lshlrev_b16_e32 v5, 8, v3
	v_lshlrev_b32_e32 v3, 25, v3
	v_lshrrev_b32_e32 v6, 4, v3
	v_and_or_b32 v7, v5, s15, 0.5
	v_or_b32_e32 v6, 0x70000000, v6
	v_add_f32_e32 v7, -0.5, v7
	v_mul_f32_e32 v6, 0x7800000, v6
	v_cmp_gt_u32_e32 vcc, s24, v3
	v_bfe_i32 v5, v5, 0, 16
	v_cndmask_b32_e32 v3, v6, v7, vcc
	s_brev_b32 s15, 1
	v_and_or_b32 v6, v5, s15, v3
.LBB66_1398:
	s_mov_b64 s[24:25], 0
	s_mov_b64 s[26:27], -1
.LBB66_1399:
	s_andn2_b64 vcc, exec, s[24:25]
	s_mov_b64 s[24:25], 0
	s_cbranch_vccnz .LBB66_1410
; %bb.1400:
	v_cmp_lt_i16_e32 vcc, 14, v2
	s_cbranch_vccz .LBB66_1403
; %bb.1401:
	v_cmp_eq_u16_e32 vcc, 15, v2
	s_cbranch_vccz .LBB66_1406
; %bb.1402:
	global_load_ushort v3, v[0:1], off
	s_mov_b64 s[20:21], 0
	s_mov_b64 s[26:27], -1
	s_waitcnt vmcnt(0)
	v_lshlrev_b32_e32 v6, 16, v3
	s_branch .LBB66_1407
.LBB66_1403:
	s_mov_b64 s[28:29], -1
                                        ; implicit-def: $vgpr6
	s_branch .LBB66_1408
.LBB66_1404:
	s_or_saveexec_b64 s[26:27], s[26:27]
	v_mov_b32_e32 v6, s15
	s_xor_b64 exec, exec, s[26:27]
	s_cbranch_execz .LBB66_1385
.LBB66_1405:
	v_cmp_ne_u16_e32 vcc, 0, v3
	s_andn2_b64 s[24:25], s[24:25], exec
	s_and_b64 s[28:29], vcc, exec
	v_mov_b32_e32 v6, 0
	s_or_b64 s[24:25], s[24:25], s[28:29]
	s_or_b64 exec, exec, s[26:27]
	s_and_saveexec_b64 s[26:27], s[24:25]
	s_cbranch_execnz .LBB66_1386
	s_branch .LBB66_1387
.LBB66_1406:
	s_mov_b64 s[20:21], -1
                                        ; implicit-def: $vgpr6
.LBB66_1407:
	s_mov_b64 s[28:29], 0
.LBB66_1408:
	s_and_b64 vcc, exec, s[28:29]
	s_cbranch_vccz .LBB66_1410
; %bb.1409:
	v_cmp_ne_u16_e32 vcc, 11, v2
	s_andn2_b64 s[20:21], s[20:21], exec
	s_and_b64 s[28:29], vcc, exec
	s_mov_b64 s[24:25], -1
	s_or_b64 s[20:21], s[20:21], s[28:29]
                                        ; implicit-def: $vgpr6
.LBB66_1410:
	s_mov_b64 s[28:29], 0
.LBB66_1411:
	s_andn2_b64 s[18:19], s[18:19], exec
	s_and_b64 s[20:21], s[20:21], exec
	s_and_b64 s[26:27], s[26:27], exec
	;; [unrolled: 1-line block ×4, first 2 shown]
	s_or_b64 s[18:19], s[18:19], s[20:21]
	s_or_b64 exec, exec, s[0:1]
	s_and_saveexec_b64 s[0:1], s[18:19]
	s_cbranch_execz .LBB66_1340
.LBB66_1412:
	s_or_b64 s[22:23], s[22:23], exec
	s_andn2_b64 s[24:25], s[24:25], exec
	s_trap 2
                                        ; implicit-def: $vgpr6
	s_or_b64 exec, exec, s[0:1]
	s_and_saveexec_b64 s[0:1], s[24:25]
	s_xor_b64 s[0:1], exec, s[0:1]
	s_cbranch_execnz .LBB66_1341
.LBB66_1413:
	s_or_b64 exec, exec, s[0:1]
	s_and_saveexec_b64 s[0:1], s[30:31]
	s_cbranch_execz .LBB66_1459
.LBB66_1414:
	s_waitcnt vmcnt(0)
	v_cmp_gt_i16_e32 vcc, 5, v2
	s_cbranch_vccnz .LBB66_1419
; %bb.1415:
	v_cmp_gt_i16_e32 vcc, 8, v2
	s_cbranch_vccnz .LBB66_1420
; %bb.1416:
	;; [unrolled: 3-line block ×3, first 2 shown]
	v_cmp_lt_i16_e32 vcc, 9, v2
	s_cbranch_vccz .LBB66_1422
; %bb.1418:
	global_load_dwordx2 v[6:7], v[0:1], off
	s_mov_b64 s[18:19], 0
	s_waitcnt vmcnt(0)
	v_cvt_f32_f64_e32 v6, v[6:7]
	s_branch .LBB66_1423
.LBB66_1419:
                                        ; implicit-def: $vgpr6
	s_branch .LBB66_1440
.LBB66_1420:
                                        ; implicit-def: $vgpr6
	s_branch .LBB66_1429
.LBB66_1421:
	s_mov_b64 s[18:19], -1
                                        ; implicit-def: $vgpr6
	s_branch .LBB66_1426
.LBB66_1422:
	s_mov_b64 s[18:19], -1
                                        ; implicit-def: $vgpr6
.LBB66_1423:
	s_andn2_b64 vcc, exec, s[18:19]
	s_cbranch_vccnz .LBB66_1425
; %bb.1424:
	global_load_dword v6, v[0:1], off
.LBB66_1425:
	s_mov_b64 s[18:19], 0
.LBB66_1426:
	s_andn2_b64 vcc, exec, s[18:19]
	s_cbranch_vccnz .LBB66_1428
; %bb.1427:
	global_load_dword v3, v[0:1], off
	s_waitcnt vmcnt(0)
	v_cvt_f32_f16_e32 v6, v3
.LBB66_1428:
	s_cbranch_execnz .LBB66_1439
.LBB66_1429:
	v_cmp_gt_i16_e32 vcc, 6, v2
	s_cbranch_vccnz .LBB66_1432
; %bb.1430:
	v_cmp_lt_i16_e32 vcc, 6, v2
	s_cbranch_vccz .LBB66_1433
; %bb.1431:
	global_load_dwordx2 v[6:7], v[0:1], off
	s_mov_b64 s[18:19], 0
	s_waitcnt vmcnt(0)
	v_cvt_f32_f64_e32 v6, v[6:7]
	s_branch .LBB66_1434
.LBB66_1432:
	s_mov_b64 s[18:19], -1
                                        ; implicit-def: $vgpr6
	s_branch .LBB66_1437
.LBB66_1433:
	s_mov_b64 s[18:19], -1
                                        ; implicit-def: $vgpr6
.LBB66_1434:
	s_andn2_b64 vcc, exec, s[18:19]
	s_cbranch_vccnz .LBB66_1436
; %bb.1435:
	global_load_dword v6, v[0:1], off
.LBB66_1436:
	s_mov_b64 s[18:19], 0
.LBB66_1437:
	s_andn2_b64 vcc, exec, s[18:19]
	s_cbranch_vccnz .LBB66_1439
; %bb.1438:
	global_load_ushort v3, v[0:1], off
	s_waitcnt vmcnt(0)
	v_cvt_f32_f16_e32 v6, v3
.LBB66_1439:
	s_cbranch_execnz .LBB66_1458
.LBB66_1440:
	v_cmp_gt_i16_e32 vcc, 2, v2
	s_cbranch_vccnz .LBB66_1444
; %bb.1441:
	v_cmp_gt_i16_e32 vcc, 3, v2
	s_cbranch_vccnz .LBB66_1445
; %bb.1442:
	v_cmp_lt_i16_e32 vcc, 3, v2
	s_cbranch_vccz .LBB66_1446
; %bb.1443:
	global_load_dwordx2 v[6:7], v[0:1], off
	s_mov_b64 s[18:19], 0
	s_waitcnt vmcnt(0)
	v_xor_b32_e32 v5, v6, v7
	v_ffbh_i32_e32 v3, v7
	v_ashrrev_i32_e32 v5, 31, v5
	v_add_u32_e32 v3, -1, v3
	v_add_u32_e32 v5, 32, v5
	v_min_u32_e32 v3, v3, v5
	v_lshlrev_b64 v[6:7], v3, v[6:7]
	v_min_u32_e32 v5, 1, v6
	v_or_b32_e32 v5, v7, v5
	v_cvt_f32_i32_e32 v5, v5
	v_sub_u32_e32 v3, 32, v3
	v_ldexp_f32 v6, v5, v3
	s_branch .LBB66_1447
.LBB66_1444:
                                        ; implicit-def: $vgpr6
	s_branch .LBB66_1453
.LBB66_1445:
	s_mov_b64 s[18:19], -1
                                        ; implicit-def: $vgpr6
	s_branch .LBB66_1450
.LBB66_1446:
	s_mov_b64 s[18:19], -1
                                        ; implicit-def: $vgpr6
.LBB66_1447:
	s_andn2_b64 vcc, exec, s[18:19]
	s_cbranch_vccnz .LBB66_1449
; %bb.1448:
	global_load_dword v3, v[0:1], off
	s_waitcnt vmcnt(0)
	v_cvt_f32_i32_e32 v6, v3
.LBB66_1449:
	s_mov_b64 s[18:19], 0
.LBB66_1450:
	s_andn2_b64 vcc, exec, s[18:19]
	s_cbranch_vccnz .LBB66_1452
; %bb.1451:
	global_load_sshort v3, v[0:1], off
	s_waitcnt vmcnt(0)
	v_cvt_f32_i32_e32 v6, v3
.LBB66_1452:
	s_cbranch_execnz .LBB66_1458
.LBB66_1453:
	v_cmp_lt_i16_e32 vcc, 0, v2
	s_cbranch_vccz .LBB66_1455
; %bb.1454:
	global_load_sbyte v2, v[0:1], off
	s_mov_b64 s[18:19], 0
	s_waitcnt vmcnt(0)
	v_cvt_f32_i32_e32 v6, v2
	s_branch .LBB66_1456
.LBB66_1455:
	s_mov_b64 s[18:19], -1
                                        ; implicit-def: $vgpr6
.LBB66_1456:
	s_andn2_b64 vcc, exec, s[18:19]
	s_cbranch_vccnz .LBB66_1458
; %bb.1457:
	global_load_ubyte v0, v[0:1], off
	s_waitcnt vmcnt(0)
	v_cvt_f32_ubyte0_e32 v6, v0
.LBB66_1458:
	s_or_b64 s[26:27], s[26:27], exec
.LBB66_1459:
	s_or_b64 exec, exec, s[0:1]
	s_mov_b64 s[24:25], 0
	s_mov_b64 s[20:21], 0
                                        ; implicit-def: $vgpr5
                                        ; implicit-def: $vgpr2_vgpr3
                                        ; implicit-def: $vgpr0
	s_and_saveexec_b64 s[18:19], s[26:27]
	s_cbranch_execz .LBB66_1489
; %bb.1460:
	s_waitcnt vmcnt(0)
	v_trunc_f32_e32 v0, v6
	s_mov_b32 s0, 0x2f800000
	v_mul_f32_e64 v1, |v0|, s0
	v_floor_f32_e32 v1, v1
	s_mov_b32 s0, 0xcf800000
	v_cvt_u32_f32_e32 v2, v1
	v_fma_f32 v1, v1, s0, |v0|
	v_cvt_u32_f32_e32 v1, v1
	v_ashrrev_i32_e32 v0, 31, v0
	v_xor_b32_e32 v3, v2, v0
	v_xor_b32_e32 v1, v1, v0
	v_sub_co_u32_e32 v2, vcc, v1, v0
	v_subb_co_u32_e32 v3, vcc, v3, v0, vcc
	v_cmp_lt_i64_e32 vcc, -1, v[2:3]
	v_mov_b32_e32 v0, 0
	s_and_saveexec_b64 s[0:1], vcc
	s_cbranch_execz .LBB66_1472
; %bb.1461:
	v_cmp_lt_i64_e32 vcc, 0, v[2:3]
	v_mov_b32_e32 v0, 1.0
	s_and_saveexec_b64 s[20:21], vcc
	s_cbranch_execz .LBB66_1471
; %bb.1462:
	v_cmp_ne_u64_e32 vcc, 1, v[2:3]
                                        ; implicit-def: $vgpr0
	s_and_saveexec_b64 s[24:25], vcc
	s_xor_b64 s[24:25], exec, s[24:25]
	s_cbranch_execz .LBB66_1468
; %bb.1463:
	s_mov_b64 s[26:27], 0x81
	v_cmp_gt_u64_e32 vcc, s[26:27], v[2:3]
	v_mov_b32_e32 v0, 0x7fc00000
	s_and_saveexec_b64 s[26:27], vcc
	s_cbranch_execz .LBB66_1467
; %bb.1464:
	s_mov_b64 s[30:31], 1
	s_mov_b64 s[28:29], 0
	v_mov_b32_e32 v1, 1.0
	v_mov_b32_e32 v0, v4
.LBB66_1465:                            ; =>This Inner Loop Header: Depth=1
	s_flbit_i32_b32 s15, s31
	s_min_u32 s15, s15, 32
	s_lshl_b64 s[34:35], s[30:31], s15
	s_min_u32 s33, s34, 1
	s_or_b32 s33, s35, s33
	v_cvt_f32_u32_e32 v5, s33
	s_sub_i32 s15, 32, s15
	s_add_u32 s30, s30, 1
	s_addc_u32 s31, s31, 0
	v_ldexp_f32 v5, v5, s15
	v_cmp_eq_u64_e32 vcc, s[30:31], v[2:3]
	v_mul_f32_e32 v5, v1, v5
	s_or_b64 s[28:29], vcc, s[28:29]
	v_mov_b32_e32 v1, v0
	v_fma_f32 v0, v4, v0, -v5
	s_andn2_b64 exec, exec, s[28:29]
	s_cbranch_execnz .LBB66_1465
; %bb.1466:
	s_or_b64 exec, exec, s[28:29]
.LBB66_1467:
	s_or_b64 exec, exec, s[26:27]
                                        ; implicit-def: $vgpr4
.LBB66_1468:
	s_andn2_saveexec_b64 s[24:25], s[24:25]
; %bb.1469:
	v_mov_b32_e32 v0, v4
; %bb.1470:
	s_or_b64 exec, exec, s[24:25]
.LBB66_1471:
	s_or_b64 exec, exec, s[20:21]
.LBB66_1472:
	s_or_b64 exec, exec, s[0:1]
	v_mul_lo_u32 v1, v11, s12
	v_ashrrev_i32_e32 v3, 31, v1
	v_mov_b32_e32 v4, s9
	v_add_co_u32_e32 v2, vcc, s8, v1
	v_addc_co_u32_e32 v3, vcc, v4, v3, vcc
	v_and_b32_e32 v5, 0xff, v10
	v_cmp_gt_i16_e32 vcc, 11, v5
	s_cbranch_vccnz .LBB66_1492
; %bb.1473:
	v_cmp_lt_i16_e32 vcc, 25, v5
	s_mov_b64 s[24:25], -1
	s_mov_b64 s[0:1], s[6:7]
	s_cbranch_vccz .LBB66_1510
; %bb.1474:
	v_cmp_lt_i16_e32 vcc, 28, v5
	s_mov_b64 s[20:21], -1
	s_mov_b64 s[0:1], s[6:7]
	s_cbranch_vccz .LBB66_1494
; %bb.1475:
	v_cmp_lt_i16_e32 vcc, 43, v5
	s_mov_b64 s[0:1], s[6:7]
	s_cbranch_vccz .LBB66_1486
; %bb.1476:
	v_cmp_lt_i16_e32 vcc, 45, v5
	s_mov_b64 s[0:1], s[6:7]
	s_cbranch_vccz .LBB66_1480
; %bb.1477:
	v_cmp_eq_u16_e32 vcc, 46, v5
	s_mov_b64 s[0:1], -1
	s_cbranch_vccz .LBB66_1479
; %bb.1478:
	v_bfe_u32 v1, v0, 16, 1
	s_movk_i32 s0, 0x7fff
	v_add3_u32 v1, v0, v1, s0
	v_lshrrev_b32_e32 v1, 16, v1
	v_mov_b32_e32 v4, 0x7fc0
	v_cmp_o_f32_e32 vcc, v0, v0
	v_cndmask_b32_e32 v1, v4, v1, vcc
	global_store_dword v[2:3], v1, off
	s_mov_b64 s[0:1], 0
.LBB66_1479:
	s_mov_b64 s[20:21], 0
.LBB66_1480:
	s_and_b64 vcc, exec, s[20:21]
	s_cbranch_vccz .LBB66_1485
; %bb.1481:
	v_cmp_eq_u16_e32 vcc, 44, v5
	s_mov_b64 s[0:1], -1
	s_cbranch_vccz .LBB66_1485
; %bb.1482:
	v_bfe_u32 v1, v0, 23, 8
	s_movk_i32 s0, 0xff
	v_cmp_ne_u32_e32 vcc, s0, v1
	v_mov_b32_e32 v4, 0xff
	s_and_saveexec_b64 s[20:21], vcc
; %bb.1483:
	s_mov_b32 s0, 0x3fffff
	v_and_b32_e32 v6, 0x400000, v0
	v_and_or_b32 v1, v0, s0, v1
	v_cmp_ne_u32_e32 vcc, 0, v6
	v_cmp_ne_u32_e64 s[0:1], 0, v1
	s_and_b64 s[0:1], vcc, s[0:1]
	v_lshrrev_b32_e32 v4, 23, v0
	v_cndmask_b32_e64 v1, 0, 1, s[0:1]
	v_add_u32_e32 v4, v4, v1
; %bb.1484:
	s_or_b64 exec, exec, s[20:21]
	s_mov_b64 s[0:1], 0
	global_store_byte v[2:3], v4, off
.LBB66_1485:
	s_mov_b64 s[20:21], 0
.LBB66_1486:
	s_and_b64 vcc, exec, s[20:21]
	s_cbranch_vccz .LBB66_1493
; %bb.1487:
	v_cmp_eq_u16_e32 vcc, 29, v5
	s_mov_b64 s[0:1], -1
	s_cbranch_vccz .LBB66_1493
; %bb.1488:
	v_trunc_f32_e32 v1, v0
	v_mul_f32_e32 v4, 0x2f800000, v1
	v_floor_f32_e32 v4, v4
	v_fmac_f32_e32 v1, 0xcf800000, v4
	v_cvt_u32_f32_e32 v7, v4
	v_cvt_u32_f32_e32 v6, v1
	s_mov_b64 s[0:1], 0
	s_mov_b64 s[20:21], 0
	global_store_dwordx2 v[2:3], v[6:7], off
	s_branch .LBB66_1494
.LBB66_1489:
	s_or_b64 exec, exec, s[18:19]
	s_and_saveexec_b64 s[0:1], s[6:7]
	s_cbranch_execnz .LBB66_1552
.LBB66_1490:
	s_or_b64 exec, exec, s[0:1]
	s_and_saveexec_b64 s[0:1], s[24:25]
	s_xor_b64 s[0:1], exec, s[0:1]
	s_cbranch_execz .LBB66_1553
.LBB66_1491:
	v_cmp_neq_f32_e32 vcc, 0, v0
	v_cndmask_b32_e64 v1, 0, 1, vcc
	s_waitcnt vmcnt(0)
	global_store_byte v[2:3], v1, off
	s_or_b64 exec, exec, s[0:1]
	s_and_saveexec_b64 s[0:1], s[20:21]
	s_xor_b64 s[0:1], exec, s[0:1]
	s_cbranch_execz .LBB66_1591
	s_branch .LBB66_1554
.LBB66_1492:
	s_mov_b64 s[24:25], 0
	s_mov_b64 s[20:21], -1
	s_mov_b64 s[0:1], s[6:7]
	s_branch .LBB66_1551
.LBB66_1493:
	s_mov_b64 s[20:21], 0
.LBB66_1494:
	s_and_b64 vcc, exec, s[20:21]
	s_cbranch_vccz .LBB66_1509
; %bb.1495:
	v_cmp_gt_i16_e32 vcc, 27, v5
	s_mov_b64 s[20:21], -1
	s_cbranch_vccnz .LBB66_1501
; %bb.1496:
	v_cvt_u32_f32_e32 v1, v0
	v_cmp_lt_i16_e32 vcc, 27, v5
	s_cbranch_vccz .LBB66_1498
; %bb.1497:
	s_mov_b64 s[20:21], 0
	global_store_dword v[2:3], v1, off
.LBB66_1498:
	s_andn2_b64 vcc, exec, s[20:21]
	s_cbranch_vccnz .LBB66_1500
; %bb.1499:
	global_store_short v[2:3], v1, off
.LBB66_1500:
	s_mov_b64 s[20:21], 0
.LBB66_1501:
	s_andn2_b64 vcc, exec, s[20:21]
	s_cbranch_vccnz .LBB66_1509
; %bb.1502:
	v_and_b32_e32 v1, 0x7fffffff, v0
	s_mov_b32 s15, 0x43800000
	v_cmp_gt_u32_e32 vcc, s15, v1
	v_mov_b32_e32 v4, 0x80
	s_and_saveexec_b64 s[20:21], vcc
	s_cbranch_execz .LBB66_1508
; %bb.1503:
	s_mov_b32 s15, 0x3bffffff
	v_cmp_lt_u32_e32 vcc, s15, v1
	s_mov_b64 s[24:25], 0
                                        ; implicit-def: $vgpr1
	s_and_saveexec_b64 s[26:27], vcc
	s_xor_b64 s[26:27], exec, s[26:27]
	s_cbranch_execz .LBB66_1606
; %bb.1504:
	v_bfe_u32 v1, v0, 20, 1
	s_mov_b32 s15, 0x487ffff
	v_add3_u32 v1, v0, v1, s15
	s_mov_b64 s[24:25], exec
	v_lshrrev_b32_e32 v1, 20, v1
	s_or_saveexec_b64 s[26:27], s[26:27]
                                        ; implicit-def: $sgpr15
	s_xor_b64 exec, exec, s[26:27]
	s_cbranch_execnz .LBB66_1607
.LBB66_1505:
	s_or_b64 exec, exec, s[26:27]
	v_mov_b32_e32 v4, s15
	s_and_saveexec_b64 s[26:27], s[24:25]
.LBB66_1506:
	v_lshrrev_b32_e32 v4, 24, v0
	s_movk_i32 s15, 0x80
	v_and_or_b32 v4, v4, s15, v1
.LBB66_1507:
	s_or_b64 exec, exec, s[26:27]
.LBB66_1508:
	s_or_b64 exec, exec, s[20:21]
	global_store_byte v[2:3], v4, off
.LBB66_1509:
	s_mov_b64 s[24:25], 0
.LBB66_1510:
	s_mov_b64 s[20:21], 0
	s_and_b64 vcc, exec, s[24:25]
	s_cbranch_vccz .LBB66_1550
; %bb.1511:
	v_cmp_lt_i16_e32 vcc, 22, v5
	s_mov_b64 s[24:25], -1
	s_cbranch_vccz .LBB66_1543
; %bb.1512:
	v_cmp_gt_i16_e32 vcc, 24, v5
	s_cbranch_vccnz .LBB66_1532
; %bb.1513:
	v_cmp_lt_i16_e32 vcc, 24, v5
	s_cbranch_vccz .LBB66_1521
; %bb.1514:
	v_and_b32_e32 v1, 0x7fffffff, v0
	s_mov_b32 s15, 0x47800000
	v_cmp_gt_u32_e32 vcc, s15, v1
	v_mov_b32_e32 v4, 0x80
	s_and_saveexec_b64 s[24:25], vcc
	s_cbranch_execz .LBB66_1520
; %bb.1515:
	s_mov_b32 s15, 0x37ffffff
	v_cmp_lt_u32_e32 vcc, s15, v1
	s_mov_b64 s[26:27], 0
                                        ; implicit-def: $vgpr1
	s_and_saveexec_b64 s[28:29], vcc
	s_xor_b64 s[28:29], exec, s[28:29]
	s_cbranch_execz .LBB66_1731
; %bb.1516:
	v_bfe_u32 v1, v0, 21, 1
	s_mov_b32 s15, 0x88fffff
	v_add3_u32 v1, v0, v1, s15
	s_mov_b64 s[26:27], exec
	v_lshrrev_b32_e32 v1, 21, v1
	s_or_saveexec_b64 s[28:29], s[28:29]
                                        ; implicit-def: $sgpr15
	s_xor_b64 exec, exec, s[28:29]
	s_cbranch_execnz .LBB66_1732
.LBB66_1517:
	s_or_b64 exec, exec, s[28:29]
	v_mov_b32_e32 v4, s15
	s_and_saveexec_b64 s[28:29], s[26:27]
.LBB66_1518:
	v_lshrrev_b32_e32 v4, 24, v0
	s_movk_i32 s15, 0x80
	v_and_or_b32 v4, v4, s15, v1
.LBB66_1519:
	s_or_b64 exec, exec, s[28:29]
.LBB66_1520:
	s_or_b64 exec, exec, s[24:25]
	s_mov_b64 s[24:25], 0
	global_store_byte v[2:3], v4, off
.LBB66_1521:
	s_and_b64 vcc, exec, s[24:25]
	s_cbranch_vccz .LBB66_1531
; %bb.1522:
	v_and_b32_e32 v4, 0x7fffffff, v0
	s_mov_b32 s15, 0x43f00000
	v_cmp_gt_u32_e32 vcc, s15, v4
                                        ; implicit-def: $vgpr1
	s_and_saveexec_b64 s[24:25], vcc
	s_xor_b64 s[24:25], exec, s[24:25]
	s_cbranch_execz .LBB66_1528
; %bb.1523:
	s_mov_b32 s15, 0x3c7fffff
	v_cmp_lt_u32_e32 vcc, s15, v4
                                        ; implicit-def: $vgpr1
	s_and_saveexec_b64 s[26:27], vcc
	s_xor_b64 s[26:27], exec, s[26:27]
; %bb.1524:
	v_bfe_u32 v1, v0, 20, 1
	s_mov_b32 s15, 0x407ffff
	v_add3_u32 v1, v0, v1, s15
	v_lshrrev_b32_e32 v4, 20, v1
	v_and_b32_e32 v1, 0xff00000, v1
	s_mov_b32 s15, 0x7f00000
	v_mov_b32_e32 v6, 0x7e
	v_cmp_ne_u32_e32 vcc, s15, v1
	v_cndmask_b32_e32 v1, v6, v4, vcc
; %bb.1525:
	s_andn2_saveexec_b64 s[26:27], s[26:27]
; %bb.1526:
	s_mov_b32 s15, 0x46800000
	v_add_f32_e64 v1, |v0|, s15
; %bb.1527:
	s_or_b64 exec, exec, s[26:27]
                                        ; implicit-def: $vgpr4
.LBB66_1528:
	s_andn2_saveexec_b64 s[24:25], s[24:25]
; %bb.1529:
	s_mov_b32 s15, 0x7f800000
	v_mov_b32_e32 v1, 0x7e
	v_mov_b32_e32 v6, 0x7f
	v_cmp_lt_u32_e32 vcc, s15, v4
	v_cndmask_b32_e32 v1, v1, v6, vcc
; %bb.1530:
	s_or_b64 exec, exec, s[24:25]
	v_lshrrev_b32_e32 v4, 24, v0
	s_movk_i32 s15, 0x80
	v_and_or_b32 v1, v4, s15, v1
	global_store_byte v[2:3], v1, off
.LBB66_1531:
	s_mov_b64 s[24:25], 0
.LBB66_1532:
	s_andn2_b64 vcc, exec, s[24:25]
	s_cbranch_vccnz .LBB66_1542
; %bb.1533:
	v_and_b32_e32 v4, 0x7fffffff, v0
	s_mov_b32 s15, 0x47800000
	v_cmp_gt_u32_e32 vcc, s15, v4
                                        ; implicit-def: $vgpr1
	s_and_saveexec_b64 s[24:25], vcc
	s_xor_b64 s[24:25], exec, s[24:25]
	s_cbranch_execz .LBB66_1539
; %bb.1534:
	s_mov_b32 s15, 0x387fffff
	v_cmp_lt_u32_e32 vcc, s15, v4
                                        ; implicit-def: $vgpr1
	s_and_saveexec_b64 s[26:27], vcc
	s_xor_b64 s[26:27], exec, s[26:27]
; %bb.1535:
	v_bfe_u32 v1, v0, 21, 1
	s_mov_b32 s15, 0x80fffff
	v_add3_u32 v1, v0, v1, s15
	v_lshrrev_b32_e32 v1, 21, v1
; %bb.1536:
	s_andn2_saveexec_b64 s[26:27], s[26:27]
; %bb.1537:
	s_mov_b32 s15, 0x43000000
	v_add_f32_e64 v1, |v0|, s15
; %bb.1538:
	s_or_b64 exec, exec, s[26:27]
                                        ; implicit-def: $vgpr4
.LBB66_1539:
	s_andn2_saveexec_b64 s[24:25], s[24:25]
; %bb.1540:
	s_mov_b32 s15, 0x7f800000
	v_mov_b32_e32 v1, 0x7c
	v_mov_b32_e32 v6, 0x7f
	v_cmp_lt_u32_e32 vcc, s15, v4
	v_cndmask_b32_e32 v1, v1, v6, vcc
; %bb.1541:
	s_or_b64 exec, exec, s[24:25]
	v_lshrrev_b32_e32 v4, 24, v0
	s_movk_i32 s15, 0x80
	v_and_or_b32 v1, v4, s15, v1
	global_store_byte v[2:3], v1, off
.LBB66_1542:
	s_mov_b64 s[24:25], 0
.LBB66_1543:
	s_andn2_b64 vcc, exec, s[24:25]
	s_mov_b64 s[24:25], 0
	s_cbranch_vccnz .LBB66_1551
; %bb.1544:
	v_cmp_lt_i16_e32 vcc, 14, v5
	s_mov_b64 s[26:27], -1
	s_cbranch_vccz .LBB66_1548
; %bb.1545:
	v_cmp_eq_u16_e32 vcc, 15, v5
	s_mov_b64 s[0:1], -1
	s_cbranch_vccz .LBB66_1547
; %bb.1546:
	v_bfe_u32 v1, v0, 16, 1
	s_movk_i32 s0, 0x7fff
	v_add3_u32 v1, v0, v1, s0
	v_lshrrev_b32_e32 v1, 16, v1
	v_mov_b32_e32 v4, 0x7fc0
	v_cmp_o_f32_e32 vcc, v0, v0
	v_cndmask_b32_e32 v1, v4, v1, vcc
	global_store_short v[2:3], v1, off
	s_mov_b64 s[0:1], 0
.LBB66_1547:
	s_mov_b64 s[26:27], 0
.LBB66_1548:
	s_and_b64 vcc, exec, s[26:27]
	s_cbranch_vccz .LBB66_1551
; %bb.1549:
	v_cmp_ne_u16_e32 vcc, 11, v5
	s_andn2_b64 s[0:1], s[0:1], exec
	s_and_b64 s[26:27], vcc, exec
	s_mov_b64 s[24:25], -1
	s_or_b64 s[0:1], s[0:1], s[26:27]
	s_branch .LBB66_1551
.LBB66_1550:
	s_mov_b64 s[24:25], 0
.LBB66_1551:
	s_andn2_b64 s[6:7], s[6:7], exec
	s_and_b64 s[0:1], s[0:1], exec
	s_and_b64 s[20:21], s[20:21], exec
	;; [unrolled: 1-line block ×3, first 2 shown]
	s_or_b64 s[6:7], s[6:7], s[0:1]
	s_or_b64 exec, exec, s[18:19]
	s_and_saveexec_b64 s[0:1], s[6:7]
	s_cbranch_execz .LBB66_1490
.LBB66_1552:
	s_or_b64 s[22:23], s[22:23], exec
	s_andn2_b64 s[24:25], s[24:25], exec
	s_trap 2
	s_or_b64 exec, exec, s[0:1]
	s_and_saveexec_b64 s[0:1], s[24:25]
	s_xor_b64 s[0:1], exec, s[0:1]
	s_cbranch_execnz .LBB66_1491
.LBB66_1553:
	s_or_b64 exec, exec, s[0:1]
	s_and_saveexec_b64 s[0:1], s[20:21]
	s_xor_b64 s[0:1], exec, s[0:1]
	s_cbranch_execz .LBB66_1591
.LBB66_1554:
	v_cmp_gt_i16_e32 vcc, 5, v5
	s_mov_b64 s[6:7], -1
	s_cbranch_vccnz .LBB66_1575
; %bb.1555:
	v_cmp_gt_i16_e32 vcc, 8, v5
	s_cbranch_vccnz .LBB66_1565
; %bb.1556:
	v_cmp_gt_i16_e32 vcc, 9, v5
	s_cbranch_vccnz .LBB66_1562
; %bb.1557:
	v_cmp_lt_i16_e32 vcc, 9, v5
	s_cbranch_vccz .LBB66_1559
; %bb.1558:
	s_waitcnt vmcnt(0)
	v_mov_b32_e32 v8, 0
	v_cvt_f64_f32_e32 v[6:7], v0
	v_mov_b32_e32 v9, v8
	s_mov_b64 s[6:7], 0
	global_store_dwordx4 v[2:3], v[6:9], off
.LBB66_1559:
	s_andn2_b64 vcc, exec, s[6:7]
	s_cbranch_vccnz .LBB66_1561
; %bb.1560:
	v_mov_b32_e32 v1, 0
	s_waitcnt vmcnt(0)
	global_store_dwordx2 v[2:3], v[0:1], off
.LBB66_1561:
	s_mov_b64 s[6:7], 0
.LBB66_1562:
	s_andn2_b64 vcc, exec, s[6:7]
	s_cbranch_vccnz .LBB66_1564
; %bb.1563:
	v_cvt_f16_f32_e32 v1, v0
	s_waitcnt vmcnt(0)
	global_store_dword v[2:3], v1, off
.LBB66_1564:
	s_mov_b64 s[6:7], 0
.LBB66_1565:
	s_andn2_b64 vcc, exec, s[6:7]
	s_cbranch_vccnz .LBB66_1574
; %bb.1566:
	v_cmp_gt_i16_e32 vcc, 6, v5
	s_mov_b64 s[6:7], -1
	s_cbranch_vccnz .LBB66_1572
; %bb.1567:
	v_cmp_lt_i16_e32 vcc, 6, v5
	s_cbranch_vccz .LBB66_1569
; %bb.1568:
	s_waitcnt vmcnt(0)
	v_cvt_f64_f32_e32 v[6:7], v0
	s_mov_b64 s[6:7], 0
	global_store_dwordx2 v[2:3], v[6:7], off
.LBB66_1569:
	s_andn2_b64 vcc, exec, s[6:7]
	s_cbranch_vccnz .LBB66_1571
; %bb.1570:
	s_waitcnt vmcnt(0)
	global_store_dword v[2:3], v0, off
.LBB66_1571:
	s_mov_b64 s[6:7], 0
.LBB66_1572:
	s_andn2_b64 vcc, exec, s[6:7]
	s_cbranch_vccnz .LBB66_1574
; %bb.1573:
	v_cvt_f16_f32_e32 v1, v0
	s_waitcnt vmcnt(0)
	global_store_short v[2:3], v1, off
.LBB66_1574:
	s_mov_b64 s[6:7], 0
.LBB66_1575:
	s_andn2_b64 vcc, exec, s[6:7]
	s_cbranch_vccnz .LBB66_1591
; %bb.1576:
	v_cmp_gt_i16_e32 vcc, 2, v5
	s_mov_b64 s[6:7], -1
	s_cbranch_vccnz .LBB66_1586
; %bb.1577:
	v_cmp_gt_i16_e32 vcc, 3, v5
	s_cbranch_vccnz .LBB66_1583
; %bb.1578:
	v_cmp_lt_i16_e32 vcc, 3, v5
	s_cbranch_vccz .LBB66_1580
; %bb.1579:
	v_trunc_f32_e32 v1, v0
	s_mov_b32 s6, 0x2f800000
	s_waitcnt vmcnt(0)
	v_mul_f32_e64 v4, |v1|, s6
	v_floor_f32_e32 v4, v4
	s_mov_b32 s6, 0xcf800000
	v_cvt_u32_f32_e32 v6, v4
	v_fma_f32 v4, v4, s6, |v1|
	v_cvt_u32_f32_e32 v4, v4
	v_ashrrev_i32_e32 v1, 31, v1
	v_xor_b32_e32 v7, v6, v1
	s_mov_b64 s[6:7], 0
	v_xor_b32_e32 v4, v4, v1
	v_sub_co_u32_e32 v6, vcc, v4, v1
	v_subb_co_u32_e32 v7, vcc, v7, v1, vcc
	global_store_dwordx2 v[2:3], v[6:7], off
.LBB66_1580:
	s_andn2_b64 vcc, exec, s[6:7]
	s_cbranch_vccnz .LBB66_1582
; %bb.1581:
	v_cvt_i32_f32_e32 v1, v0
	s_waitcnt vmcnt(0)
	global_store_dword v[2:3], v1, off
.LBB66_1582:
	s_mov_b64 s[6:7], 0
.LBB66_1583:
	s_andn2_b64 vcc, exec, s[6:7]
	s_cbranch_vccnz .LBB66_1585
; %bb.1584:
	v_cvt_i32_f32_e32 v1, v0
	s_waitcnt vmcnt(0)
	global_store_short v[2:3], v1, off
.LBB66_1585:
	s_mov_b64 s[6:7], 0
.LBB66_1586:
	s_andn2_b64 vcc, exec, s[6:7]
	s_cbranch_vccnz .LBB66_1591
; %bb.1587:
	v_cmp_lt_i16_e32 vcc, 0, v5
	s_mov_b64 s[6:7], -1
	s_cbranch_vccz .LBB66_1589
; %bb.1588:
	v_cvt_i32_f32_e32 v1, v0
	s_mov_b64 s[6:7], 0
	s_waitcnt vmcnt(0)
	global_store_byte v[2:3], v1, off
.LBB66_1589:
	s_andn2_b64 vcc, exec, s[6:7]
	s_cbranch_vccnz .LBB66_1591
; %bb.1590:
	v_trunc_f32_e32 v0, v0
	s_mov_b32 s6, 0x2f800000
	v_mul_f32_e64 v1, |v0|, s6
	v_floor_f32_e32 v1, v1
	s_mov_b32 s6, 0xcf800000
	v_fma_f32 v1, v1, s6, |v0|
	v_cvt_u32_f32_e32 v1, v1
	v_ashrrev_i32_e32 v0, 31, v0
	v_xor_b32_e32 v1, v1, v0
	v_sub_u32_e32 v0, v1, v0
	s_waitcnt vmcnt(0)
	global_store_byte v[2:3], v0, off
.LBB66_1591:
	s_or_b64 exec, exec, s[0:1]
	s_and_b64 s[6:7], s[22:23], exec
                                        ; implicit-def: $vgpr11
                                        ; implicit-def: $vgpr9
                                        ; implicit-def: $vgpr8
                                        ; implicit-def: $vgpr10
.LBB66_1592:
	s_or_saveexec_b64 s[4:5], s[4:5]
	s_mov_b64 s[0:1], 0
                                        ; implicit-def: $vgpr2
                                        ; implicit-def: $vgpr0_vgpr1
                                        ; implicit-def: $vgpr6
	s_xor_b64 exec, exec, s[4:5]
	s_cbranch_execz .LBB66_2685
; %bb.1593:
	v_mul_lo_u32 v5, s13, v11
	v_ashrrev_i32_e32 v1, 31, v5
	s_waitcnt vmcnt(0)
	v_mov_b32_e32 v2, s11
	v_add_co_u32_e32 v0, vcc, s10, v5
	v_addc_co_u32_e32 v1, vcc, v2, v1, vcc
	v_mov_b32_e32 v2, 11
	v_cmp_lt_i16_sdwa s[0:1], v9, v2 src0_sel:BYTE_0 src1_sel:DWORD
	s_and_b64 vcc, exec, s[0:1]
	s_cbranch_vccnz .LBB66_1600
; %bb.1594:
	v_mov_b32_e32 v2, 25
	v_cmp_gt_i16_sdwa s[0:1], v9, v2 src0_sel:BYTE_0 src1_sel:DWORD
	s_mov_b64 s[16:17], 0
	s_and_b64 vcc, exec, s[0:1]
	s_cbranch_vccz .LBB66_1602
; %bb.1595:
	v_mov_b32_e32 v2, 28
	v_cmp_gt_i16_sdwa s[0:1], v9, v2 src0_sel:BYTE_0 src1_sel:DWORD
	s_and_b64 vcc, exec, s[0:1]
	s_cbranch_vccz .LBB66_1603
; %bb.1596:
	v_mov_b32_e32 v2, 43
	v_cmp_gt_i16_sdwa s[0:1], v9, v2 src0_sel:BYTE_0 src1_sel:DWORD
	;; [unrolled: 5-line block ×3, first 2 shown]
	s_and_b64 vcc, exec, s[0:1]
	s_cbranch_vccz .LBB66_1605
; %bb.1598:
	v_mov_b32_e32 v2, 46
	v_cmp_eq_u16_sdwa s[0:1], v9, v2 src0_sel:BYTE_0 src1_sel:DWORD
	s_mov_b64 s[18:19], 0
	s_and_b64 vcc, exec, s[0:1]
	s_cbranch_vccz .LBB66_1608
; %bb.1599:
	global_load_dword v2, v[0:1], off
	s_mov_b64 s[0:1], 0
	s_mov_b64 s[20:21], -1
	s_waitcnt vmcnt(0)
	v_lshlrev_b32_e32 v6, 16, v2
	s_branch .LBB66_1609
.LBB66_1600:
	s_mov_b64 s[20:21], 0
                                        ; implicit-def: $vgpr6
	s_mov_b64 s[18:19], s[6:7]
	s_cbranch_execnz .LBB66_1672
.LBB66_1601:
	s_andn2_b64 vcc, exec, s[20:21]
	s_cbranch_vccz .LBB66_1717
	s_branch .LBB66_2682
.LBB66_1602:
	s_mov_b64 s[20:21], 0
	s_mov_b64 s[0:1], 0
                                        ; implicit-def: $vgpr6
	s_cbranch_execnz .LBB66_1637
	s_branch .LBB66_1668
.LBB66_1603:
	s_mov_b64 s[18:19], -1
	s_mov_b64 s[20:21], 0
	s_mov_b64 s[0:1], 0
                                        ; implicit-def: $vgpr6
	s_branch .LBB66_1618
.LBB66_1604:
	s_mov_b64 s[20:21], 0
	s_mov_b64 s[0:1], 0
                                        ; implicit-def: $vgpr6
	s_cbranch_execnz .LBB66_1614
	s_branch .LBB66_1617
.LBB66_1605:
	s_mov_b64 s[18:19], -1
	s_mov_b64 s[20:21], 0
	s_mov_b64 s[0:1], 0
                                        ; implicit-def: $vgpr6
	s_branch .LBB66_1609
.LBB66_1606:
	s_or_saveexec_b64 s[26:27], s[26:27]
                                        ; implicit-def: $sgpr15
	s_xor_b64 exec, exec, s[26:27]
	s_cbranch_execz .LBB66_1505
.LBB66_1607:
	s_mov_b32 s15, 0x46000000
	v_add_f32_e64 v1, |v0|, s15
	v_and_b32_e32 v1, 0xff, v1
	v_cmp_ne_u32_e32 vcc, 0, v1
	s_andn2_b64 s[24:25], s[24:25], exec
	s_and_b64 s[28:29], vcc, exec
	s_mov_b32 s15, 0
	s_or_b64 s[24:25], s[24:25], s[28:29]
	s_or_b64 exec, exec, s[26:27]
	v_mov_b32_e32 v4, s15
	s_and_saveexec_b64 s[26:27], s[24:25]
	s_cbranch_execnz .LBB66_1506
	s_branch .LBB66_1507
.LBB66_1608:
	s_mov_b64 s[0:1], -1
                                        ; implicit-def: $vgpr6
	s_mov_b64 s[20:21], 0
.LBB66_1609:
	s_and_b64 vcc, exec, s[18:19]
	s_cbranch_vccz .LBB66_1612
; %bb.1610:
	v_mov_b32_e32 v2, 44
	v_cmp_eq_u16_sdwa s[0:1], v9, v2 src0_sel:BYTE_0 src1_sel:DWORD
	s_and_b64 vcc, exec, s[0:1]
	s_cbranch_vccz .LBB66_1613
; %bb.1611:
	global_load_ubyte v2, v[0:1], off
	s_movk_i32 s15, 0xff
	v_mov_b32_e32 v3, 0x7f800001
	v_mov_b32_e32 v4, 0x400000
	s_mov_b64 s[0:1], 0
	s_mov_b64 s[20:21], -1
	s_waitcnt vmcnt(0)
	v_lshlrev_b32_e32 v6, 23, v2
	v_cmp_ne_u32_e32 vcc, s15, v2
	v_cndmask_b32_e32 v3, v3, v6, vcc
	v_cmp_ne_u32_e32 vcc, 0, v2
	v_cndmask_b32_e32 v6, v4, v3, vcc
.LBB66_1612:
	s_branch .LBB66_1617
.LBB66_1613:
	s_mov_b64 s[0:1], -1
                                        ; implicit-def: $vgpr6
	s_branch .LBB66_1617
.LBB66_1614:
	v_mov_b32_e32 v2, 29
	v_cmp_eq_u16_sdwa s[0:1], v9, v2 src0_sel:BYTE_0 src1_sel:DWORD
	s_and_b64 vcc, exec, s[0:1]
	s_cbranch_vccz .LBB66_1616
; %bb.1615:
	global_load_dwordx2 v[2:3], v[0:1], off
	s_mov_b64 s[0:1], 0
	s_mov_b64 s[20:21], -1
	s_mov_b64 s[18:19], 0
	s_waitcnt vmcnt(0)
	v_ffbh_u32_e32 v4, v3
	v_min_u32_e32 v4, 32, v4
	v_lshlrev_b64 v[2:3], v4, v[2:3]
	v_min_u32_e32 v2, 1, v2
	v_or_b32_e32 v2, v3, v2
	v_cvt_f32_u32_e32 v2, v2
	v_sub_u32_e32 v3, 32, v4
	v_ldexp_f32 v6, v2, v3
	s_branch .LBB66_1618
.LBB66_1616:
	s_mov_b64 s[0:1], -1
                                        ; implicit-def: $vgpr6
.LBB66_1617:
	s_mov_b64 s[18:19], 0
.LBB66_1618:
	s_and_b64 vcc, exec, s[18:19]
	s_cbranch_vccz .LBB66_1636
; %bb.1619:
	v_mov_b32_e32 v2, 27
	v_cmp_lt_i16_sdwa s[18:19], v9, v2 src0_sel:BYTE_0 src1_sel:DWORD
	s_and_b64 vcc, exec, s[18:19]
	s_cbranch_vccnz .LBB66_1622
; %bb.1620:
	v_cmp_gt_i16_sdwa s[18:19], v9, v2 src0_sel:BYTE_0 src1_sel:DWORD
	s_and_b64 vcc, exec, s[18:19]
	s_cbranch_vccz .LBB66_1623
; %bb.1621:
	global_load_dword v2, v[0:1], off
	s_mov_b64 s[18:19], 0
	s_waitcnt vmcnt(0)
	v_cvt_f32_u32_e32 v6, v2
	s_branch .LBB66_1624
.LBB66_1622:
	s_mov_b64 s[18:19], -1
                                        ; implicit-def: $vgpr6
	s_branch .LBB66_1627
.LBB66_1623:
	s_mov_b64 s[18:19], -1
                                        ; implicit-def: $vgpr6
.LBB66_1624:
	s_andn2_b64 vcc, exec, s[18:19]
	s_cbranch_vccnz .LBB66_1626
; %bb.1625:
	global_load_ushort v2, v[0:1], off
	s_waitcnt vmcnt(0)
	v_cvt_f32_u32_e32 v6, v2
.LBB66_1626:
	s_mov_b64 s[18:19], 0
.LBB66_1627:
	s_andn2_b64 vcc, exec, s[18:19]
	s_cbranch_vccnz .LBB66_1635
; %bb.1628:
	global_load_ubyte v2, v[0:1], off
	s_movk_i32 s15, 0x7f
	s_mov_b64 s[18:19], 0
	s_waitcnt vmcnt(0)
	v_cmp_lt_i16_e32 vcc, s15, v2
                                        ; implicit-def: $sgpr15
	s_and_saveexec_b64 s[20:21], vcc
	s_xor_b64 s[20:21], exec, s[20:21]
	s_cbranch_execz .LBB66_1648
; %bb.1629:
	s_movk_i32 s15, 0x80
	v_cmp_eq_u16_e32 vcc, s15, v2
	s_mov_b64 s[18:19], -1
                                        ; implicit-def: $sgpr15
	s_and_saveexec_b64 s[22:23], vcc
; %bb.1630:
	s_mov_b32 s15, 0x7f800001
	s_xor_b64 s[18:19], exec, -1
; %bb.1631:
	s_or_b64 exec, exec, s[22:23]
	s_and_b64 s[18:19], s[18:19], exec
	s_or_saveexec_b64 s[20:21], s[20:21]
	v_mov_b32_e32 v6, s15
	s_xor_b64 exec, exec, s[20:21]
	s_cbranch_execnz .LBB66_1649
.LBB66_1632:
	s_or_b64 exec, exec, s[20:21]
	s_and_saveexec_b64 s[20:21], s[18:19]
	s_cbranch_execz .LBB66_1634
.LBB66_1633:
	v_lshlrev_b32_e32 v3, 24, v2
	v_and_b32_e32 v2, 0xffff, v2
	v_and_b32_e32 v4, 7, v2
	v_ffbh_u32_e32 v7, v4
	v_min_u32_e32 v7, 32, v7
	v_subrev_u32_e32 v12, 28, v7
	v_bfe_u32 v6, v2, 3, 4
	v_lshlrev_b32_e32 v2, v12, v2
	v_sub_u32_e32 v7, 29, v7
	v_and_b32_e32 v2, 7, v2
	v_cmp_eq_u32_e32 vcc, 0, v6
	v_cndmask_b32_e32 v6, v6, v7, vcc
	v_cndmask_b32_e32 v2, v4, v2, vcc
	v_mov_b32_e32 v4, 0x3b800000
	v_lshlrev_b32_e32 v2, 20, v2
	v_and_b32_e32 v3, 0x80000000, v3
	v_lshl_add_u32 v4, v6, 23, v4
	v_or3_b32 v6, v3, v4, v2
.LBB66_1634:
	s_or_b64 exec, exec, s[20:21]
.LBB66_1635:
	s_mov_b64 s[20:21], -1
.LBB66_1636:
	s_branch .LBB66_1668
.LBB66_1637:
	v_mov_b32_e32 v2, 22
	v_cmp_gt_i16_sdwa s[16:17], v9, v2 src0_sel:BYTE_0 src1_sel:DWORD
	s_and_b64 vcc, exec, s[16:17]
	s_cbranch_vccz .LBB66_1647
; %bb.1638:
	v_mov_b32_e32 v2, 24
	v_cmp_lt_i16_sdwa s[16:17], v9, v2 src0_sel:BYTE_0 src1_sel:DWORD
	s_and_b64 vcc, exec, s[16:17]
	s_cbranch_vccnz .LBB66_1650
; %bb.1639:
	v_cmp_gt_i16_sdwa s[16:17], v9, v2 src0_sel:BYTE_0 src1_sel:DWORD
	s_and_b64 vcc, exec, s[16:17]
	s_cbranch_vccz .LBB66_1651
; %bb.1640:
	global_load_ubyte v2, v[0:1], off
	s_movk_i32 s15, 0x7f
	s_mov_b64 s[16:17], 0
	s_waitcnt vmcnt(0)
	v_cmp_lt_i16_e32 vcc, s15, v2
                                        ; implicit-def: $sgpr15
	s_and_saveexec_b64 s[18:19], vcc
	s_xor_b64 s[18:19], exec, s[18:19]
	s_cbranch_execz .LBB66_1662
; %bb.1641:
	s_movk_i32 s15, 0x80
	v_cmp_eq_u16_e32 vcc, s15, v2
	s_mov_b64 s[16:17], -1
                                        ; implicit-def: $sgpr15
	s_and_saveexec_b64 s[20:21], vcc
; %bb.1642:
	s_mov_b32 s15, 0x7f800001
	s_xor_b64 s[16:17], exec, -1
; %bb.1643:
	s_or_b64 exec, exec, s[20:21]
	s_and_b64 s[16:17], s[16:17], exec
	s_or_saveexec_b64 s[18:19], s[18:19]
	v_mov_b32_e32 v6, s15
	s_xor_b64 exec, exec, s[18:19]
	s_cbranch_execnz .LBB66_1663
.LBB66_1644:
	s_or_b64 exec, exec, s[18:19]
	s_and_saveexec_b64 s[18:19], s[16:17]
	s_cbranch_execz .LBB66_1646
.LBB66_1645:
	v_lshlrev_b32_e32 v3, 24, v2
	v_and_b32_e32 v2, 0xffff, v2
	v_and_b32_e32 v4, 3, v2
	v_ffbh_u32_e32 v7, v4
	v_min_u32_e32 v7, 32, v7
	v_subrev_u32_e32 v12, 29, v7
	v_bfe_u32 v6, v2, 2, 5
	v_lshlrev_b32_e32 v2, v12, v2
	v_sub_u32_e32 v7, 30, v7
	v_and_b32_e32 v2, 3, v2
	v_cmp_eq_u32_e32 vcc, 0, v6
	v_cndmask_b32_e32 v6, v6, v7, vcc
	v_cndmask_b32_e32 v2, v4, v2, vcc
	v_mov_b32_e32 v4, 0x37800000
	v_lshlrev_b32_e32 v2, 21, v2
	v_and_b32_e32 v3, 0x80000000, v3
	v_lshl_add_u32 v4, v6, 23, v4
	v_or3_b32 v6, v3, v4, v2
.LBB66_1646:
	s_or_b64 exec, exec, s[18:19]
	s_mov_b64 s[16:17], 0
	s_branch .LBB66_1652
.LBB66_1647:
                                        ; implicit-def: $vgpr6
	s_mov_b64 s[16:17], 0
	s_branch .LBB66_1658
.LBB66_1648:
	s_or_saveexec_b64 s[20:21], s[20:21]
	v_mov_b32_e32 v6, s15
	s_xor_b64 exec, exec, s[20:21]
	s_cbranch_execz .LBB66_1632
.LBB66_1649:
	v_cmp_ne_u16_e32 vcc, 0, v2
	s_andn2_b64 s[18:19], s[18:19], exec
	s_and_b64 s[22:23], vcc, exec
	v_mov_b32_e32 v6, 0
	s_or_b64 s[18:19], s[18:19], s[22:23]
	s_or_b64 exec, exec, s[20:21]
	s_and_saveexec_b64 s[20:21], s[18:19]
	s_cbranch_execnz .LBB66_1633
	s_branch .LBB66_1634
.LBB66_1650:
	s_mov_b64 s[16:17], -1
                                        ; implicit-def: $vgpr6
	s_branch .LBB66_1655
.LBB66_1651:
	s_mov_b64 s[16:17], -1
                                        ; implicit-def: $vgpr6
.LBB66_1652:
	s_and_b64 vcc, exec, s[16:17]
	s_cbranch_vccz .LBB66_1654
; %bb.1653:
	global_load_ubyte v2, v[0:1], off
	s_mov_b32 s15, 0x7f800000
	s_waitcnt vmcnt(0)
	v_lshlrev_b32_e32 v2, 24, v2
	v_and_b32_e32 v3, 0x7f000000, v2
	v_ffbh_u32_e32 v4, v3
	v_min_u32_e32 v4, 32, v4
	v_sub_u32_e64 v4, v4, 4 clamp
	v_lshlrev_b32_e32 v7, v4, v3
	v_lshlrev_b32_e32 v4, 23, v4
	v_lshrrev_b32_e32 v7, 4, v7
	v_add_u32_e32 v6, 0x1000000, v3
	v_sub_u32_e32 v4, v7, v4
	v_ashrrev_i32_e32 v6, 8, v6
	v_add_u32_e32 v4, 0x3c000000, v4
	v_and_or_b32 v4, v6, s15, v4
	v_cmp_ne_u32_e32 vcc, 0, v3
	v_cndmask_b32_e32 v3, 0, v4, vcc
	s_brev_b32 s15, 1
	v_and_or_b32 v6, v2, s15, v3
.LBB66_1654:
	s_mov_b64 s[16:17], 0
.LBB66_1655:
	s_andn2_b64 vcc, exec, s[16:17]
	s_cbranch_vccnz .LBB66_1657
; %bb.1656:
	global_load_ubyte v2, v[0:1], off
	s_movk_i32 s15, 0x7f00
	s_brev_b32 s16, 16
	s_waitcnt vmcnt(0)
	v_lshlrev_b16_e32 v3, 8, v2
	v_lshlrev_b32_e32 v2, 25, v2
	v_lshrrev_b32_e32 v4, 4, v2
	v_and_or_b32 v6, v3, s15, 0.5
	v_or_b32_e32 v4, 0x70000000, v4
	v_add_f32_e32 v6, -0.5, v6
	v_mul_f32_e32 v4, 0x7800000, v4
	v_cmp_gt_u32_e32 vcc, s16, v2
	v_bfe_i32 v3, v3, 0, 16
	v_cndmask_b32_e32 v2, v4, v6, vcc
	s_brev_b32 s15, 1
	v_and_or_b32 v6, v3, s15, v2
.LBB66_1657:
	s_mov_b64 s[20:21], -1
	s_mov_b64 s[16:17], 0
	s_cbranch_execnz .LBB66_1668
.LBB66_1658:
	v_mov_b32_e32 v2, 14
	v_cmp_gt_i16_sdwa s[16:17], v9, v2 src0_sel:BYTE_0 src1_sel:DWORD
	s_and_b64 vcc, exec, s[16:17]
	s_cbranch_vccz .LBB66_1661
; %bb.1659:
	v_mov_b32_e32 v2, 15
	v_cmp_eq_u16_sdwa s[0:1], v9, v2 src0_sel:BYTE_0 src1_sel:DWORD
	s_and_b64 vcc, exec, s[0:1]
	s_cbranch_vccz .LBB66_1664
; %bb.1660:
	global_load_ushort v2, v[0:1], off
	s_mov_b64 s[0:1], 0
	s_mov_b64 s[20:21], -1
	s_waitcnt vmcnt(0)
	v_lshlrev_b32_e32 v6, 16, v2
	s_branch .LBB66_1665
.LBB66_1661:
	s_mov_b64 s[18:19], -1
                                        ; implicit-def: $vgpr6
	s_branch .LBB66_1666
.LBB66_1662:
	s_or_saveexec_b64 s[18:19], s[18:19]
	v_mov_b32_e32 v6, s15
	s_xor_b64 exec, exec, s[18:19]
	s_cbranch_execz .LBB66_1644
.LBB66_1663:
	v_cmp_ne_u16_e32 vcc, 0, v2
	s_andn2_b64 s[16:17], s[16:17], exec
	s_and_b64 s[20:21], vcc, exec
	v_mov_b32_e32 v6, 0
	s_or_b64 s[16:17], s[16:17], s[20:21]
	s_or_b64 exec, exec, s[18:19]
	s_and_saveexec_b64 s[18:19], s[16:17]
	s_cbranch_execnz .LBB66_1645
	s_branch .LBB66_1646
.LBB66_1664:
	s_mov_b64 s[0:1], -1
                                        ; implicit-def: $vgpr6
.LBB66_1665:
	s_mov_b64 s[18:19], 0
.LBB66_1666:
	s_mov_b64 s[16:17], 0
	s_and_b64 vcc, exec, s[18:19]
	s_cbranch_vccz .LBB66_1668
; %bb.1667:
	v_mov_b32_e32 v2, 11
	v_cmp_ne_u16_sdwa s[0:1], v9, v2 src0_sel:BYTE_0 src1_sel:DWORD
	s_mov_b64 s[16:17], -1
                                        ; implicit-def: $vgpr6
.LBB66_1668:
	s_and_b64 vcc, exec, s[0:1]
	s_mov_b64 s[18:19], s[6:7]
	s_cbranch_vccnz .LBB66_1729
; %bb.1669:
	s_andn2_b64 vcc, exec, s[16:17]
	s_cbranch_vccnz .LBB66_1671
.LBB66_1670:
	global_load_ubyte v2, v[0:1], off
	s_mov_b64 s[20:21], -1
	s_waitcnt vmcnt(0)
	v_cmp_ne_u16_e32 vcc, 0, v2
	v_cndmask_b32_e64 v6, 0, 1.0, vcc
.LBB66_1671:
	s_branch .LBB66_1601
.LBB66_1672:
	v_mov_b32_e32 v2, 5
	v_cmp_lt_i16_sdwa s[0:1], v9, v2 src0_sel:BYTE_0 src1_sel:DWORD
	s_and_b64 vcc, exec, s[0:1]
	s_cbranch_vccnz .LBB66_1677
; %bb.1673:
	v_mov_b32_e32 v2, 8
	v_cmp_lt_i16_sdwa s[0:1], v9, v2 src0_sel:BYTE_0 src1_sel:DWORD
	s_and_b64 vcc, exec, s[0:1]
	s_cbranch_vccnz .LBB66_1678
; %bb.1674:
	v_mov_b32_e32 v2, 9
	v_cmp_lt_i16_sdwa s[0:1], v9, v2 src0_sel:BYTE_0 src1_sel:DWORD
	s_and_b64 vcc, exec, s[0:1]
	s_cbranch_vccnz .LBB66_1679
; %bb.1675:
	v_cmp_gt_i16_sdwa s[0:1], v9, v2 src0_sel:BYTE_0 src1_sel:DWORD
	s_and_b64 vcc, exec, s[0:1]
	s_cbranch_vccz .LBB66_1680
; %bb.1676:
	global_load_dwordx2 v[2:3], v[0:1], off
	s_mov_b64 s[0:1], 0
	s_waitcnt vmcnt(0)
	v_cvt_f32_f64_e32 v6, v[2:3]
	s_branch .LBB66_1681
.LBB66_1677:
                                        ; implicit-def: $vgpr6
	s_branch .LBB66_1698
.LBB66_1678:
                                        ; implicit-def: $vgpr6
	s_branch .LBB66_1687
.LBB66_1679:
	s_mov_b64 s[0:1], -1
                                        ; implicit-def: $vgpr6
	s_branch .LBB66_1684
.LBB66_1680:
	s_mov_b64 s[0:1], -1
                                        ; implicit-def: $vgpr6
.LBB66_1681:
	s_andn2_b64 vcc, exec, s[0:1]
	s_cbranch_vccnz .LBB66_1683
; %bb.1682:
	global_load_dword v6, v[0:1], off
.LBB66_1683:
	s_mov_b64 s[0:1], 0
.LBB66_1684:
	s_andn2_b64 vcc, exec, s[0:1]
	s_cbranch_vccnz .LBB66_1686
; %bb.1685:
	global_load_dword v2, v[0:1], off
	s_waitcnt vmcnt(0)
	v_cvt_f32_f16_e32 v6, v2
.LBB66_1686:
	s_cbranch_execnz .LBB66_1697
.LBB66_1687:
	v_mov_b32_e32 v2, 6
	v_cmp_lt_i16_sdwa s[0:1], v9, v2 src0_sel:BYTE_0 src1_sel:DWORD
	s_and_b64 vcc, exec, s[0:1]
	s_cbranch_vccnz .LBB66_1690
; %bb.1688:
	v_cmp_gt_i16_sdwa s[0:1], v9, v2 src0_sel:BYTE_0 src1_sel:DWORD
	s_and_b64 vcc, exec, s[0:1]
	s_cbranch_vccz .LBB66_1691
; %bb.1689:
	global_load_dwordx2 v[2:3], v[0:1], off
	s_mov_b64 s[0:1], 0
	s_waitcnt vmcnt(0)
	v_cvt_f32_f64_e32 v6, v[2:3]
	s_branch .LBB66_1692
.LBB66_1690:
	s_mov_b64 s[0:1], -1
                                        ; implicit-def: $vgpr6
	s_branch .LBB66_1695
.LBB66_1691:
	s_mov_b64 s[0:1], -1
                                        ; implicit-def: $vgpr6
.LBB66_1692:
	s_andn2_b64 vcc, exec, s[0:1]
	s_cbranch_vccnz .LBB66_1694
; %bb.1693:
	global_load_dword v6, v[0:1], off
.LBB66_1694:
	s_mov_b64 s[0:1], 0
.LBB66_1695:
	s_andn2_b64 vcc, exec, s[0:1]
	s_cbranch_vccnz .LBB66_1697
; %bb.1696:
	global_load_ushort v2, v[0:1], off
	s_waitcnt vmcnt(0)
	v_cvt_f32_f16_e32 v6, v2
.LBB66_1697:
	s_cbranch_execnz .LBB66_1716
.LBB66_1698:
	v_mov_b32_e32 v2, 2
	v_cmp_lt_i16_sdwa s[0:1], v9, v2 src0_sel:BYTE_0 src1_sel:DWORD
	s_and_b64 vcc, exec, s[0:1]
	s_cbranch_vccnz .LBB66_1702
; %bb.1699:
	v_mov_b32_e32 v2, 3
	v_cmp_lt_i16_sdwa s[0:1], v9, v2 src0_sel:BYTE_0 src1_sel:DWORD
	s_and_b64 vcc, exec, s[0:1]
	s_cbranch_vccnz .LBB66_1703
; %bb.1700:
	v_cmp_gt_i16_sdwa s[0:1], v9, v2 src0_sel:BYTE_0 src1_sel:DWORD
	s_and_b64 vcc, exec, s[0:1]
	s_cbranch_vccz .LBB66_1704
; %bb.1701:
	global_load_dwordx2 v[2:3], v[0:1], off
	s_mov_b64 s[0:1], 0
	s_waitcnt vmcnt(0)
	v_xor_b32_e32 v6, v2, v3
	v_ffbh_i32_e32 v4, v3
	v_ashrrev_i32_e32 v6, 31, v6
	v_add_u32_e32 v4, -1, v4
	v_add_u32_e32 v6, 32, v6
	v_min_u32_e32 v4, v4, v6
	v_lshlrev_b64 v[2:3], v4, v[2:3]
	v_min_u32_e32 v2, 1, v2
	v_or_b32_e32 v2, v3, v2
	v_cvt_f32_i32_e32 v2, v2
	v_sub_u32_e32 v3, 32, v4
	v_ldexp_f32 v6, v2, v3
	s_branch .LBB66_1705
.LBB66_1702:
                                        ; implicit-def: $vgpr6
	s_branch .LBB66_1711
.LBB66_1703:
	s_mov_b64 s[0:1], -1
                                        ; implicit-def: $vgpr6
	s_branch .LBB66_1708
.LBB66_1704:
	s_mov_b64 s[0:1], -1
                                        ; implicit-def: $vgpr6
.LBB66_1705:
	s_andn2_b64 vcc, exec, s[0:1]
	s_cbranch_vccnz .LBB66_1707
; %bb.1706:
	global_load_dword v2, v[0:1], off
	s_waitcnt vmcnt(0)
	v_cvt_f32_i32_e32 v6, v2
.LBB66_1707:
	s_mov_b64 s[0:1], 0
.LBB66_1708:
	s_andn2_b64 vcc, exec, s[0:1]
	s_cbranch_vccnz .LBB66_1710
; %bb.1709:
	global_load_sshort v2, v[0:1], off
	s_waitcnt vmcnt(0)
	v_cvt_f32_i32_e32 v6, v2
.LBB66_1710:
	s_cbranch_execnz .LBB66_1716
.LBB66_1711:
	v_mov_b32_e32 v2, 0
	v_cmp_gt_i16_sdwa s[0:1], v9, v2 src0_sel:BYTE_0 src1_sel:DWORD
	s_and_b64 vcc, exec, s[0:1]
	s_cbranch_vccz .LBB66_1713
; %bb.1712:
	global_load_sbyte v2, v[0:1], off
	s_mov_b64 s[0:1], 0
	s_waitcnt vmcnt(0)
	v_cvt_f32_i32_e32 v6, v2
	s_branch .LBB66_1714
.LBB66_1713:
	s_mov_b64 s[0:1], -1
                                        ; implicit-def: $vgpr6
.LBB66_1714:
	s_andn2_b64 vcc, exec, s[0:1]
	s_cbranch_vccnz .LBB66_1716
; %bb.1715:
	global_load_ubyte v0, v[0:1], off
	s_waitcnt vmcnt(0)
	v_cvt_f32_ubyte0_e32 v6, v0
.LBB66_1716:
.LBB66_1717:
	v_mul_lo_u32 v4, s14, v11
	v_ashrrev_i32_e32 v1, 31, v4
	v_mov_b32_e32 v2, s3
	v_add_co_u32_e32 v0, vcc, s2, v4
	v_addc_co_u32_e32 v1, vcc, v2, v1, vcc
	v_mov_b32_e32 v2, 11
	v_cmp_lt_i16_sdwa s[0:1], v8, v2 src0_sel:BYTE_0 src1_sel:DWORD
	s_and_b64 vcc, exec, s[0:1]
	s_cbranch_vccnz .LBB66_1724
; %bb.1718:
	v_mov_b32_e32 v2, 25
	v_cmp_gt_i16_sdwa s[0:1], v8, v2 src0_sel:BYTE_0 src1_sel:DWORD
	s_mov_b64 s[16:17], 0
	s_and_b64 vcc, exec, s[0:1]
	s_cbranch_vccz .LBB66_1726
; %bb.1719:
	v_mov_b32_e32 v2, 28
	v_cmp_gt_i16_sdwa s[0:1], v8, v2 src0_sel:BYTE_0 src1_sel:DWORD
	s_and_b64 vcc, exec, s[0:1]
	s_cbranch_vccz .LBB66_1727
; %bb.1720:
	v_mov_b32_e32 v2, 43
	v_cmp_gt_i16_sdwa s[0:1], v8, v2 src0_sel:BYTE_0 src1_sel:DWORD
	;; [unrolled: 5-line block ×3, first 2 shown]
	s_and_b64 vcc, exec, s[0:1]
	s_cbranch_vccz .LBB66_1730
; %bb.1722:
	v_mov_b32_e32 v2, 46
	v_cmp_eq_u16_sdwa s[0:1], v8, v2 src0_sel:BYTE_0 src1_sel:DWORD
	s_mov_b64 s[22:23], 0
	s_and_b64 vcc, exec, s[0:1]
	s_cbranch_vccz .LBB66_1733
; %bb.1723:
	global_load_dword v2, v[0:1], off
	s_mov_b64 s[0:1], 0
	s_mov_b64 s[20:21], -1
	s_waitcnt vmcnt(0)
	v_lshlrev_b32_e32 v2, 16, v2
	s_branch .LBB66_1734
.LBB66_1724:
	s_mov_b64 s[20:21], 0
                                        ; implicit-def: $vgpr2
	s_cbranch_execnz .LBB66_1799
.LBB66_1725:
	s_andn2_b64 vcc, exec, s[20:21]
	s_cbranch_vccnz .LBB66_2682
	s_branch .LBB66_1846
.LBB66_1726:
	s_mov_b64 s[20:21], 0
	s_mov_b64 s[0:1], 0
                                        ; implicit-def: $vgpr2
	s_cbranch_execnz .LBB66_1763
	s_branch .LBB66_1795
.LBB66_1727:
	s_mov_b64 s[22:23], -1
	s_mov_b64 s[20:21], 0
	s_mov_b64 s[0:1], 0
                                        ; implicit-def: $vgpr2
	s_branch .LBB66_1744
.LBB66_1728:
	s_mov_b64 s[22:23], -1
	s_mov_b64 s[20:21], 0
	s_mov_b64 s[0:1], 0
                                        ; implicit-def: $vgpr2
	s_branch .LBB66_1739
.LBB66_1729:
	s_or_b64 s[18:19], s[6:7], exec
	s_trap 2
                                        ; implicit-def: $vgpr6
	s_cbranch_execz .LBB66_1670
	s_branch .LBB66_1671
.LBB66_1730:
	s_mov_b64 s[22:23], -1
	s_mov_b64 s[20:21], 0
	s_mov_b64 s[0:1], 0
                                        ; implicit-def: $vgpr2
	s_branch .LBB66_1734
.LBB66_1731:
	s_or_saveexec_b64 s[28:29], s[28:29]
                                        ; implicit-def: $sgpr15
	s_xor_b64 exec, exec, s[28:29]
	s_cbranch_execz .LBB66_1517
.LBB66_1732:
	s_mov_b32 s15, 0x42800000
	v_add_f32_e64 v1, |v0|, s15
	v_and_b32_e32 v1, 0xff, v1
	v_cmp_ne_u32_e32 vcc, 0, v1
	s_andn2_b64 s[26:27], s[26:27], exec
	s_and_b64 s[30:31], vcc, exec
	s_mov_b32 s15, 0
	s_or_b64 s[26:27], s[26:27], s[30:31]
	s_or_b64 exec, exec, s[28:29]
	v_mov_b32_e32 v4, s15
	s_and_saveexec_b64 s[28:29], s[26:27]
	s_cbranch_execnz .LBB66_1518
	s_branch .LBB66_1519
.LBB66_1733:
	s_mov_b64 s[0:1], -1
                                        ; implicit-def: $vgpr2
	s_mov_b64 s[20:21], 0
.LBB66_1734:
	s_and_b64 vcc, exec, s[22:23]
	s_cbranch_vccz .LBB66_1738
; %bb.1735:
	v_mov_b32_e32 v2, 44
	v_cmp_eq_u16_sdwa s[0:1], v8, v2 src0_sel:BYTE_0 src1_sel:DWORD
	s_and_b64 vcc, exec, s[0:1]
	s_cbranch_vccz .LBB66_1737
; %bb.1736:
	global_load_ubyte v2, v[0:1], off
	s_movk_i32 s15, 0xff
	v_mov_b32_e32 v3, 0x7f800001
	v_mov_b32_e32 v7, 0x400000
	s_mov_b64 s[0:1], 0
	s_mov_b64 s[20:21], -1
	s_waitcnt vmcnt(0)
	v_lshlrev_b32_e32 v12, 23, v2
	v_cmp_ne_u32_e32 vcc, s15, v2
	v_cndmask_b32_e32 v3, v3, v12, vcc
	v_cmp_ne_u32_e32 vcc, 0, v2
	v_cndmask_b32_e32 v2, v7, v3, vcc
	s_branch .LBB66_1738
.LBB66_1737:
	s_mov_b64 s[0:1], -1
                                        ; implicit-def: $vgpr2
.LBB66_1738:
	s_mov_b64 s[22:23], 0
.LBB66_1739:
	s_and_b64 vcc, exec, s[22:23]
	s_cbranch_vccz .LBB66_1743
; %bb.1740:
	v_mov_b32_e32 v2, 29
	v_cmp_eq_u16_sdwa s[0:1], v8, v2 src0_sel:BYTE_0 src1_sel:DWORD
	s_and_b64 vcc, exec, s[0:1]
	s_cbranch_vccz .LBB66_1742
; %bb.1741:
	global_load_dwordx2 v[2:3], v[0:1], off
	s_mov_b64 s[0:1], 0
	s_mov_b64 s[20:21], -1
	s_mov_b64 s[22:23], 0
	s_waitcnt vmcnt(0)
	v_ffbh_u32_e32 v7, v3
	v_min_u32_e32 v7, 32, v7
	v_lshlrev_b64 v[2:3], v7, v[2:3]
	v_min_u32_e32 v2, 1, v2
	v_or_b32_e32 v2, v3, v2
	v_cvt_f32_u32_e32 v2, v2
	v_sub_u32_e32 v3, 32, v7
	v_ldexp_f32 v2, v2, v3
	s_branch .LBB66_1744
.LBB66_1742:
	s_mov_b64 s[0:1], -1
                                        ; implicit-def: $vgpr2
.LBB66_1743:
	s_mov_b64 s[22:23], 0
.LBB66_1744:
	s_and_b64 vcc, exec, s[22:23]
	s_cbranch_vccz .LBB66_1762
; %bb.1745:
	v_mov_b32_e32 v2, 27
	v_cmp_lt_i16_sdwa s[20:21], v8, v2 src0_sel:BYTE_0 src1_sel:DWORD
	s_and_b64 vcc, exec, s[20:21]
	s_cbranch_vccnz .LBB66_1748
; %bb.1746:
	v_cmp_gt_i16_sdwa s[20:21], v8, v2 src0_sel:BYTE_0 src1_sel:DWORD
	s_and_b64 vcc, exec, s[20:21]
	s_cbranch_vccz .LBB66_1749
; %bb.1747:
	global_load_dword v2, v[0:1], off
	s_mov_b64 s[20:21], 0
	s_waitcnt vmcnt(0)
	v_cvt_f32_u32_e32 v2, v2
	s_branch .LBB66_1750
.LBB66_1748:
	s_mov_b64 s[20:21], -1
                                        ; implicit-def: $vgpr2
	s_branch .LBB66_1753
.LBB66_1749:
	s_mov_b64 s[20:21], -1
                                        ; implicit-def: $vgpr2
.LBB66_1750:
	s_andn2_b64 vcc, exec, s[20:21]
	s_cbranch_vccnz .LBB66_1752
; %bb.1751:
	global_load_ushort v2, v[0:1], off
	s_waitcnt vmcnt(0)
	v_cvt_f32_u32_e32 v2, v2
.LBB66_1752:
	s_mov_b64 s[20:21], 0
.LBB66_1753:
	s_andn2_b64 vcc, exec, s[20:21]
	s_cbranch_vccnz .LBB66_1761
; %bb.1754:
	global_load_ubyte v3, v[0:1], off
	s_movk_i32 s15, 0x7f
	s_mov_b64 s[20:21], 0
	s_waitcnt vmcnt(0)
	v_cmp_lt_i16_e32 vcc, s15, v3
                                        ; implicit-def: $sgpr15
	s_and_saveexec_b64 s[22:23], vcc
	s_xor_b64 s[22:23], exec, s[22:23]
	s_cbranch_execz .LBB66_1774
; %bb.1755:
	s_movk_i32 s15, 0x80
	v_cmp_eq_u16_e32 vcc, s15, v3
	s_mov_b64 s[20:21], -1
                                        ; implicit-def: $sgpr15
	s_and_saveexec_b64 s[24:25], vcc
; %bb.1756:
	s_mov_b32 s15, 0x7f800001
	s_xor_b64 s[20:21], exec, -1
; %bb.1757:
	s_or_b64 exec, exec, s[24:25]
	s_and_b64 s[20:21], s[20:21], exec
	s_or_saveexec_b64 s[22:23], s[22:23]
	v_mov_b32_e32 v2, s15
	s_xor_b64 exec, exec, s[22:23]
	s_cbranch_execnz .LBB66_1775
.LBB66_1758:
	s_or_b64 exec, exec, s[22:23]
	s_and_saveexec_b64 s[22:23], s[20:21]
	s_cbranch_execz .LBB66_1760
.LBB66_1759:
	v_lshlrev_b32_e32 v2, 24, v3
	v_and_b32_e32 v3, 0xffff, v3
	v_and_b32_e32 v7, 7, v3
	v_ffbh_u32_e32 v13, v7
	v_min_u32_e32 v13, 32, v13
	v_subrev_u32_e32 v14, 28, v13
	v_bfe_u32 v12, v3, 3, 4
	v_lshlrev_b32_e32 v3, v14, v3
	v_sub_u32_e32 v13, 29, v13
	v_and_b32_e32 v3, 7, v3
	v_cmp_eq_u32_e32 vcc, 0, v12
	v_cndmask_b32_e32 v12, v12, v13, vcc
	v_cndmask_b32_e32 v3, v7, v3, vcc
	v_mov_b32_e32 v7, 0x3b800000
	v_lshlrev_b32_e32 v3, 20, v3
	v_and_b32_e32 v2, 0x80000000, v2
	v_lshl_add_u32 v7, v12, 23, v7
	v_or3_b32 v2, v2, v7, v3
.LBB66_1760:
	s_or_b64 exec, exec, s[22:23]
.LBB66_1761:
	s_mov_b64 s[20:21], -1
.LBB66_1762:
	s_branch .LBB66_1795
.LBB66_1763:
	v_mov_b32_e32 v2, 22
	v_cmp_gt_i16_sdwa s[16:17], v8, v2 src0_sel:BYTE_0 src1_sel:DWORD
	s_and_b64 vcc, exec, s[16:17]
	s_cbranch_vccz .LBB66_1773
; %bb.1764:
	v_mov_b32_e32 v2, 24
	v_cmp_lt_i16_sdwa s[16:17], v8, v2 src0_sel:BYTE_0 src1_sel:DWORD
	s_and_b64 vcc, exec, s[16:17]
	s_cbranch_vccnz .LBB66_1776
; %bb.1765:
	v_cmp_gt_i16_sdwa s[16:17], v8, v2 src0_sel:BYTE_0 src1_sel:DWORD
	s_and_b64 vcc, exec, s[16:17]
	s_cbranch_vccz .LBB66_1777
; %bb.1766:
	global_load_ubyte v3, v[0:1], off
	s_movk_i32 s15, 0x7f
	s_mov_b64 s[16:17], 0
	s_waitcnt vmcnt(0)
	v_cmp_lt_i16_e32 vcc, s15, v3
                                        ; implicit-def: $sgpr15
	s_and_saveexec_b64 s[20:21], vcc
	s_xor_b64 s[20:21], exec, s[20:21]
	s_cbranch_execz .LBB66_1789
; %bb.1767:
	s_movk_i32 s15, 0x80
	v_cmp_eq_u16_e32 vcc, s15, v3
	s_mov_b64 s[16:17], -1
                                        ; implicit-def: $sgpr15
	s_and_saveexec_b64 s[22:23], vcc
; %bb.1768:
	s_mov_b32 s15, 0x7f800001
	s_xor_b64 s[16:17], exec, -1
; %bb.1769:
	s_or_b64 exec, exec, s[22:23]
	s_and_b64 s[16:17], s[16:17], exec
	s_or_saveexec_b64 s[20:21], s[20:21]
	v_mov_b32_e32 v2, s15
	s_xor_b64 exec, exec, s[20:21]
	s_cbranch_execnz .LBB66_1790
.LBB66_1770:
	s_or_b64 exec, exec, s[20:21]
	s_and_saveexec_b64 s[20:21], s[16:17]
	s_cbranch_execz .LBB66_1772
.LBB66_1771:
	v_lshlrev_b32_e32 v2, 24, v3
	v_and_b32_e32 v3, 0xffff, v3
	v_and_b32_e32 v7, 3, v3
	v_ffbh_u32_e32 v13, v7
	v_min_u32_e32 v13, 32, v13
	v_subrev_u32_e32 v14, 29, v13
	v_bfe_u32 v12, v3, 2, 5
	v_lshlrev_b32_e32 v3, v14, v3
	v_sub_u32_e32 v13, 30, v13
	v_and_b32_e32 v3, 3, v3
	v_cmp_eq_u32_e32 vcc, 0, v12
	v_cndmask_b32_e32 v12, v12, v13, vcc
	v_cndmask_b32_e32 v3, v7, v3, vcc
	v_mov_b32_e32 v7, 0x37800000
	v_lshlrev_b32_e32 v3, 21, v3
	v_and_b32_e32 v2, 0x80000000, v2
	v_lshl_add_u32 v7, v12, 23, v7
	v_or3_b32 v2, v2, v7, v3
.LBB66_1772:
	s_or_b64 exec, exec, s[20:21]
	s_mov_b64 s[16:17], 0
	s_branch .LBB66_1778
.LBB66_1773:
	s_mov_b64 s[16:17], -1
                                        ; implicit-def: $vgpr2
	s_branch .LBB66_1784
.LBB66_1774:
	s_or_saveexec_b64 s[22:23], s[22:23]
	v_mov_b32_e32 v2, s15
	s_xor_b64 exec, exec, s[22:23]
	s_cbranch_execz .LBB66_1758
.LBB66_1775:
	v_cmp_ne_u16_e32 vcc, 0, v3
	s_andn2_b64 s[20:21], s[20:21], exec
	s_and_b64 s[24:25], vcc, exec
	v_mov_b32_e32 v2, 0
	s_or_b64 s[20:21], s[20:21], s[24:25]
	s_or_b64 exec, exec, s[22:23]
	s_and_saveexec_b64 s[22:23], s[20:21]
	s_cbranch_execnz .LBB66_1759
	s_branch .LBB66_1760
.LBB66_1776:
	s_mov_b64 s[16:17], -1
                                        ; implicit-def: $vgpr2
	s_branch .LBB66_1781
.LBB66_1777:
	s_mov_b64 s[16:17], -1
                                        ; implicit-def: $vgpr2
.LBB66_1778:
	s_and_b64 vcc, exec, s[16:17]
	s_cbranch_vccz .LBB66_1780
; %bb.1779:
	global_load_ubyte v2, v[0:1], off
	s_mov_b32 s15, 0x7f800000
	s_waitcnt vmcnt(0)
	v_lshlrev_b32_e32 v2, 24, v2
	v_and_b32_e32 v3, 0x7f000000, v2
	v_ffbh_u32_e32 v7, v3
	v_min_u32_e32 v7, 32, v7
	v_sub_u32_e64 v7, v7, 4 clamp
	v_lshlrev_b32_e32 v13, v7, v3
	v_lshlrev_b32_e32 v7, 23, v7
	v_lshrrev_b32_e32 v13, 4, v13
	v_add_u32_e32 v12, 0x1000000, v3
	v_sub_u32_e32 v7, v13, v7
	v_ashrrev_i32_e32 v12, 8, v12
	v_add_u32_e32 v7, 0x3c000000, v7
	v_and_or_b32 v7, v12, s15, v7
	v_cmp_ne_u32_e32 vcc, 0, v3
	v_cndmask_b32_e32 v3, 0, v7, vcc
	s_brev_b32 s15, 1
	v_and_or_b32 v2, v2, s15, v3
.LBB66_1780:
	s_mov_b64 s[16:17], 0
.LBB66_1781:
	s_andn2_b64 vcc, exec, s[16:17]
	s_cbranch_vccnz .LBB66_1783
; %bb.1782:
	global_load_ubyte v2, v[0:1], off
	s_movk_i32 s15, 0x7f00
	s_brev_b32 s16, 16
	s_waitcnt vmcnt(0)
	v_lshlrev_b16_e32 v3, 8, v2
	v_lshlrev_b32_e32 v2, 25, v2
	v_lshrrev_b32_e32 v7, 4, v2
	v_and_or_b32 v12, v3, s15, 0.5
	v_or_b32_e32 v7, 0x70000000, v7
	v_add_f32_e32 v12, -0.5, v12
	v_mul_f32_e32 v7, 0x7800000, v7
	v_cmp_gt_u32_e32 vcc, s16, v2
	v_bfe_i32 v3, v3, 0, 16
	v_cndmask_b32_e32 v2, v7, v12, vcc
	s_brev_b32 s15, 1
	v_and_or_b32 v2, v3, s15, v2
.LBB66_1783:
	s_mov_b64 s[16:17], 0
	s_mov_b64 s[20:21], -1
.LBB66_1784:
	s_andn2_b64 vcc, exec, s[16:17]
	s_mov_b64 s[16:17], 0
	s_cbranch_vccnz .LBB66_1795
; %bb.1785:
	v_mov_b32_e32 v2, 14
	v_cmp_gt_i16_sdwa s[16:17], v8, v2 src0_sel:BYTE_0 src1_sel:DWORD
	s_and_b64 vcc, exec, s[16:17]
	s_cbranch_vccz .LBB66_1788
; %bb.1786:
	v_mov_b32_e32 v2, 15
	v_cmp_eq_u16_sdwa s[0:1], v8, v2 src0_sel:BYTE_0 src1_sel:DWORD
	s_and_b64 vcc, exec, s[0:1]
	s_cbranch_vccz .LBB66_1791
; %bb.1787:
	global_load_ushort v2, v[0:1], off
	s_mov_b64 s[0:1], 0
	s_mov_b64 s[20:21], -1
	s_waitcnt vmcnt(0)
	v_lshlrev_b32_e32 v2, 16, v2
	s_branch .LBB66_1792
.LBB66_1788:
	s_mov_b64 s[22:23], -1
                                        ; implicit-def: $vgpr2
	s_branch .LBB66_1793
.LBB66_1789:
	s_or_saveexec_b64 s[20:21], s[20:21]
	v_mov_b32_e32 v2, s15
	s_xor_b64 exec, exec, s[20:21]
	s_cbranch_execz .LBB66_1770
.LBB66_1790:
	v_cmp_ne_u16_e32 vcc, 0, v3
	s_andn2_b64 s[16:17], s[16:17], exec
	s_and_b64 s[22:23], vcc, exec
	v_mov_b32_e32 v2, 0
	s_or_b64 s[16:17], s[16:17], s[22:23]
	s_or_b64 exec, exec, s[20:21]
	s_and_saveexec_b64 s[20:21], s[16:17]
	s_cbranch_execnz .LBB66_1771
	s_branch .LBB66_1772
.LBB66_1791:
	s_mov_b64 s[0:1], -1
                                        ; implicit-def: $vgpr2
.LBB66_1792:
	s_mov_b64 s[22:23], 0
.LBB66_1793:
	s_mov_b64 s[16:17], 0
	s_and_b64 vcc, exec, s[22:23]
	s_cbranch_vccz .LBB66_1795
; %bb.1794:
	v_mov_b32_e32 v2, 11
	v_cmp_ne_u16_sdwa s[0:1], v8, v2 src0_sel:BYTE_0 src1_sel:DWORD
	s_mov_b64 s[16:17], -1
                                        ; implicit-def: $vgpr2
.LBB66_1795:
	s_and_b64 vcc, exec, s[0:1]
	s_cbranch_vccnz .LBB66_1870
; %bb.1796:
	s_andn2_b64 vcc, exec, s[16:17]
	s_cbranch_vccnz .LBB66_1798
.LBB66_1797:
	global_load_ubyte v2, v[0:1], off
	s_mov_b64 s[20:21], -1
	s_waitcnt vmcnt(0)
	v_cmp_ne_u16_e32 vcc, 0, v2
	v_cndmask_b32_e64 v2, 0, 1.0, vcc
.LBB66_1798:
	s_branch .LBB66_1725
.LBB66_1799:
	v_mov_b32_e32 v2, 5
	v_cmp_lt_i16_sdwa s[0:1], v8, v2 src0_sel:BYTE_0 src1_sel:DWORD
	s_and_b64 vcc, exec, s[0:1]
	s_cbranch_vccnz .LBB66_1804
; %bb.1800:
	v_mov_b32_e32 v2, 8
	v_cmp_lt_i16_sdwa s[0:1], v8, v2 src0_sel:BYTE_0 src1_sel:DWORD
	s_and_b64 vcc, exec, s[0:1]
	s_cbranch_vccnz .LBB66_1805
; %bb.1801:
	;; [unrolled: 5-line block ×3, first 2 shown]
	v_cmp_gt_i16_sdwa s[0:1], v8, v2 src0_sel:BYTE_0 src1_sel:DWORD
	s_and_b64 vcc, exec, s[0:1]
	s_cbranch_vccz .LBB66_1807
; %bb.1803:
	global_load_dwordx2 v[2:3], v[0:1], off
	s_mov_b64 s[0:1], 0
	s_waitcnt vmcnt(0)
	v_cvt_f32_f64_e32 v2, v[2:3]
	s_branch .LBB66_1808
.LBB66_1804:
                                        ; implicit-def: $vgpr2
	s_branch .LBB66_1826
.LBB66_1805:
	s_mov_b64 s[0:1], -1
                                        ; implicit-def: $vgpr2
	s_branch .LBB66_1814
.LBB66_1806:
	s_mov_b64 s[0:1], -1
                                        ; implicit-def: $vgpr2
	s_branch .LBB66_1811
.LBB66_1807:
	s_mov_b64 s[0:1], -1
                                        ; implicit-def: $vgpr2
.LBB66_1808:
	s_andn2_b64 vcc, exec, s[0:1]
	s_cbranch_vccnz .LBB66_1810
; %bb.1809:
	global_load_dword v2, v[0:1], off
.LBB66_1810:
	s_mov_b64 s[0:1], 0
.LBB66_1811:
	s_andn2_b64 vcc, exec, s[0:1]
	s_cbranch_vccnz .LBB66_1813
; %bb.1812:
	global_load_dword v2, v[0:1], off
	s_waitcnt vmcnt(0)
	v_cvt_f32_f16_e32 v2, v2
.LBB66_1813:
	s_mov_b64 s[0:1], 0
.LBB66_1814:
	s_andn2_b64 vcc, exec, s[0:1]
	s_cbranch_vccnz .LBB66_1825
; %bb.1815:
	s_waitcnt vmcnt(0)
	v_mov_b32_e32 v2, 6
	v_cmp_lt_i16_sdwa s[0:1], v8, v2 src0_sel:BYTE_0 src1_sel:DWORD
	s_and_b64 vcc, exec, s[0:1]
	s_cbranch_vccnz .LBB66_1818
; %bb.1816:
	v_cmp_gt_i16_sdwa s[0:1], v8, v2 src0_sel:BYTE_0 src1_sel:DWORD
	s_and_b64 vcc, exec, s[0:1]
	s_cbranch_vccz .LBB66_1819
; %bb.1817:
	global_load_dwordx2 v[2:3], v[0:1], off
	s_mov_b64 s[0:1], 0
	s_waitcnt vmcnt(0)
	v_cvt_f32_f64_e32 v2, v[2:3]
	s_branch .LBB66_1820
.LBB66_1818:
	s_mov_b64 s[0:1], -1
                                        ; implicit-def: $vgpr2
	s_branch .LBB66_1823
.LBB66_1819:
	s_mov_b64 s[0:1], -1
                                        ; implicit-def: $vgpr2
.LBB66_1820:
	s_andn2_b64 vcc, exec, s[0:1]
	s_cbranch_vccnz .LBB66_1822
; %bb.1821:
	global_load_dword v2, v[0:1], off
.LBB66_1822:
	s_mov_b64 s[0:1], 0
.LBB66_1823:
	s_andn2_b64 vcc, exec, s[0:1]
	s_cbranch_vccnz .LBB66_1825
; %bb.1824:
	global_load_ushort v2, v[0:1], off
	s_waitcnt vmcnt(0)
	v_cvt_f32_f16_e32 v2, v2
.LBB66_1825:
	s_cbranch_execnz .LBB66_1845
.LBB66_1826:
	s_waitcnt vmcnt(0)
	v_mov_b32_e32 v2, 2
	v_cmp_lt_i16_sdwa s[0:1], v8, v2 src0_sel:BYTE_0 src1_sel:DWORD
	s_and_b64 vcc, exec, s[0:1]
	s_cbranch_vccnz .LBB66_1830
; %bb.1827:
	v_mov_b32_e32 v2, 3
	v_cmp_lt_i16_sdwa s[0:1], v8, v2 src0_sel:BYTE_0 src1_sel:DWORD
	s_and_b64 vcc, exec, s[0:1]
	s_cbranch_vccnz .LBB66_1831
; %bb.1828:
	v_cmp_gt_i16_sdwa s[0:1], v8, v2 src0_sel:BYTE_0 src1_sel:DWORD
	s_and_b64 vcc, exec, s[0:1]
	s_cbranch_vccz .LBB66_1832
; %bb.1829:
	global_load_dwordx2 v[2:3], v[0:1], off
	s_mov_b64 s[0:1], 0
	s_waitcnt vmcnt(0)
	v_xor_b32_e32 v12, v2, v3
	v_ffbh_i32_e32 v7, v3
	v_ashrrev_i32_e32 v12, 31, v12
	v_add_u32_e32 v7, -1, v7
	v_add_u32_e32 v12, 32, v12
	v_min_u32_e32 v7, v7, v12
	v_lshlrev_b64 v[2:3], v7, v[2:3]
	v_min_u32_e32 v2, 1, v2
	v_or_b32_e32 v2, v3, v2
	v_cvt_f32_i32_e32 v2, v2
	v_sub_u32_e32 v3, 32, v7
	v_ldexp_f32 v2, v2, v3
	s_branch .LBB66_1833
.LBB66_1830:
	s_mov_b64 s[0:1], -1
                                        ; implicit-def: $vgpr2
	s_branch .LBB66_1839
.LBB66_1831:
	s_mov_b64 s[0:1], -1
                                        ; implicit-def: $vgpr2
	s_branch .LBB66_1836
.LBB66_1832:
	s_mov_b64 s[0:1], -1
                                        ; implicit-def: $vgpr2
.LBB66_1833:
	s_andn2_b64 vcc, exec, s[0:1]
	s_cbranch_vccnz .LBB66_1835
; %bb.1834:
	global_load_dword v2, v[0:1], off
	s_waitcnt vmcnt(0)
	v_cvt_f32_i32_e32 v2, v2
.LBB66_1835:
	s_mov_b64 s[0:1], 0
.LBB66_1836:
	s_andn2_b64 vcc, exec, s[0:1]
	s_cbranch_vccnz .LBB66_1838
; %bb.1837:
	global_load_sshort v2, v[0:1], off
	s_waitcnt vmcnt(0)
	v_cvt_f32_i32_e32 v2, v2
.LBB66_1838:
	s_mov_b64 s[0:1], 0
.LBB66_1839:
	s_andn2_b64 vcc, exec, s[0:1]
	s_cbranch_vccnz .LBB66_1845
; %bb.1840:
	v_mov_b32_e32 v2, 0
	v_cmp_gt_i16_sdwa s[0:1], v8, v2 src0_sel:BYTE_0 src1_sel:DWORD
	s_and_b64 vcc, exec, s[0:1]
	s_cbranch_vccz .LBB66_1842
; %bb.1841:
	global_load_sbyte v2, v[0:1], off
	s_mov_b64 s[0:1], 0
	s_waitcnt vmcnt(0)
	v_cvt_f32_i32_e32 v2, v2
	s_branch .LBB66_1843
.LBB66_1842:
	s_mov_b64 s[0:1], -1
                                        ; implicit-def: $vgpr2
.LBB66_1843:
	s_andn2_b64 vcc, exec, s[0:1]
	s_cbranch_vccnz .LBB66_1845
; %bb.1844:
	global_load_ubyte v0, v[0:1], off
	s_waitcnt vmcnt(0)
	v_cvt_f32_ubyte0_e32 v2, v0
.LBB66_1845:
.LBB66_1846:
	s_waitcnt vmcnt(0)
	v_trunc_f32_e32 v0, v2
	s_mov_b32 s0, 0x2f800000
	v_mul_f32_e64 v1, |v0|, s0
	v_floor_f32_e32 v1, v1
	s_mov_b32 s0, 0xcf800000
	v_cvt_u32_f32_e32 v2, v1
	v_fma_f32 v1, v1, s0, |v0|
	v_cvt_u32_f32_e32 v1, v1
	v_ashrrev_i32_e32 v0, 31, v0
	v_xor_b32_e32 v3, v2, v0
	v_xor_b32_e32 v1, v1, v0
	v_sub_co_u32_e32 v2, vcc, v1, v0
	v_subb_co_u32_e32 v3, vcc, v3, v0, vcc
	v_cmp_lt_i64_e32 vcc, -1, v[2:3]
	v_mov_b32_e32 v0, 0
	s_and_saveexec_b64 s[0:1], vcc
	s_cbranch_execz .LBB66_1858
; %bb.1847:
	v_cmp_lt_i64_e32 vcc, 0, v[2:3]
	v_mov_b32_e32 v0, 1.0
	s_and_saveexec_b64 s[16:17], vcc
	s_cbranch_execz .LBB66_1857
; %bb.1848:
	v_cmp_ne_u64_e32 vcc, 1, v[2:3]
                                        ; implicit-def: $vgpr0
	s_and_saveexec_b64 s[20:21], vcc
	s_xor_b64 s[20:21], exec, s[20:21]
	s_cbranch_execz .LBB66_1854
; %bb.1849:
	s_mov_b64 s[22:23], 0x81
	v_cmp_gt_u64_e32 vcc, s[22:23], v[2:3]
	v_mov_b32_e32 v0, 0x7fc00000
	s_and_saveexec_b64 s[22:23], vcc
	s_cbranch_execz .LBB66_1853
; %bb.1850:
	s_mov_b64 s[26:27], 1
	s_mov_b64 s[24:25], 0
	v_mov_b32_e32 v1, 1.0
	v_mov_b32_e32 v0, v6
.LBB66_1851:                            ; =>This Inner Loop Header: Depth=1
	s_flbit_i32_b32 s15, s27
	s_min_u32 s15, s15, 32
	s_lshl_b64 s[28:29], s[26:27], s15
	s_min_u32 s28, s28, 1
	s_or_b32 s28, s29, s28
	v_cvt_f32_u32_e32 v7, s28
	s_sub_i32 s15, 32, s15
	s_add_u32 s26, s26, 1
	s_addc_u32 s27, s27, 0
	v_ldexp_f32 v7, v7, s15
	v_cmp_eq_u64_e32 vcc, s[26:27], v[2:3]
	v_mul_f32_e32 v7, v1, v7
	s_or_b64 s[24:25], vcc, s[24:25]
	v_mov_b32_e32 v1, v0
	v_fma_f32 v0, v6, v0, -v7
	s_andn2_b64 exec, exec, s[24:25]
	s_cbranch_execnz .LBB66_1851
; %bb.1852:
	s_or_b64 exec, exec, s[24:25]
.LBB66_1853:
	s_or_b64 exec, exec, s[22:23]
                                        ; implicit-def: $vgpr6
.LBB66_1854:
	s_andn2_saveexec_b64 s[20:21], s[20:21]
; %bb.1855:
	v_mov_b32_e32 v0, v6
; %bb.1856:
	s_or_b64 exec, exec, s[20:21]
.LBB66_1857:
	s_or_b64 exec, exec, s[16:17]
.LBB66_1858:
	s_or_b64 exec, exec, s[0:1]
	s_lshl_b32 s13, s13, 7
	v_add_u32_e32 v1, s13, v5
	v_ashrrev_i32_e32 v3, 31, v1
	v_mov_b32_e32 v5, s11
	v_add_co_u32_e32 v2, vcc, s10, v1
	v_addc_co_u32_e32 v3, vcc, v5, v3, vcc
	v_mov_b32_e32 v5, 11
	v_cmp_lt_i16_sdwa s[0:1], v9, v5 src0_sel:BYTE_0 src1_sel:DWORD
	s_and_b64 vcc, exec, s[0:1]
	s_cbranch_vccnz .LBB66_1865
; %bb.1859:
	v_mov_b32_e32 v5, 25
	v_cmp_gt_i16_sdwa s[0:1], v9, v5 src0_sel:BYTE_0 src1_sel:DWORD
	s_mov_b64 s[16:17], 0
	s_and_b64 vcc, exec, s[0:1]
	s_cbranch_vccz .LBB66_1867
; %bb.1860:
	v_mov_b32_e32 v5, 28
	v_cmp_gt_i16_sdwa s[0:1], v9, v5 src0_sel:BYTE_0 src1_sel:DWORD
	s_and_b64 vcc, exec, s[0:1]
	s_cbranch_vccz .LBB66_1868
; %bb.1861:
	v_mov_b32_e32 v5, 43
	v_cmp_gt_i16_sdwa s[0:1], v9, v5 src0_sel:BYTE_0 src1_sel:DWORD
	;; [unrolled: 5-line block ×3, first 2 shown]
	s_and_b64 vcc, exec, s[0:1]
	s_cbranch_vccz .LBB66_1871
; %bb.1863:
	v_mov_b32_e32 v5, 46
	v_cmp_eq_u16_sdwa s[0:1], v9, v5 src0_sel:BYTE_0 src1_sel:DWORD
	s_mov_b64 s[22:23], 0
	s_and_b64 vcc, exec, s[0:1]
	s_cbranch_vccz .LBB66_1872
; %bb.1864:
	global_load_dword v5, v[2:3], off
	s_mov_b64 s[0:1], 0
	s_mov_b64 s[20:21], -1
	s_waitcnt vmcnt(0)
	v_lshlrev_b32_e32 v7, 16, v5
	s_branch .LBB66_1873
.LBB66_1865:
	s_mov_b64 s[20:21], 0
                                        ; implicit-def: $vgpr7
	s_cbranch_execnz .LBB66_1939
.LBB66_1866:
	s_andn2_b64 vcc, exec, s[20:21]
	s_cbranch_vccnz .LBB66_2682
	s_branch .LBB66_1987
.LBB66_1867:
	s_mov_b64 s[22:23], -1
	s_mov_b64 s[20:21], 0
	s_mov_b64 s[0:1], 0
                                        ; implicit-def: $vgpr7
	s_branch .LBB66_1902
.LBB66_1868:
	s_mov_b64 s[22:23], -1
	s_mov_b64 s[20:21], 0
	s_mov_b64 s[0:1], 0
                                        ; implicit-def: $vgpr7
	s_branch .LBB66_1883
.LBB66_1869:
	s_mov_b64 s[22:23], -1
	s_mov_b64 s[20:21], 0
	s_mov_b64 s[0:1], 0
                                        ; implicit-def: $vgpr7
	s_branch .LBB66_1878
.LBB66_1870:
	s_trap 2
	s_or_b64 s[18:19], s[18:19], exec
                                        ; implicit-def: $vgpr2
	s_cbranch_execz .LBB66_1797
	s_branch .LBB66_1798
.LBB66_1871:
	s_mov_b64 s[22:23], -1
	s_mov_b64 s[20:21], 0
	s_mov_b64 s[0:1], 0
                                        ; implicit-def: $vgpr7
	s_branch .LBB66_1873
.LBB66_1872:
	s_mov_b64 s[0:1], -1
                                        ; implicit-def: $vgpr7
	s_mov_b64 s[20:21], 0
.LBB66_1873:
	s_and_b64 vcc, exec, s[22:23]
	s_cbranch_vccz .LBB66_1877
; %bb.1874:
	v_mov_b32_e32 v5, 44
	v_cmp_eq_u16_sdwa s[0:1], v9, v5 src0_sel:BYTE_0 src1_sel:DWORD
	s_and_b64 vcc, exec, s[0:1]
	s_cbranch_vccz .LBB66_1876
; %bb.1875:
	global_load_ubyte v5, v[2:3], off
	s_movk_i32 s15, 0xff
	v_mov_b32_e32 v6, 0x7f800001
	v_mov_b32_e32 v7, 0x400000
	s_mov_b64 s[0:1], 0
	s_mov_b64 s[20:21], -1
	s_waitcnt vmcnt(0)
	v_lshlrev_b32_e32 v12, 23, v5
	v_cmp_ne_u32_e32 vcc, s15, v5
	v_cndmask_b32_e32 v6, v6, v12, vcc
	v_cmp_ne_u32_e32 vcc, 0, v5
	v_cndmask_b32_e32 v7, v7, v6, vcc
	s_branch .LBB66_1877
.LBB66_1876:
	s_mov_b64 s[0:1], -1
                                        ; implicit-def: $vgpr7
.LBB66_1877:
	s_mov_b64 s[22:23], 0
.LBB66_1878:
	s_and_b64 vcc, exec, s[22:23]
	s_cbranch_vccz .LBB66_1882
; %bb.1879:
	v_mov_b32_e32 v5, 29
	v_cmp_eq_u16_sdwa s[0:1], v9, v5 src0_sel:BYTE_0 src1_sel:DWORD
	s_and_b64 vcc, exec, s[0:1]
	s_cbranch_vccz .LBB66_1881
; %bb.1880:
	global_load_dwordx2 v[6:7], v[2:3], off
	s_mov_b64 s[0:1], 0
	s_mov_b64 s[20:21], -1
	s_mov_b64 s[22:23], 0
	s_waitcnt vmcnt(0)
	v_ffbh_u32_e32 v5, v7
	v_min_u32_e32 v5, 32, v5
	v_lshlrev_b64 v[6:7], v5, v[6:7]
	v_min_u32_e32 v6, 1, v6
	v_or_b32_e32 v6, v7, v6
	v_cvt_f32_u32_e32 v6, v6
	v_sub_u32_e32 v5, 32, v5
	v_ldexp_f32 v7, v6, v5
	s_branch .LBB66_1883
.LBB66_1881:
	s_mov_b64 s[0:1], -1
                                        ; implicit-def: $vgpr7
.LBB66_1882:
	s_mov_b64 s[22:23], 0
.LBB66_1883:
	s_and_b64 vcc, exec, s[22:23]
	s_cbranch_vccz .LBB66_1901
; %bb.1884:
	v_mov_b32_e32 v5, 27
	v_cmp_lt_i16_sdwa s[20:21], v9, v5 src0_sel:BYTE_0 src1_sel:DWORD
	s_and_b64 vcc, exec, s[20:21]
	s_cbranch_vccnz .LBB66_1887
; %bb.1885:
	v_cmp_gt_i16_sdwa s[20:21], v9, v5 src0_sel:BYTE_0 src1_sel:DWORD
	s_and_b64 vcc, exec, s[20:21]
	s_cbranch_vccz .LBB66_1888
; %bb.1886:
	global_load_dword v5, v[2:3], off
	s_mov_b64 s[20:21], 0
	s_waitcnt vmcnt(0)
	v_cvt_f32_u32_e32 v7, v5
	s_branch .LBB66_1889
.LBB66_1887:
	s_mov_b64 s[20:21], -1
                                        ; implicit-def: $vgpr7
	s_branch .LBB66_1892
.LBB66_1888:
	s_mov_b64 s[20:21], -1
                                        ; implicit-def: $vgpr7
.LBB66_1889:
	s_andn2_b64 vcc, exec, s[20:21]
	s_cbranch_vccnz .LBB66_1891
; %bb.1890:
	global_load_ushort v5, v[2:3], off
	s_waitcnt vmcnt(0)
	v_cvt_f32_u32_e32 v7, v5
.LBB66_1891:
	s_mov_b64 s[20:21], 0
.LBB66_1892:
	s_andn2_b64 vcc, exec, s[20:21]
	s_cbranch_vccnz .LBB66_1900
; %bb.1893:
	global_load_ubyte v5, v[2:3], off
	s_movk_i32 s15, 0x7f
	s_mov_b64 s[20:21], 0
	s_waitcnt vmcnt(0)
	v_cmp_lt_i16_e32 vcc, s15, v5
                                        ; implicit-def: $sgpr15
	s_and_saveexec_b64 s[22:23], vcc
	s_xor_b64 s[22:23], exec, s[22:23]
	s_cbranch_execz .LBB66_1914
; %bb.1894:
	s_movk_i32 s15, 0x80
	v_cmp_eq_u16_e32 vcc, s15, v5
	s_mov_b64 s[20:21], -1
                                        ; implicit-def: $sgpr15
	s_and_saveexec_b64 s[24:25], vcc
; %bb.1895:
	s_mov_b32 s15, 0x7f800001
	s_xor_b64 s[20:21], exec, -1
; %bb.1896:
	s_or_b64 exec, exec, s[24:25]
	s_and_b64 s[20:21], s[20:21], exec
	s_or_saveexec_b64 s[22:23], s[22:23]
	v_mov_b32_e32 v7, s15
	s_xor_b64 exec, exec, s[22:23]
	s_cbranch_execnz .LBB66_1915
.LBB66_1897:
	s_or_b64 exec, exec, s[22:23]
	s_and_saveexec_b64 s[22:23], s[20:21]
	s_cbranch_execz .LBB66_1899
.LBB66_1898:
	v_lshlrev_b32_e32 v6, 24, v5
	v_and_b32_e32 v5, 0xffff, v5
	v_and_b32_e32 v7, 7, v5
	v_ffbh_u32_e32 v13, v7
	v_min_u32_e32 v13, 32, v13
	v_subrev_u32_e32 v14, 28, v13
	v_bfe_u32 v12, v5, 3, 4
	v_lshlrev_b32_e32 v5, v14, v5
	v_sub_u32_e32 v13, 29, v13
	v_and_b32_e32 v5, 7, v5
	v_cmp_eq_u32_e32 vcc, 0, v12
	v_cndmask_b32_e32 v12, v12, v13, vcc
	v_cndmask_b32_e32 v5, v7, v5, vcc
	v_mov_b32_e32 v7, 0x3b800000
	v_lshlrev_b32_e32 v5, 20, v5
	v_and_b32_e32 v6, 0x80000000, v6
	v_lshl_add_u32 v7, v12, 23, v7
	v_or3_b32 v7, v6, v7, v5
.LBB66_1899:
	s_or_b64 exec, exec, s[22:23]
.LBB66_1900:
	s_mov_b64 s[20:21], -1
.LBB66_1901:
	s_mov_b64 s[22:23], 0
.LBB66_1902:
	s_and_b64 vcc, exec, s[22:23]
	s_cbranch_vccz .LBB66_1935
; %bb.1903:
	v_mov_b32_e32 v5, 22
	v_cmp_gt_i16_sdwa s[16:17], v9, v5 src0_sel:BYTE_0 src1_sel:DWORD
	s_and_b64 vcc, exec, s[16:17]
	s_cbranch_vccz .LBB66_1913
; %bb.1904:
	v_mov_b32_e32 v5, 24
	v_cmp_lt_i16_sdwa s[16:17], v9, v5 src0_sel:BYTE_0 src1_sel:DWORD
	s_and_b64 vcc, exec, s[16:17]
	s_cbranch_vccnz .LBB66_1916
; %bb.1905:
	v_cmp_gt_i16_sdwa s[16:17], v9, v5 src0_sel:BYTE_0 src1_sel:DWORD
	s_and_b64 vcc, exec, s[16:17]
	s_cbranch_vccz .LBB66_1917
; %bb.1906:
	global_load_ubyte v5, v[2:3], off
	s_movk_i32 s15, 0x7f
	s_mov_b64 s[16:17], 0
	s_waitcnt vmcnt(0)
	v_cmp_lt_i16_e32 vcc, s15, v5
                                        ; implicit-def: $sgpr15
	s_and_saveexec_b64 s[20:21], vcc
	s_xor_b64 s[20:21], exec, s[20:21]
	s_cbranch_execz .LBB66_1929
; %bb.1907:
	s_movk_i32 s15, 0x80
	v_cmp_eq_u16_e32 vcc, s15, v5
	s_mov_b64 s[16:17], -1
                                        ; implicit-def: $sgpr15
	s_and_saveexec_b64 s[22:23], vcc
; %bb.1908:
	s_mov_b32 s15, 0x7f800001
	s_xor_b64 s[16:17], exec, -1
; %bb.1909:
	s_or_b64 exec, exec, s[22:23]
	s_and_b64 s[16:17], s[16:17], exec
	s_or_saveexec_b64 s[20:21], s[20:21]
	v_mov_b32_e32 v7, s15
	s_xor_b64 exec, exec, s[20:21]
	s_cbranch_execnz .LBB66_1930
.LBB66_1910:
	s_or_b64 exec, exec, s[20:21]
	s_and_saveexec_b64 s[20:21], s[16:17]
	s_cbranch_execz .LBB66_1912
.LBB66_1911:
	v_lshlrev_b32_e32 v6, 24, v5
	v_and_b32_e32 v5, 0xffff, v5
	v_and_b32_e32 v7, 3, v5
	v_ffbh_u32_e32 v13, v7
	v_min_u32_e32 v13, 32, v13
	v_subrev_u32_e32 v14, 29, v13
	v_bfe_u32 v12, v5, 2, 5
	v_lshlrev_b32_e32 v5, v14, v5
	v_sub_u32_e32 v13, 30, v13
	v_and_b32_e32 v5, 3, v5
	v_cmp_eq_u32_e32 vcc, 0, v12
	v_cndmask_b32_e32 v12, v12, v13, vcc
	v_cndmask_b32_e32 v5, v7, v5, vcc
	v_mov_b32_e32 v7, 0x37800000
	v_lshlrev_b32_e32 v5, 21, v5
	v_and_b32_e32 v6, 0x80000000, v6
	v_lshl_add_u32 v7, v12, 23, v7
	v_or3_b32 v7, v6, v7, v5
.LBB66_1912:
	s_or_b64 exec, exec, s[20:21]
	s_mov_b64 s[16:17], 0
	s_branch .LBB66_1918
.LBB66_1913:
	s_mov_b64 s[16:17], -1
                                        ; implicit-def: $vgpr7
	s_branch .LBB66_1924
.LBB66_1914:
	s_or_saveexec_b64 s[22:23], s[22:23]
	v_mov_b32_e32 v7, s15
	s_xor_b64 exec, exec, s[22:23]
	s_cbranch_execz .LBB66_1897
.LBB66_1915:
	v_cmp_ne_u16_e32 vcc, 0, v5
	s_andn2_b64 s[20:21], s[20:21], exec
	s_and_b64 s[24:25], vcc, exec
	v_mov_b32_e32 v7, 0
	s_or_b64 s[20:21], s[20:21], s[24:25]
	s_or_b64 exec, exec, s[22:23]
	s_and_saveexec_b64 s[22:23], s[20:21]
	s_cbranch_execnz .LBB66_1898
	s_branch .LBB66_1899
.LBB66_1916:
	s_mov_b64 s[16:17], -1
                                        ; implicit-def: $vgpr7
	s_branch .LBB66_1921
.LBB66_1917:
	s_mov_b64 s[16:17], -1
                                        ; implicit-def: $vgpr7
.LBB66_1918:
	s_and_b64 vcc, exec, s[16:17]
	s_cbranch_vccz .LBB66_1920
; %bb.1919:
	global_load_ubyte v5, v[2:3], off
	s_mov_b32 s15, 0x7f800000
	s_waitcnt vmcnt(0)
	v_lshlrev_b32_e32 v5, 24, v5
	v_and_b32_e32 v6, 0x7f000000, v5
	v_ffbh_u32_e32 v7, v6
	v_min_u32_e32 v7, 32, v7
	v_sub_u32_e64 v7, v7, 4 clamp
	v_lshlrev_b32_e32 v13, v7, v6
	v_lshlrev_b32_e32 v7, 23, v7
	v_lshrrev_b32_e32 v13, 4, v13
	v_add_u32_e32 v12, 0x1000000, v6
	v_sub_u32_e32 v7, v13, v7
	v_ashrrev_i32_e32 v12, 8, v12
	v_add_u32_e32 v7, 0x3c000000, v7
	v_and_or_b32 v7, v12, s15, v7
	v_cmp_ne_u32_e32 vcc, 0, v6
	v_cndmask_b32_e32 v6, 0, v7, vcc
	s_brev_b32 s15, 1
	v_and_or_b32 v7, v5, s15, v6
.LBB66_1920:
	s_mov_b64 s[16:17], 0
.LBB66_1921:
	s_andn2_b64 vcc, exec, s[16:17]
	s_cbranch_vccnz .LBB66_1923
; %bb.1922:
	global_load_ubyte v5, v[2:3], off
	s_movk_i32 s15, 0x7f00
	s_brev_b32 s16, 16
	s_waitcnt vmcnt(0)
	v_lshlrev_b16_e32 v6, 8, v5
	v_lshlrev_b32_e32 v5, 25, v5
	v_lshrrev_b32_e32 v7, 4, v5
	v_and_or_b32 v12, v6, s15, 0.5
	v_or_b32_e32 v7, 0x70000000, v7
	v_add_f32_e32 v12, -0.5, v12
	v_mul_f32_e32 v7, 0x7800000, v7
	v_cmp_gt_u32_e32 vcc, s16, v5
	v_bfe_i32 v6, v6, 0, 16
	v_cndmask_b32_e32 v5, v7, v12, vcc
	s_brev_b32 s15, 1
	v_and_or_b32 v7, v6, s15, v5
.LBB66_1923:
	s_mov_b64 s[16:17], 0
	s_mov_b64 s[20:21], -1
.LBB66_1924:
	s_andn2_b64 vcc, exec, s[16:17]
	s_mov_b64 s[16:17], 0
	s_cbranch_vccnz .LBB66_1935
; %bb.1925:
	v_mov_b32_e32 v5, 14
	v_cmp_gt_i16_sdwa s[16:17], v9, v5 src0_sel:BYTE_0 src1_sel:DWORD
	s_and_b64 vcc, exec, s[16:17]
	s_cbranch_vccz .LBB66_1928
; %bb.1926:
	v_mov_b32_e32 v5, 15
	v_cmp_eq_u16_sdwa s[0:1], v9, v5 src0_sel:BYTE_0 src1_sel:DWORD
	s_and_b64 vcc, exec, s[0:1]
	s_cbranch_vccz .LBB66_1931
; %bb.1927:
	global_load_ushort v5, v[2:3], off
	s_mov_b64 s[0:1], 0
	s_mov_b64 s[20:21], -1
	s_waitcnt vmcnt(0)
	v_lshlrev_b32_e32 v7, 16, v5
	s_branch .LBB66_1932
.LBB66_1928:
	s_mov_b64 s[22:23], -1
                                        ; implicit-def: $vgpr7
	s_branch .LBB66_1933
.LBB66_1929:
	s_or_saveexec_b64 s[20:21], s[20:21]
	v_mov_b32_e32 v7, s15
	s_xor_b64 exec, exec, s[20:21]
	s_cbranch_execz .LBB66_1910
.LBB66_1930:
	v_cmp_ne_u16_e32 vcc, 0, v5
	s_andn2_b64 s[16:17], s[16:17], exec
	s_and_b64 s[22:23], vcc, exec
	v_mov_b32_e32 v7, 0
	s_or_b64 s[16:17], s[16:17], s[22:23]
	s_or_b64 exec, exec, s[20:21]
	s_and_saveexec_b64 s[20:21], s[16:17]
	s_cbranch_execnz .LBB66_1911
	s_branch .LBB66_1912
.LBB66_1931:
	s_mov_b64 s[0:1], -1
                                        ; implicit-def: $vgpr7
.LBB66_1932:
	s_mov_b64 s[22:23], 0
.LBB66_1933:
	s_mov_b64 s[16:17], 0
	s_and_b64 vcc, exec, s[22:23]
	s_cbranch_vccz .LBB66_1935
; %bb.1934:
	v_mov_b32_e32 v5, 11
	v_cmp_ne_u16_sdwa s[0:1], v9, v5 src0_sel:BYTE_0 src1_sel:DWORD
	s_mov_b64 s[16:17], -1
                                        ; implicit-def: $vgpr7
.LBB66_1935:
	s_and_b64 vcc, exec, s[0:1]
	s_cbranch_vccnz .LBB66_1998
; %bb.1936:
	s_andn2_b64 vcc, exec, s[16:17]
	s_cbranch_vccnz .LBB66_1938
.LBB66_1937:
	global_load_ubyte v5, v[2:3], off
	s_mov_b64 s[20:21], -1
	s_waitcnt vmcnt(0)
	v_cmp_ne_u16_e32 vcc, 0, v5
	v_cndmask_b32_e64 v7, 0, 1.0, vcc
.LBB66_1938:
	s_branch .LBB66_1866
.LBB66_1939:
	v_mov_b32_e32 v5, 5
	v_cmp_lt_i16_sdwa s[0:1], v9, v5 src0_sel:BYTE_0 src1_sel:DWORD
	s_and_b64 vcc, exec, s[0:1]
	s_cbranch_vccnz .LBB66_1944
; %bb.1940:
	v_mov_b32_e32 v5, 8
	v_cmp_lt_i16_sdwa s[0:1], v9, v5 src0_sel:BYTE_0 src1_sel:DWORD
	s_and_b64 vcc, exec, s[0:1]
	s_cbranch_vccnz .LBB66_1945
; %bb.1941:
	;; [unrolled: 5-line block ×3, first 2 shown]
	v_cmp_gt_i16_sdwa s[0:1], v9, v5 src0_sel:BYTE_0 src1_sel:DWORD
	s_and_b64 vcc, exec, s[0:1]
	s_cbranch_vccz .LBB66_1947
; %bb.1943:
	global_load_dwordx2 v[6:7], v[2:3], off
	s_mov_b64 s[0:1], 0
	s_waitcnt vmcnt(0)
	v_cvt_f32_f64_e32 v7, v[6:7]
	s_branch .LBB66_1948
.LBB66_1944:
	s_mov_b64 s[0:1], -1
                                        ; implicit-def: $vgpr7
	s_branch .LBB66_1966
.LBB66_1945:
	s_mov_b64 s[0:1], -1
                                        ; implicit-def: $vgpr7
	s_branch .LBB66_1954
.LBB66_1946:
	s_mov_b64 s[0:1], -1
                                        ; implicit-def: $vgpr7
	s_branch .LBB66_1951
.LBB66_1947:
	s_mov_b64 s[0:1], -1
                                        ; implicit-def: $vgpr7
.LBB66_1948:
	s_andn2_b64 vcc, exec, s[0:1]
	s_cbranch_vccnz .LBB66_1950
; %bb.1949:
	global_load_dword v7, v[2:3], off
.LBB66_1950:
	s_mov_b64 s[0:1], 0
.LBB66_1951:
	s_andn2_b64 vcc, exec, s[0:1]
	s_cbranch_vccnz .LBB66_1953
; %bb.1952:
	global_load_dword v5, v[2:3], off
	s_waitcnt vmcnt(0)
	v_cvt_f32_f16_e32 v7, v5
.LBB66_1953:
	s_mov_b64 s[0:1], 0
.LBB66_1954:
	s_andn2_b64 vcc, exec, s[0:1]
	s_cbranch_vccnz .LBB66_1965
; %bb.1955:
	v_mov_b32_e32 v5, 6
	v_cmp_lt_i16_sdwa s[0:1], v9, v5 src0_sel:BYTE_0 src1_sel:DWORD
	s_and_b64 vcc, exec, s[0:1]
	s_cbranch_vccnz .LBB66_1958
; %bb.1956:
	v_cmp_gt_i16_sdwa s[0:1], v9, v5 src0_sel:BYTE_0 src1_sel:DWORD
	s_and_b64 vcc, exec, s[0:1]
	s_cbranch_vccz .LBB66_1959
; %bb.1957:
	global_load_dwordx2 v[6:7], v[2:3], off
	s_mov_b64 s[0:1], 0
	s_waitcnt vmcnt(0)
	v_cvt_f32_f64_e32 v7, v[6:7]
	s_branch .LBB66_1960
.LBB66_1958:
	s_mov_b64 s[0:1], -1
                                        ; implicit-def: $vgpr7
	s_branch .LBB66_1963
.LBB66_1959:
	s_mov_b64 s[0:1], -1
                                        ; implicit-def: $vgpr7
.LBB66_1960:
	s_andn2_b64 vcc, exec, s[0:1]
	s_cbranch_vccnz .LBB66_1962
; %bb.1961:
	global_load_dword v7, v[2:3], off
.LBB66_1962:
	s_mov_b64 s[0:1], 0
.LBB66_1963:
	s_andn2_b64 vcc, exec, s[0:1]
	s_cbranch_vccnz .LBB66_1965
; %bb.1964:
	global_load_ushort v5, v[2:3], off
	s_waitcnt vmcnt(0)
	v_cvt_f32_f16_e32 v7, v5
.LBB66_1965:
	s_mov_b64 s[0:1], 0
.LBB66_1966:
	s_andn2_b64 vcc, exec, s[0:1]
	s_cbranch_vccnz .LBB66_1986
; %bb.1967:
	v_mov_b32_e32 v5, 2
	v_cmp_lt_i16_sdwa s[0:1], v9, v5 src0_sel:BYTE_0 src1_sel:DWORD
	s_and_b64 vcc, exec, s[0:1]
	s_cbranch_vccnz .LBB66_1971
; %bb.1968:
	v_mov_b32_e32 v5, 3
	v_cmp_lt_i16_sdwa s[0:1], v9, v5 src0_sel:BYTE_0 src1_sel:DWORD
	s_and_b64 vcc, exec, s[0:1]
	s_cbranch_vccnz .LBB66_1972
; %bb.1969:
	v_cmp_gt_i16_sdwa s[0:1], v9, v5 src0_sel:BYTE_0 src1_sel:DWORD
	s_and_b64 vcc, exec, s[0:1]
	s_cbranch_vccz .LBB66_1973
; %bb.1970:
	global_load_dwordx2 v[6:7], v[2:3], off
	s_mov_b64 s[0:1], 0
	s_waitcnt vmcnt(0)
	v_xor_b32_e32 v12, v6, v7
	v_ffbh_i32_e32 v5, v7
	v_ashrrev_i32_e32 v12, 31, v12
	v_add_u32_e32 v5, -1, v5
	v_add_u32_e32 v12, 32, v12
	v_min_u32_e32 v5, v5, v12
	v_lshlrev_b64 v[6:7], v5, v[6:7]
	v_min_u32_e32 v6, 1, v6
	v_or_b32_e32 v6, v7, v6
	v_cvt_f32_i32_e32 v6, v6
	v_sub_u32_e32 v5, 32, v5
	v_ldexp_f32 v7, v6, v5
	s_branch .LBB66_1974
.LBB66_1971:
	s_mov_b64 s[0:1], -1
                                        ; implicit-def: $vgpr7
	s_branch .LBB66_1980
.LBB66_1972:
	s_mov_b64 s[0:1], -1
                                        ; implicit-def: $vgpr7
	s_branch .LBB66_1977
.LBB66_1973:
	s_mov_b64 s[0:1], -1
                                        ; implicit-def: $vgpr7
.LBB66_1974:
	s_andn2_b64 vcc, exec, s[0:1]
	s_cbranch_vccnz .LBB66_1976
; %bb.1975:
	global_load_dword v5, v[2:3], off
	s_waitcnt vmcnt(0)
	v_cvt_f32_i32_e32 v7, v5
.LBB66_1976:
	s_mov_b64 s[0:1], 0
.LBB66_1977:
	s_andn2_b64 vcc, exec, s[0:1]
	s_cbranch_vccnz .LBB66_1979
; %bb.1978:
	global_load_sshort v5, v[2:3], off
	s_waitcnt vmcnt(0)
	v_cvt_f32_i32_e32 v7, v5
.LBB66_1979:
	s_mov_b64 s[0:1], 0
.LBB66_1980:
	s_andn2_b64 vcc, exec, s[0:1]
	s_cbranch_vccnz .LBB66_1986
; %bb.1981:
	v_mov_b32_e32 v5, 0
	v_cmp_gt_i16_sdwa s[0:1], v9, v5 src0_sel:BYTE_0 src1_sel:DWORD
	s_and_b64 vcc, exec, s[0:1]
	s_cbranch_vccz .LBB66_1983
; %bb.1982:
	global_load_sbyte v5, v[2:3], off
	s_mov_b64 s[0:1], 0
	s_waitcnt vmcnt(0)
	v_cvt_f32_i32_e32 v7, v5
	s_branch .LBB66_1984
.LBB66_1983:
	s_mov_b64 s[0:1], -1
                                        ; implicit-def: $vgpr7
.LBB66_1984:
	s_andn2_b64 vcc, exec, s[0:1]
	s_cbranch_vccnz .LBB66_1986
; %bb.1985:
	global_load_ubyte v2, v[2:3], off
	s_waitcnt vmcnt(0)
	v_cvt_f32_ubyte0_e32 v7, v2
.LBB66_1986:
.LBB66_1987:
	s_lshl_b32 s26, s14, 7
	v_add_u32_e32 v6, s26, v4
	v_ashrrev_i32_e32 v3, 31, v6
	v_mov_b32_e32 v4, s3
	v_add_co_u32_e32 v2, vcc, s2, v6
	v_addc_co_u32_e32 v3, vcc, v4, v3, vcc
	v_mov_b32_e32 v4, 11
	v_cmp_lt_i16_sdwa s[0:1], v8, v4 src0_sel:BYTE_0 src1_sel:DWORD
	s_and_b64 vcc, exec, s[0:1]
	s_cbranch_vccnz .LBB66_1994
; %bb.1988:
	v_mov_b32_e32 v4, 25
	v_cmp_gt_i16_sdwa s[0:1], v8, v4 src0_sel:BYTE_0 src1_sel:DWORD
	s_mov_b64 s[14:15], 0
	s_and_b64 vcc, exec, s[0:1]
	s_cbranch_vccz .LBB66_1995
; %bb.1989:
	v_mov_b32_e32 v4, 28
	v_cmp_gt_i16_sdwa s[0:1], v8, v4 src0_sel:BYTE_0 src1_sel:DWORD
	s_and_b64 vcc, exec, s[0:1]
	s_cbranch_vccz .LBB66_1996
; %bb.1990:
	v_mov_b32_e32 v4, 43
	v_cmp_gt_i16_sdwa s[0:1], v8, v4 src0_sel:BYTE_0 src1_sel:DWORD
	s_and_b64 vcc, exec, s[0:1]
	s_cbranch_vccz .LBB66_1997
; %bb.1991:
	v_mov_b32_e32 v4, 45
	v_cmp_gt_i16_sdwa s[0:1], v8, v4 src0_sel:BYTE_0 src1_sel:DWORD
	s_and_b64 vcc, exec, s[0:1]
	s_cbranch_vccz .LBB66_1999
; %bb.1992:
	v_mov_b32_e32 v4, 46
	v_cmp_eq_u16_sdwa s[0:1], v8, v4 src0_sel:BYTE_0 src1_sel:DWORD
	s_mov_b64 s[20:21], 0
	s_and_b64 vcc, exec, s[0:1]
	s_cbranch_vccz .LBB66_2000
; %bb.1993:
	global_load_dword v4, v[2:3], off
	s_mov_b64 s[0:1], 0
	s_mov_b64 s[16:17], -1
	s_waitcnt vmcnt(0)
	v_lshlrev_b32_e32 v4, 16, v4
	s_branch .LBB66_2001
.LBB66_1994:
	s_mov_b64 s[0:1], -1
	s_mov_b64 s[16:17], 0
                                        ; implicit-def: $vgpr4
	s_branch .LBB66_2067
.LBB66_1995:
	s_mov_b64 s[20:21], -1
	s_mov_b64 s[16:17], 0
	s_mov_b64 s[0:1], 0
                                        ; implicit-def: $vgpr4
	s_branch .LBB66_2030
.LBB66_1996:
	s_mov_b64 s[20:21], -1
	s_mov_b64 s[16:17], 0
	s_mov_b64 s[0:1], 0
                                        ; implicit-def: $vgpr4
	s_branch .LBB66_2011
.LBB66_1997:
	s_mov_b64 s[20:21], -1
	s_mov_b64 s[16:17], 0
	s_mov_b64 s[0:1], 0
                                        ; implicit-def: $vgpr4
	s_branch .LBB66_2006
.LBB66_1998:
	s_trap 2
	s_or_b64 s[18:19], s[18:19], exec
                                        ; implicit-def: $vgpr7
	s_cbranch_execz .LBB66_1937
	s_branch .LBB66_1938
.LBB66_1999:
	s_mov_b64 s[20:21], -1
	s_mov_b64 s[16:17], 0
	s_mov_b64 s[0:1], 0
                                        ; implicit-def: $vgpr4
	s_branch .LBB66_2001
.LBB66_2000:
	s_mov_b64 s[0:1], -1
                                        ; implicit-def: $vgpr4
	s_mov_b64 s[16:17], 0
.LBB66_2001:
	s_and_b64 vcc, exec, s[20:21]
	s_cbranch_vccz .LBB66_2005
; %bb.2002:
	v_mov_b32_e32 v4, 44
	v_cmp_eq_u16_sdwa s[0:1], v8, v4 src0_sel:BYTE_0 src1_sel:DWORD
	s_and_b64 vcc, exec, s[0:1]
	s_cbranch_vccz .LBB66_2004
; %bb.2003:
	global_load_ubyte v4, v[2:3], off
	s_movk_i32 s16, 0xff
	v_mov_b32_e32 v5, 0x7f800001
	v_mov_b32_e32 v12, 0x400000
	s_mov_b64 s[0:1], 0
	s_waitcnt vmcnt(0)
	v_lshlrev_b32_e32 v13, 23, v4
	v_cmp_ne_u32_e32 vcc, s16, v4
	v_cndmask_b32_e32 v5, v5, v13, vcc
	v_cmp_ne_u32_e32 vcc, 0, v4
	v_cndmask_b32_e32 v4, v12, v5, vcc
	s_mov_b64 s[16:17], -1
	s_branch .LBB66_2005
.LBB66_2004:
	s_mov_b64 s[0:1], -1
                                        ; implicit-def: $vgpr4
.LBB66_2005:
	s_mov_b64 s[20:21], 0
.LBB66_2006:
	s_and_b64 vcc, exec, s[20:21]
	s_cbranch_vccz .LBB66_2010
; %bb.2007:
	v_mov_b32_e32 v4, 29
	v_cmp_eq_u16_sdwa s[0:1], v8, v4 src0_sel:BYTE_0 src1_sel:DWORD
	s_and_b64 vcc, exec, s[0:1]
	s_cbranch_vccz .LBB66_2009
; %bb.2008:
	global_load_dwordx2 v[4:5], v[2:3], off
	s_mov_b64 s[0:1], 0
	s_mov_b64 s[16:17], -1
	s_mov_b64 s[20:21], 0
	s_waitcnt vmcnt(0)
	v_ffbh_u32_e32 v12, v5
	v_min_u32_e32 v12, 32, v12
	v_lshlrev_b64 v[4:5], v12, v[4:5]
	v_min_u32_e32 v4, 1, v4
	v_or_b32_e32 v4, v5, v4
	v_cvt_f32_u32_e32 v4, v4
	v_sub_u32_e32 v5, 32, v12
	v_ldexp_f32 v4, v4, v5
	s_branch .LBB66_2011
.LBB66_2009:
	s_mov_b64 s[0:1], -1
                                        ; implicit-def: $vgpr4
.LBB66_2010:
	s_mov_b64 s[20:21], 0
.LBB66_2011:
	s_and_b64 vcc, exec, s[20:21]
	s_cbranch_vccz .LBB66_2029
; %bb.2012:
	v_mov_b32_e32 v4, 27
	v_cmp_lt_i16_sdwa s[16:17], v8, v4 src0_sel:BYTE_0 src1_sel:DWORD
	s_and_b64 vcc, exec, s[16:17]
	s_cbranch_vccnz .LBB66_2015
; %bb.2013:
	v_cmp_gt_i16_sdwa s[16:17], v8, v4 src0_sel:BYTE_0 src1_sel:DWORD
	s_and_b64 vcc, exec, s[16:17]
	s_cbranch_vccz .LBB66_2016
; %bb.2014:
	global_load_dword v4, v[2:3], off
	s_mov_b64 s[16:17], 0
	s_waitcnt vmcnt(0)
	v_cvt_f32_u32_e32 v4, v4
	s_branch .LBB66_2017
.LBB66_2015:
	s_mov_b64 s[16:17], -1
                                        ; implicit-def: $vgpr4
	s_branch .LBB66_2020
.LBB66_2016:
	s_mov_b64 s[16:17], -1
                                        ; implicit-def: $vgpr4
.LBB66_2017:
	s_andn2_b64 vcc, exec, s[16:17]
	s_cbranch_vccnz .LBB66_2019
; %bb.2018:
	global_load_ushort v4, v[2:3], off
	s_waitcnt vmcnt(0)
	v_cvt_f32_u32_e32 v4, v4
.LBB66_2019:
	s_mov_b64 s[16:17], 0
.LBB66_2020:
	s_andn2_b64 vcc, exec, s[16:17]
	s_cbranch_vccnz .LBB66_2028
; %bb.2021:
	global_load_ubyte v5, v[2:3], off
	s_movk_i32 s16, 0x7f
                                        ; implicit-def: $sgpr24
	s_waitcnt vmcnt(0)
	v_cmp_lt_i16_e32 vcc, s16, v5
	s_mov_b64 s[16:17], 0
	s_and_saveexec_b64 s[20:21], vcc
	s_xor_b64 s[20:21], exec, s[20:21]
	s_cbranch_execz .LBB66_2042
; %bb.2022:
	s_movk_i32 s16, 0x80
	v_cmp_eq_u16_e32 vcc, s16, v5
	s_mov_b64 s[16:17], -1
                                        ; implicit-def: $sgpr24
	s_and_saveexec_b64 s[22:23], vcc
; %bb.2023:
	s_mov_b32 s24, 0x7f800001
	s_xor_b64 s[16:17], exec, -1
; %bb.2024:
	s_or_b64 exec, exec, s[22:23]
	s_and_b64 s[16:17], s[16:17], exec
	s_or_saveexec_b64 s[20:21], s[20:21]
	v_mov_b32_e32 v4, s24
	s_xor_b64 exec, exec, s[20:21]
	s_cbranch_execnz .LBB66_2043
.LBB66_2025:
	s_or_b64 exec, exec, s[20:21]
	s_and_saveexec_b64 s[20:21], s[16:17]
	s_cbranch_execz .LBB66_2027
.LBB66_2026:
	v_lshlrev_b32_e32 v4, 24, v5
	v_and_b32_e32 v5, 0xffff, v5
	v_and_b32_e32 v12, 7, v5
	v_ffbh_u32_e32 v14, v12
	v_min_u32_e32 v14, 32, v14
	v_subrev_u32_e32 v15, 28, v14
	v_bfe_u32 v13, v5, 3, 4
	v_lshlrev_b32_e32 v5, v15, v5
	v_sub_u32_e32 v14, 29, v14
	v_and_b32_e32 v5, 7, v5
	v_cmp_eq_u32_e32 vcc, 0, v13
	v_cndmask_b32_e32 v13, v13, v14, vcc
	v_cndmask_b32_e32 v5, v12, v5, vcc
	v_mov_b32_e32 v12, 0x3b800000
	v_lshlrev_b32_e32 v5, 20, v5
	v_and_b32_e32 v4, 0x80000000, v4
	v_lshl_add_u32 v12, v13, 23, v12
	v_or3_b32 v4, v4, v12, v5
.LBB66_2027:
	s_or_b64 exec, exec, s[20:21]
.LBB66_2028:
	s_mov_b64 s[16:17], -1
.LBB66_2029:
	s_mov_b64 s[20:21], 0
.LBB66_2030:
	s_and_b64 vcc, exec, s[20:21]
	s_cbranch_vccz .LBB66_2063
; %bb.2031:
	v_mov_b32_e32 v4, 22
	v_cmp_gt_i16_sdwa s[14:15], v8, v4 src0_sel:BYTE_0 src1_sel:DWORD
	s_and_b64 vcc, exec, s[14:15]
	s_cbranch_vccz .LBB66_2041
; %bb.2032:
	v_mov_b32_e32 v4, 24
	v_cmp_lt_i16_sdwa s[14:15], v8, v4 src0_sel:BYTE_0 src1_sel:DWORD
	s_and_b64 vcc, exec, s[14:15]
	s_cbranch_vccnz .LBB66_2044
; %bb.2033:
	v_cmp_gt_i16_sdwa s[14:15], v8, v4 src0_sel:BYTE_0 src1_sel:DWORD
	s_and_b64 vcc, exec, s[14:15]
	s_cbranch_vccz .LBB66_2045
; %bb.2034:
	global_load_ubyte v5, v[2:3], off
	s_movk_i32 s14, 0x7f
                                        ; implicit-def: $sgpr22
	s_waitcnt vmcnt(0)
	v_cmp_lt_i16_e32 vcc, s14, v5
	s_mov_b64 s[14:15], 0
	s_and_saveexec_b64 s[16:17], vcc
	s_xor_b64 s[16:17], exec, s[16:17]
	s_cbranch_execz .LBB66_2057
; %bb.2035:
	s_movk_i32 s14, 0x80
	v_cmp_eq_u16_e32 vcc, s14, v5
	s_mov_b64 s[14:15], -1
                                        ; implicit-def: $sgpr22
	s_and_saveexec_b64 s[20:21], vcc
; %bb.2036:
	s_mov_b32 s22, 0x7f800001
	s_xor_b64 s[14:15], exec, -1
; %bb.2037:
	s_or_b64 exec, exec, s[20:21]
	s_and_b64 s[14:15], s[14:15], exec
	s_or_saveexec_b64 s[16:17], s[16:17]
	v_mov_b32_e32 v4, s22
	s_xor_b64 exec, exec, s[16:17]
	s_cbranch_execnz .LBB66_2058
.LBB66_2038:
	s_or_b64 exec, exec, s[16:17]
	s_and_saveexec_b64 s[16:17], s[14:15]
	s_cbranch_execz .LBB66_2040
.LBB66_2039:
	v_lshlrev_b32_e32 v4, 24, v5
	v_and_b32_e32 v5, 0xffff, v5
	v_and_b32_e32 v12, 3, v5
	v_ffbh_u32_e32 v14, v12
	v_min_u32_e32 v14, 32, v14
	v_subrev_u32_e32 v15, 29, v14
	v_bfe_u32 v13, v5, 2, 5
	v_lshlrev_b32_e32 v5, v15, v5
	v_sub_u32_e32 v14, 30, v14
	v_and_b32_e32 v5, 3, v5
	v_cmp_eq_u32_e32 vcc, 0, v13
	v_cndmask_b32_e32 v13, v13, v14, vcc
	v_cndmask_b32_e32 v5, v12, v5, vcc
	v_mov_b32_e32 v12, 0x37800000
	v_lshlrev_b32_e32 v5, 21, v5
	v_and_b32_e32 v4, 0x80000000, v4
	v_lshl_add_u32 v12, v13, 23, v12
	v_or3_b32 v4, v4, v12, v5
.LBB66_2040:
	s_or_b64 exec, exec, s[16:17]
	s_mov_b64 s[14:15], 0
	s_branch .LBB66_2046
.LBB66_2041:
	s_mov_b64 s[14:15], -1
                                        ; implicit-def: $vgpr4
	s_branch .LBB66_2052
.LBB66_2042:
	s_or_saveexec_b64 s[20:21], s[20:21]
	v_mov_b32_e32 v4, s24
	s_xor_b64 exec, exec, s[20:21]
	s_cbranch_execz .LBB66_2025
.LBB66_2043:
	v_cmp_ne_u16_e32 vcc, 0, v5
	s_andn2_b64 s[16:17], s[16:17], exec
	s_and_b64 s[22:23], vcc, exec
	v_mov_b32_e32 v4, 0
	s_or_b64 s[16:17], s[16:17], s[22:23]
	s_or_b64 exec, exec, s[20:21]
	s_and_saveexec_b64 s[20:21], s[16:17]
	s_cbranch_execnz .LBB66_2026
	s_branch .LBB66_2027
.LBB66_2044:
	s_mov_b64 s[14:15], -1
                                        ; implicit-def: $vgpr4
	s_branch .LBB66_2049
.LBB66_2045:
	s_mov_b64 s[14:15], -1
                                        ; implicit-def: $vgpr4
.LBB66_2046:
	s_and_b64 vcc, exec, s[14:15]
	s_cbranch_vccz .LBB66_2048
; %bb.2047:
	global_load_ubyte v4, v[2:3], off
	s_mov_b32 s14, 0x7f800000
	s_waitcnt vmcnt(0)
	v_lshlrev_b32_e32 v4, 24, v4
	v_and_b32_e32 v5, 0x7f000000, v4
	v_ffbh_u32_e32 v12, v5
	v_min_u32_e32 v12, 32, v12
	v_sub_u32_e64 v12, v12, 4 clamp
	v_lshlrev_b32_e32 v14, v12, v5
	v_lshlrev_b32_e32 v12, 23, v12
	v_lshrrev_b32_e32 v14, 4, v14
	v_add_u32_e32 v13, 0x1000000, v5
	v_sub_u32_e32 v12, v14, v12
	v_ashrrev_i32_e32 v13, 8, v13
	v_add_u32_e32 v12, 0x3c000000, v12
	v_and_or_b32 v12, v13, s14, v12
	v_cmp_ne_u32_e32 vcc, 0, v5
	v_cndmask_b32_e32 v5, 0, v12, vcc
	s_brev_b32 s14, 1
	v_and_or_b32 v4, v4, s14, v5
.LBB66_2048:
	s_mov_b64 s[14:15], 0
.LBB66_2049:
	s_andn2_b64 vcc, exec, s[14:15]
	s_cbranch_vccnz .LBB66_2051
; %bb.2050:
	global_load_ubyte v4, v[2:3], off
	s_movk_i32 s14, 0x7f00
	s_brev_b32 s15, 16
	s_waitcnt vmcnt(0)
	v_lshlrev_b16_e32 v5, 8, v4
	v_lshlrev_b32_e32 v4, 25, v4
	v_lshrrev_b32_e32 v12, 4, v4
	v_and_or_b32 v13, v5, s14, 0.5
	v_or_b32_e32 v12, 0x70000000, v12
	v_add_f32_e32 v13, -0.5, v13
	v_mul_f32_e32 v12, 0x7800000, v12
	v_cmp_gt_u32_e32 vcc, s15, v4
	v_bfe_i32 v5, v5, 0, 16
	v_cndmask_b32_e32 v4, v12, v13, vcc
	s_brev_b32 s14, 1
	v_and_or_b32 v4, v5, s14, v4
.LBB66_2051:
	s_mov_b64 s[14:15], 0
	s_mov_b64 s[16:17], -1
.LBB66_2052:
	s_andn2_b64 vcc, exec, s[14:15]
	s_mov_b64 s[14:15], 0
	s_cbranch_vccnz .LBB66_2063
; %bb.2053:
	v_mov_b32_e32 v4, 14
	v_cmp_gt_i16_sdwa s[14:15], v8, v4 src0_sel:BYTE_0 src1_sel:DWORD
	s_and_b64 vcc, exec, s[14:15]
	s_cbranch_vccz .LBB66_2056
; %bb.2054:
	v_mov_b32_e32 v4, 15
	v_cmp_eq_u16_sdwa s[0:1], v8, v4 src0_sel:BYTE_0 src1_sel:DWORD
	s_and_b64 vcc, exec, s[0:1]
	s_cbranch_vccz .LBB66_2059
; %bb.2055:
	global_load_ushort v4, v[2:3], off
	s_mov_b64 s[0:1], 0
	s_mov_b64 s[16:17], -1
	s_waitcnt vmcnt(0)
	v_lshlrev_b32_e32 v4, 16, v4
	s_branch .LBB66_2060
.LBB66_2056:
	s_mov_b64 s[20:21], -1
                                        ; implicit-def: $vgpr4
	s_branch .LBB66_2061
.LBB66_2057:
	s_or_saveexec_b64 s[16:17], s[16:17]
	v_mov_b32_e32 v4, s22
	s_xor_b64 exec, exec, s[16:17]
	s_cbranch_execz .LBB66_2038
.LBB66_2058:
	v_cmp_ne_u16_e32 vcc, 0, v5
	s_andn2_b64 s[14:15], s[14:15], exec
	s_and_b64 s[20:21], vcc, exec
	v_mov_b32_e32 v4, 0
	s_or_b64 s[14:15], s[14:15], s[20:21]
	s_or_b64 exec, exec, s[16:17]
	s_and_saveexec_b64 s[16:17], s[14:15]
	s_cbranch_execnz .LBB66_2039
	s_branch .LBB66_2040
.LBB66_2059:
	s_mov_b64 s[0:1], -1
                                        ; implicit-def: $vgpr4
.LBB66_2060:
	s_mov_b64 s[20:21], 0
.LBB66_2061:
	s_mov_b64 s[14:15], 0
	s_and_b64 vcc, exec, s[20:21]
	s_cbranch_vccz .LBB66_2063
; %bb.2062:
	v_mov_b32_e32 v4, 11
	v_cmp_ne_u16_sdwa s[0:1], v8, v4 src0_sel:BYTE_0 src1_sel:DWORD
	s_mov_b64 s[14:15], -1
                                        ; implicit-def: $vgpr4
.LBB66_2063:
	s_and_b64 vcc, exec, s[0:1]
	s_cbranch_vccnz .LBB66_2140
; %bb.2064:
	s_andn2_b64 vcc, exec, s[14:15]
	s_cbranch_vccnz .LBB66_2066
.LBB66_2065:
	global_load_ubyte v4, v[2:3], off
	s_mov_b64 s[16:17], -1
	s_waitcnt vmcnt(0)
	v_cmp_ne_u16_e32 vcc, 0, v4
	v_cndmask_b32_e64 v4, 0, 1.0, vcc
.LBB66_2066:
	s_mov_b64 s[0:1], 0
.LBB66_2067:
	s_and_b64 vcc, exec, s[0:1]
	s_cbranch_vccz .LBB66_2116
; %bb.2068:
	v_mov_b32_e32 v4, 5
	v_cmp_lt_i16_sdwa s[0:1], v8, v4 src0_sel:BYTE_0 src1_sel:DWORD
	s_and_b64 vcc, exec, s[0:1]
	s_cbranch_vccnz .LBB66_2073
; %bb.2069:
	v_mov_b32_e32 v4, 8
	v_cmp_lt_i16_sdwa s[0:1], v8, v4 src0_sel:BYTE_0 src1_sel:DWORD
	s_and_b64 vcc, exec, s[0:1]
	s_cbranch_vccnz .LBB66_2074
	;; [unrolled: 5-line block ×3, first 2 shown]
; %bb.2071:
	v_cmp_gt_i16_sdwa s[0:1], v8, v4 src0_sel:BYTE_0 src1_sel:DWORD
	s_and_b64 vcc, exec, s[0:1]
	s_cbranch_vccz .LBB66_2076
; %bb.2072:
	global_load_dwordx2 v[4:5], v[2:3], off
	s_mov_b64 s[0:1], 0
	s_waitcnt vmcnt(0)
	v_cvt_f32_f64_e32 v4, v[4:5]
	s_branch .LBB66_2077
.LBB66_2073:
	s_mov_b64 s[0:1], -1
                                        ; implicit-def: $vgpr4
	s_branch .LBB66_2095
.LBB66_2074:
	s_mov_b64 s[0:1], -1
                                        ; implicit-def: $vgpr4
	s_branch .LBB66_2083
.LBB66_2075:
	s_mov_b64 s[0:1], -1
                                        ; implicit-def: $vgpr4
	s_branch .LBB66_2080
.LBB66_2076:
	s_mov_b64 s[0:1], -1
                                        ; implicit-def: $vgpr4
.LBB66_2077:
	s_andn2_b64 vcc, exec, s[0:1]
	s_cbranch_vccnz .LBB66_2079
; %bb.2078:
	global_load_dword v4, v[2:3], off
.LBB66_2079:
	s_mov_b64 s[0:1], 0
.LBB66_2080:
	s_andn2_b64 vcc, exec, s[0:1]
	s_cbranch_vccnz .LBB66_2082
; %bb.2081:
	global_load_dword v4, v[2:3], off
	s_waitcnt vmcnt(0)
	v_cvt_f32_f16_e32 v4, v4
.LBB66_2082:
	s_mov_b64 s[0:1], 0
.LBB66_2083:
	s_andn2_b64 vcc, exec, s[0:1]
	s_cbranch_vccnz .LBB66_2094
; %bb.2084:
	s_waitcnt vmcnt(0)
	v_mov_b32_e32 v4, 6
	v_cmp_lt_i16_sdwa s[0:1], v8, v4 src0_sel:BYTE_0 src1_sel:DWORD
	s_and_b64 vcc, exec, s[0:1]
	s_cbranch_vccnz .LBB66_2087
; %bb.2085:
	v_cmp_gt_i16_sdwa s[0:1], v8, v4 src0_sel:BYTE_0 src1_sel:DWORD
	s_and_b64 vcc, exec, s[0:1]
	s_cbranch_vccz .LBB66_2088
; %bb.2086:
	global_load_dwordx2 v[4:5], v[2:3], off
	s_mov_b64 s[0:1], 0
	s_waitcnt vmcnt(0)
	v_cvt_f32_f64_e32 v4, v[4:5]
	s_branch .LBB66_2089
.LBB66_2087:
	s_mov_b64 s[0:1], -1
                                        ; implicit-def: $vgpr4
	s_branch .LBB66_2092
.LBB66_2088:
	s_mov_b64 s[0:1], -1
                                        ; implicit-def: $vgpr4
.LBB66_2089:
	s_andn2_b64 vcc, exec, s[0:1]
	s_cbranch_vccnz .LBB66_2091
; %bb.2090:
	global_load_dword v4, v[2:3], off
.LBB66_2091:
	s_mov_b64 s[0:1], 0
.LBB66_2092:
	s_andn2_b64 vcc, exec, s[0:1]
	s_cbranch_vccnz .LBB66_2094
; %bb.2093:
	global_load_ushort v4, v[2:3], off
	s_waitcnt vmcnt(0)
	v_cvt_f32_f16_e32 v4, v4
.LBB66_2094:
	s_mov_b64 s[0:1], 0
.LBB66_2095:
	s_andn2_b64 vcc, exec, s[0:1]
	s_cbranch_vccnz .LBB66_2115
; %bb.2096:
	s_waitcnt vmcnt(0)
	v_mov_b32_e32 v4, 2
	v_cmp_lt_i16_sdwa s[0:1], v8, v4 src0_sel:BYTE_0 src1_sel:DWORD
	s_and_b64 vcc, exec, s[0:1]
	s_cbranch_vccnz .LBB66_2100
; %bb.2097:
	v_mov_b32_e32 v4, 3
	v_cmp_lt_i16_sdwa s[0:1], v8, v4 src0_sel:BYTE_0 src1_sel:DWORD
	s_and_b64 vcc, exec, s[0:1]
	s_cbranch_vccnz .LBB66_2101
; %bb.2098:
	v_cmp_gt_i16_sdwa s[0:1], v8, v4 src0_sel:BYTE_0 src1_sel:DWORD
	s_and_b64 vcc, exec, s[0:1]
	s_cbranch_vccz .LBB66_2102
; %bb.2099:
	global_load_dwordx2 v[4:5], v[2:3], off
	s_mov_b64 s[0:1], 0
	s_waitcnt vmcnt(0)
	v_xor_b32_e32 v13, v4, v5
	v_ffbh_i32_e32 v12, v5
	v_ashrrev_i32_e32 v13, 31, v13
	v_add_u32_e32 v12, -1, v12
	v_add_u32_e32 v13, 32, v13
	v_min_u32_e32 v12, v12, v13
	v_lshlrev_b64 v[4:5], v12, v[4:5]
	v_min_u32_e32 v4, 1, v4
	v_or_b32_e32 v4, v5, v4
	v_cvt_f32_i32_e32 v4, v4
	v_sub_u32_e32 v5, 32, v12
	v_ldexp_f32 v4, v4, v5
	s_branch .LBB66_2103
.LBB66_2100:
	s_mov_b64 s[0:1], -1
                                        ; implicit-def: $vgpr4
	s_branch .LBB66_2109
.LBB66_2101:
	s_mov_b64 s[0:1], -1
                                        ; implicit-def: $vgpr4
	s_branch .LBB66_2106
.LBB66_2102:
	s_mov_b64 s[0:1], -1
                                        ; implicit-def: $vgpr4
.LBB66_2103:
	s_andn2_b64 vcc, exec, s[0:1]
	s_cbranch_vccnz .LBB66_2105
; %bb.2104:
	global_load_dword v4, v[2:3], off
	s_waitcnt vmcnt(0)
	v_cvt_f32_i32_e32 v4, v4
.LBB66_2105:
	s_mov_b64 s[0:1], 0
.LBB66_2106:
	s_andn2_b64 vcc, exec, s[0:1]
	s_cbranch_vccnz .LBB66_2108
; %bb.2107:
	global_load_sshort v4, v[2:3], off
	s_waitcnt vmcnt(0)
	v_cvt_f32_i32_e32 v4, v4
.LBB66_2108:
	s_mov_b64 s[0:1], 0
.LBB66_2109:
	s_andn2_b64 vcc, exec, s[0:1]
	s_cbranch_vccnz .LBB66_2115
; %bb.2110:
	v_mov_b32_e32 v4, 0
	v_cmp_gt_i16_sdwa s[0:1], v8, v4 src0_sel:BYTE_0 src1_sel:DWORD
	s_and_b64 vcc, exec, s[0:1]
	s_cbranch_vccz .LBB66_2112
; %bb.2111:
	global_load_sbyte v4, v[2:3], off
	s_mov_b64 s[0:1], 0
	s_waitcnt vmcnt(0)
	v_cvt_f32_i32_e32 v4, v4
	s_branch .LBB66_2113
.LBB66_2112:
	s_mov_b64 s[0:1], -1
                                        ; implicit-def: $vgpr4
.LBB66_2113:
	s_andn2_b64 vcc, exec, s[0:1]
	s_cbranch_vccnz .LBB66_2115
; %bb.2114:
	global_load_ubyte v2, v[2:3], off
	s_waitcnt vmcnt(0)
	v_cvt_f32_ubyte0_e32 v4, v2
.LBB66_2115:
	s_mov_b64 s[16:17], -1
.LBB66_2116:
	s_andn2_b64 vcc, exec, s[16:17]
	s_cbranch_vccnz .LBB66_2682
; %bb.2117:
	s_waitcnt vmcnt(0)
	v_trunc_f32_e32 v2, v4
	s_mov_b32 s0, 0x2f800000
	v_mul_f32_e64 v3, |v2|, s0
	v_floor_f32_e32 v3, v3
	s_mov_b32 s0, 0xcf800000
	v_cvt_u32_f32_e32 v4, v3
	v_fma_f32 v3, v3, s0, |v2|
	v_cvt_u32_f32_e32 v3, v3
	v_ashrrev_i32_e32 v2, 31, v2
	v_xor_b32_e32 v5, v4, v2
	v_xor_b32_e32 v3, v3, v2
	v_sub_co_u32_e32 v4, vcc, v3, v2
	v_subb_co_u32_e32 v5, vcc, v5, v2, vcc
	v_cmp_lt_i64_e32 vcc, -1, v[4:5]
	v_mov_b32_e32 v2, 0
	s_and_saveexec_b64 s[0:1], vcc
	s_cbranch_execz .LBB66_2129
; %bb.2118:
	v_cmp_lt_i64_e32 vcc, 0, v[4:5]
	v_mov_b32_e32 v2, 1.0
	s_and_saveexec_b64 s[14:15], vcc
	s_cbranch_execz .LBB66_2128
; %bb.2119:
	v_cmp_ne_u64_e32 vcc, 1, v[4:5]
                                        ; implicit-def: $vgpr2
	s_and_saveexec_b64 s[16:17], vcc
	s_xor_b64 s[16:17], exec, s[16:17]
	s_cbranch_execz .LBB66_2125
; %bb.2120:
	s_mov_b64 s[20:21], 0x81
	v_cmp_gt_u64_e32 vcc, s[20:21], v[4:5]
	v_mov_b32_e32 v2, 0x7fc00000
	s_and_saveexec_b64 s[20:21], vcc
	s_cbranch_execz .LBB66_2124
; %bb.2121:
	s_mov_b64 s[24:25], 1
	s_mov_b64 s[22:23], 0
	v_mov_b32_e32 v3, 1.0
	v_mov_b32_e32 v2, v7
.LBB66_2122:                            ; =>This Inner Loop Header: Depth=1
	s_flbit_i32_b32 s27, s25
	s_min_u32 s27, s27, 32
	s_lshl_b64 s[28:29], s[24:25], s27
	s_min_u32 s28, s28, 1
	s_or_b32 s28, s29, s28
	v_cvt_f32_u32_e32 v12, s28
	s_sub_i32 s27, 32, s27
	s_add_u32 s24, s24, 1
	s_addc_u32 s25, s25, 0
	v_ldexp_f32 v12, v12, s27
	v_cmp_eq_u64_e32 vcc, s[24:25], v[4:5]
	v_mul_f32_e32 v12, v3, v12
	s_or_b64 s[22:23], vcc, s[22:23]
	v_mov_b32_e32 v3, v2
	v_fma_f32 v2, v7, v2, -v12
	s_andn2_b64 exec, exec, s[22:23]
	s_cbranch_execnz .LBB66_2122
; %bb.2123:
	s_or_b64 exec, exec, s[22:23]
.LBB66_2124:
	s_or_b64 exec, exec, s[20:21]
                                        ; implicit-def: $vgpr7
.LBB66_2125:
	s_andn2_saveexec_b64 s[16:17], s[16:17]
; %bb.2126:
	v_mov_b32_e32 v2, v7
; %bb.2127:
	s_or_b64 exec, exec, s[16:17]
.LBB66_2128:
	s_or_b64 exec, exec, s[14:15]
.LBB66_2129:
	s_or_b64 exec, exec, s[0:1]
	v_add_u32_e32 v1, s13, v1
	v_ashrrev_i32_e32 v3, 31, v1
	v_mov_b32_e32 v5, s11
	v_add_co_u32_e32 v4, vcc, s10, v1
	v_addc_co_u32_e32 v5, vcc, v5, v3, vcc
	v_mov_b32_e32 v3, 11
	v_cmp_lt_i16_sdwa s[0:1], v9, v3 src0_sel:BYTE_0 src1_sel:DWORD
	s_and_b64 vcc, exec, s[0:1]
	s_cbranch_vccnz .LBB66_2136
; %bb.2130:
	v_mov_b32_e32 v3, 25
	v_cmp_gt_i16_sdwa s[0:1], v9, v3 src0_sel:BYTE_0 src1_sel:DWORD
	s_mov_b64 s[14:15], 0
	s_and_b64 vcc, exec, s[0:1]
	s_cbranch_vccz .LBB66_2137
; %bb.2131:
	v_mov_b32_e32 v3, 28
	v_cmp_gt_i16_sdwa s[0:1], v9, v3 src0_sel:BYTE_0 src1_sel:DWORD
	s_and_b64 vcc, exec, s[0:1]
	s_cbranch_vccz .LBB66_2138
; %bb.2132:
	v_mov_b32_e32 v3, 43
	v_cmp_gt_i16_sdwa s[0:1], v9, v3 src0_sel:BYTE_0 src1_sel:DWORD
	;; [unrolled: 5-line block ×3, first 2 shown]
	s_and_b64 vcc, exec, s[0:1]
	s_cbranch_vccz .LBB66_2141
; %bb.2134:
	v_mov_b32_e32 v3, 46
	v_cmp_eq_u16_sdwa s[0:1], v9, v3 src0_sel:BYTE_0 src1_sel:DWORD
	s_mov_b64 s[20:21], 0
	s_and_b64 vcc, exec, s[0:1]
	s_cbranch_vccz .LBB66_2142
; %bb.2135:
	global_load_dword v3, v[4:5], off
	s_mov_b64 s[0:1], 0
	s_mov_b64 s[16:17], -1
	s_waitcnt vmcnt(0)
	v_lshlrev_b32_e32 v12, 16, v3
	s_branch .LBB66_2143
.LBB66_2136:
	s_mov_b64 s[0:1], -1
	s_mov_b64 s[16:17], 0
                                        ; implicit-def: $vgpr12
	s_branch .LBB66_2209
.LBB66_2137:
	s_mov_b64 s[20:21], -1
	s_mov_b64 s[16:17], 0
	s_mov_b64 s[0:1], 0
                                        ; implicit-def: $vgpr12
	s_branch .LBB66_2172
.LBB66_2138:
	s_mov_b64 s[20:21], -1
	s_mov_b64 s[16:17], 0
	s_mov_b64 s[0:1], 0
                                        ; implicit-def: $vgpr12
	s_branch .LBB66_2153
.LBB66_2139:
	s_mov_b64 s[20:21], -1
	s_mov_b64 s[16:17], 0
	s_mov_b64 s[0:1], 0
                                        ; implicit-def: $vgpr12
	s_branch .LBB66_2148
.LBB66_2140:
	s_trap 2
	s_or_b64 s[18:19], s[18:19], exec
                                        ; implicit-def: $vgpr4
	s_cbranch_execz .LBB66_2065
	s_branch .LBB66_2066
.LBB66_2141:
	s_mov_b64 s[20:21], -1
	s_mov_b64 s[16:17], 0
	s_mov_b64 s[0:1], 0
                                        ; implicit-def: $vgpr12
	s_branch .LBB66_2143
.LBB66_2142:
	s_mov_b64 s[0:1], -1
                                        ; implicit-def: $vgpr12
	s_mov_b64 s[16:17], 0
.LBB66_2143:
	s_and_b64 vcc, exec, s[20:21]
	s_cbranch_vccz .LBB66_2147
; %bb.2144:
	v_mov_b32_e32 v3, 44
	v_cmp_eq_u16_sdwa s[0:1], v9, v3 src0_sel:BYTE_0 src1_sel:DWORD
	s_and_b64 vcc, exec, s[0:1]
	s_cbranch_vccz .LBB66_2146
; %bb.2145:
	global_load_ubyte v3, v[4:5], off
	s_movk_i32 s16, 0xff
	v_mov_b32_e32 v7, 0x7f800001
	v_mov_b32_e32 v12, 0x400000
	s_mov_b64 s[0:1], 0
	s_waitcnt vmcnt(0)
	v_lshlrev_b32_e32 v13, 23, v3
	v_cmp_ne_u32_e32 vcc, s16, v3
	v_cndmask_b32_e32 v7, v7, v13, vcc
	v_cmp_ne_u32_e32 vcc, 0, v3
	v_cndmask_b32_e32 v12, v12, v7, vcc
	s_mov_b64 s[16:17], -1
	s_branch .LBB66_2147
.LBB66_2146:
	s_mov_b64 s[0:1], -1
                                        ; implicit-def: $vgpr12
.LBB66_2147:
	s_mov_b64 s[20:21], 0
.LBB66_2148:
	s_and_b64 vcc, exec, s[20:21]
	s_cbranch_vccz .LBB66_2152
; %bb.2149:
	v_mov_b32_e32 v3, 29
	v_cmp_eq_u16_sdwa s[0:1], v9, v3 src0_sel:BYTE_0 src1_sel:DWORD
	s_and_b64 vcc, exec, s[0:1]
	s_cbranch_vccz .LBB66_2151
; %bb.2150:
	global_load_dwordx2 v[12:13], v[4:5], off
	s_mov_b64 s[0:1], 0
	s_mov_b64 s[16:17], -1
	s_mov_b64 s[20:21], 0
	s_waitcnt vmcnt(0)
	v_ffbh_u32_e32 v3, v13
	v_min_u32_e32 v3, 32, v3
	v_lshlrev_b64 v[12:13], v3, v[12:13]
	v_min_u32_e32 v7, 1, v12
	v_or_b32_e32 v7, v13, v7
	v_cvt_f32_u32_e32 v7, v7
	v_sub_u32_e32 v3, 32, v3
	v_ldexp_f32 v12, v7, v3
	s_branch .LBB66_2153
.LBB66_2151:
	s_mov_b64 s[0:1], -1
                                        ; implicit-def: $vgpr12
.LBB66_2152:
	s_mov_b64 s[20:21], 0
.LBB66_2153:
	s_and_b64 vcc, exec, s[20:21]
	s_cbranch_vccz .LBB66_2171
; %bb.2154:
	v_mov_b32_e32 v3, 27
	v_cmp_lt_i16_sdwa s[16:17], v9, v3 src0_sel:BYTE_0 src1_sel:DWORD
	s_and_b64 vcc, exec, s[16:17]
	s_cbranch_vccnz .LBB66_2157
; %bb.2155:
	v_cmp_gt_i16_sdwa s[16:17], v9, v3 src0_sel:BYTE_0 src1_sel:DWORD
	s_and_b64 vcc, exec, s[16:17]
	s_cbranch_vccz .LBB66_2158
; %bb.2156:
	global_load_dword v3, v[4:5], off
	s_mov_b64 s[16:17], 0
	s_waitcnt vmcnt(0)
	v_cvt_f32_u32_e32 v12, v3
	s_branch .LBB66_2159
.LBB66_2157:
	s_mov_b64 s[16:17], -1
                                        ; implicit-def: $vgpr12
	s_branch .LBB66_2162
.LBB66_2158:
	s_mov_b64 s[16:17], -1
                                        ; implicit-def: $vgpr12
.LBB66_2159:
	s_andn2_b64 vcc, exec, s[16:17]
	s_cbranch_vccnz .LBB66_2161
; %bb.2160:
	global_load_ushort v3, v[4:5], off
	s_waitcnt vmcnt(0)
	v_cvt_f32_u32_e32 v12, v3
.LBB66_2161:
	s_mov_b64 s[16:17], 0
.LBB66_2162:
	s_andn2_b64 vcc, exec, s[16:17]
	s_cbranch_vccnz .LBB66_2170
; %bb.2163:
	global_load_ubyte v3, v[4:5], off
	s_movk_i32 s16, 0x7f
                                        ; implicit-def: $sgpr24
	s_waitcnt vmcnt(0)
	v_cmp_lt_i16_e32 vcc, s16, v3
	s_mov_b64 s[16:17], 0
	s_and_saveexec_b64 s[20:21], vcc
	s_xor_b64 s[20:21], exec, s[20:21]
	s_cbranch_execz .LBB66_2184
; %bb.2164:
	s_movk_i32 s16, 0x80
	v_cmp_eq_u16_e32 vcc, s16, v3
	s_mov_b64 s[16:17], -1
                                        ; implicit-def: $sgpr24
	s_and_saveexec_b64 s[22:23], vcc
; %bb.2165:
	s_mov_b32 s24, 0x7f800001
	s_xor_b64 s[16:17], exec, -1
; %bb.2166:
	s_or_b64 exec, exec, s[22:23]
	s_and_b64 s[16:17], s[16:17], exec
	s_or_saveexec_b64 s[20:21], s[20:21]
	v_mov_b32_e32 v12, s24
	s_xor_b64 exec, exec, s[20:21]
	s_cbranch_execnz .LBB66_2185
.LBB66_2167:
	s_or_b64 exec, exec, s[20:21]
	s_and_saveexec_b64 s[20:21], s[16:17]
	s_cbranch_execz .LBB66_2169
.LBB66_2168:
	v_lshlrev_b32_e32 v7, 24, v3
	v_and_b32_e32 v3, 0xffff, v3
	v_and_b32_e32 v12, 7, v3
	v_ffbh_u32_e32 v14, v12
	v_min_u32_e32 v14, 32, v14
	v_subrev_u32_e32 v15, 28, v14
	v_bfe_u32 v13, v3, 3, 4
	v_lshlrev_b32_e32 v3, v15, v3
	v_sub_u32_e32 v14, 29, v14
	v_and_b32_e32 v3, 7, v3
	v_cmp_eq_u32_e32 vcc, 0, v13
	v_cndmask_b32_e32 v13, v13, v14, vcc
	v_cndmask_b32_e32 v3, v12, v3, vcc
	v_mov_b32_e32 v12, 0x3b800000
	v_lshlrev_b32_e32 v3, 20, v3
	v_and_b32_e32 v7, 0x80000000, v7
	v_lshl_add_u32 v12, v13, 23, v12
	v_or3_b32 v12, v7, v12, v3
.LBB66_2169:
	s_or_b64 exec, exec, s[20:21]
.LBB66_2170:
	s_mov_b64 s[16:17], -1
.LBB66_2171:
	s_mov_b64 s[20:21], 0
.LBB66_2172:
	s_and_b64 vcc, exec, s[20:21]
	s_cbranch_vccz .LBB66_2205
; %bb.2173:
	v_mov_b32_e32 v3, 22
	v_cmp_gt_i16_sdwa s[14:15], v9, v3 src0_sel:BYTE_0 src1_sel:DWORD
	s_and_b64 vcc, exec, s[14:15]
	s_cbranch_vccz .LBB66_2183
; %bb.2174:
	v_mov_b32_e32 v3, 24
	v_cmp_lt_i16_sdwa s[14:15], v9, v3 src0_sel:BYTE_0 src1_sel:DWORD
	s_and_b64 vcc, exec, s[14:15]
	s_cbranch_vccnz .LBB66_2186
; %bb.2175:
	v_cmp_gt_i16_sdwa s[14:15], v9, v3 src0_sel:BYTE_0 src1_sel:DWORD
	s_and_b64 vcc, exec, s[14:15]
	s_cbranch_vccz .LBB66_2187
; %bb.2176:
	global_load_ubyte v3, v[4:5], off
	s_movk_i32 s14, 0x7f
                                        ; implicit-def: $sgpr22
	s_waitcnt vmcnt(0)
	v_cmp_lt_i16_e32 vcc, s14, v3
	s_mov_b64 s[14:15], 0
	s_and_saveexec_b64 s[16:17], vcc
	s_xor_b64 s[16:17], exec, s[16:17]
	s_cbranch_execz .LBB66_2199
; %bb.2177:
	s_movk_i32 s14, 0x80
	v_cmp_eq_u16_e32 vcc, s14, v3
	s_mov_b64 s[14:15], -1
                                        ; implicit-def: $sgpr22
	s_and_saveexec_b64 s[20:21], vcc
; %bb.2178:
	s_mov_b32 s22, 0x7f800001
	s_xor_b64 s[14:15], exec, -1
; %bb.2179:
	s_or_b64 exec, exec, s[20:21]
	s_and_b64 s[14:15], s[14:15], exec
	s_or_saveexec_b64 s[16:17], s[16:17]
	v_mov_b32_e32 v12, s22
	s_xor_b64 exec, exec, s[16:17]
	s_cbranch_execnz .LBB66_2200
.LBB66_2180:
	s_or_b64 exec, exec, s[16:17]
	s_and_saveexec_b64 s[16:17], s[14:15]
	s_cbranch_execz .LBB66_2182
.LBB66_2181:
	v_lshlrev_b32_e32 v7, 24, v3
	v_and_b32_e32 v3, 0xffff, v3
	v_and_b32_e32 v12, 3, v3
	v_ffbh_u32_e32 v14, v12
	v_min_u32_e32 v14, 32, v14
	v_subrev_u32_e32 v15, 29, v14
	v_bfe_u32 v13, v3, 2, 5
	v_lshlrev_b32_e32 v3, v15, v3
	v_sub_u32_e32 v14, 30, v14
	v_and_b32_e32 v3, 3, v3
	v_cmp_eq_u32_e32 vcc, 0, v13
	v_cndmask_b32_e32 v13, v13, v14, vcc
	v_cndmask_b32_e32 v3, v12, v3, vcc
	v_mov_b32_e32 v12, 0x37800000
	v_lshlrev_b32_e32 v3, 21, v3
	v_and_b32_e32 v7, 0x80000000, v7
	v_lshl_add_u32 v12, v13, 23, v12
	v_or3_b32 v12, v7, v12, v3
.LBB66_2182:
	s_or_b64 exec, exec, s[16:17]
	s_mov_b64 s[14:15], 0
	s_branch .LBB66_2188
.LBB66_2183:
	s_mov_b64 s[14:15], -1
                                        ; implicit-def: $vgpr12
	s_branch .LBB66_2194
.LBB66_2184:
	s_or_saveexec_b64 s[20:21], s[20:21]
	v_mov_b32_e32 v12, s24
	s_xor_b64 exec, exec, s[20:21]
	s_cbranch_execz .LBB66_2167
.LBB66_2185:
	v_cmp_ne_u16_e32 vcc, 0, v3
	s_andn2_b64 s[16:17], s[16:17], exec
	s_and_b64 s[22:23], vcc, exec
	v_mov_b32_e32 v12, 0
	s_or_b64 s[16:17], s[16:17], s[22:23]
	s_or_b64 exec, exec, s[20:21]
	s_and_saveexec_b64 s[20:21], s[16:17]
	s_cbranch_execnz .LBB66_2168
	s_branch .LBB66_2169
.LBB66_2186:
	s_mov_b64 s[14:15], -1
                                        ; implicit-def: $vgpr12
	s_branch .LBB66_2191
.LBB66_2187:
	s_mov_b64 s[14:15], -1
                                        ; implicit-def: $vgpr12
.LBB66_2188:
	s_and_b64 vcc, exec, s[14:15]
	s_cbranch_vccz .LBB66_2190
; %bb.2189:
	global_load_ubyte v3, v[4:5], off
	s_mov_b32 s14, 0x7f800000
	s_waitcnt vmcnt(0)
	v_lshlrev_b32_e32 v3, 24, v3
	v_and_b32_e32 v7, 0x7f000000, v3
	v_ffbh_u32_e32 v12, v7
	v_min_u32_e32 v12, 32, v12
	v_sub_u32_e64 v12, v12, 4 clamp
	v_lshlrev_b32_e32 v14, v12, v7
	v_lshlrev_b32_e32 v12, 23, v12
	v_lshrrev_b32_e32 v14, 4, v14
	v_add_u32_e32 v13, 0x1000000, v7
	v_sub_u32_e32 v12, v14, v12
	v_ashrrev_i32_e32 v13, 8, v13
	v_add_u32_e32 v12, 0x3c000000, v12
	v_and_or_b32 v12, v13, s14, v12
	v_cmp_ne_u32_e32 vcc, 0, v7
	v_cndmask_b32_e32 v7, 0, v12, vcc
	s_brev_b32 s14, 1
	v_and_or_b32 v12, v3, s14, v7
.LBB66_2190:
	s_mov_b64 s[14:15], 0
.LBB66_2191:
	s_andn2_b64 vcc, exec, s[14:15]
	s_cbranch_vccnz .LBB66_2193
; %bb.2192:
	global_load_ubyte v3, v[4:5], off
	s_movk_i32 s14, 0x7f00
	s_brev_b32 s15, 16
	s_waitcnt vmcnt(0)
	v_lshlrev_b16_e32 v7, 8, v3
	v_lshlrev_b32_e32 v3, 25, v3
	v_lshrrev_b32_e32 v12, 4, v3
	v_and_or_b32 v13, v7, s14, 0.5
	v_or_b32_e32 v12, 0x70000000, v12
	v_add_f32_e32 v13, -0.5, v13
	v_mul_f32_e32 v12, 0x7800000, v12
	v_cmp_gt_u32_e32 vcc, s15, v3
	v_bfe_i32 v7, v7, 0, 16
	v_cndmask_b32_e32 v3, v12, v13, vcc
	s_brev_b32 s14, 1
	v_and_or_b32 v12, v7, s14, v3
.LBB66_2193:
	s_mov_b64 s[14:15], 0
	s_mov_b64 s[16:17], -1
.LBB66_2194:
	s_andn2_b64 vcc, exec, s[14:15]
	s_mov_b64 s[14:15], 0
	s_cbranch_vccnz .LBB66_2205
; %bb.2195:
	v_mov_b32_e32 v3, 14
	v_cmp_gt_i16_sdwa s[14:15], v9, v3 src0_sel:BYTE_0 src1_sel:DWORD
	s_and_b64 vcc, exec, s[14:15]
	s_cbranch_vccz .LBB66_2198
; %bb.2196:
	v_mov_b32_e32 v3, 15
	v_cmp_eq_u16_sdwa s[0:1], v9, v3 src0_sel:BYTE_0 src1_sel:DWORD
	s_and_b64 vcc, exec, s[0:1]
	s_cbranch_vccz .LBB66_2201
; %bb.2197:
	global_load_ushort v3, v[4:5], off
	s_mov_b64 s[0:1], 0
	s_mov_b64 s[16:17], -1
	s_waitcnt vmcnt(0)
	v_lshlrev_b32_e32 v12, 16, v3
	s_branch .LBB66_2202
.LBB66_2198:
	s_mov_b64 s[20:21], -1
                                        ; implicit-def: $vgpr12
	s_branch .LBB66_2203
.LBB66_2199:
	s_or_saveexec_b64 s[16:17], s[16:17]
	v_mov_b32_e32 v12, s22
	s_xor_b64 exec, exec, s[16:17]
	s_cbranch_execz .LBB66_2180
.LBB66_2200:
	v_cmp_ne_u16_e32 vcc, 0, v3
	s_andn2_b64 s[14:15], s[14:15], exec
	s_and_b64 s[20:21], vcc, exec
	v_mov_b32_e32 v12, 0
	s_or_b64 s[14:15], s[14:15], s[20:21]
	s_or_b64 exec, exec, s[16:17]
	s_and_saveexec_b64 s[16:17], s[14:15]
	s_cbranch_execnz .LBB66_2181
	s_branch .LBB66_2182
.LBB66_2201:
	s_mov_b64 s[0:1], -1
                                        ; implicit-def: $vgpr12
.LBB66_2202:
	s_mov_b64 s[20:21], 0
.LBB66_2203:
	s_mov_b64 s[14:15], 0
	s_and_b64 vcc, exec, s[20:21]
	s_cbranch_vccz .LBB66_2205
; %bb.2204:
	v_mov_b32_e32 v3, 11
	v_cmp_ne_u16_sdwa s[0:1], v9, v3 src0_sel:BYTE_0 src1_sel:DWORD
	s_mov_b64 s[14:15], -1
                                        ; implicit-def: $vgpr12
.LBB66_2205:
	s_and_b64 vcc, exec, s[0:1]
	s_cbranch_vccnz .LBB66_2270
; %bb.2206:
	s_andn2_b64 vcc, exec, s[14:15]
	s_cbranch_vccnz .LBB66_2208
.LBB66_2207:
	global_load_ubyte v3, v[4:5], off
	s_mov_b64 s[16:17], -1
	s_waitcnt vmcnt(0)
	v_cmp_ne_u16_e32 vcc, 0, v3
	v_cndmask_b32_e64 v12, 0, 1.0, vcc
.LBB66_2208:
	s_mov_b64 s[0:1], 0
.LBB66_2209:
	s_and_b64 vcc, exec, s[0:1]
	s_cbranch_vccz .LBB66_2258
; %bb.2210:
	v_mov_b32_e32 v3, 5
	v_cmp_lt_i16_sdwa s[0:1], v9, v3 src0_sel:BYTE_0 src1_sel:DWORD
	s_and_b64 vcc, exec, s[0:1]
	s_cbranch_vccnz .LBB66_2215
; %bb.2211:
	v_mov_b32_e32 v3, 8
	v_cmp_lt_i16_sdwa s[0:1], v9, v3 src0_sel:BYTE_0 src1_sel:DWORD
	s_and_b64 vcc, exec, s[0:1]
	s_cbranch_vccnz .LBB66_2216
	;; [unrolled: 5-line block ×3, first 2 shown]
; %bb.2213:
	v_cmp_gt_i16_sdwa s[0:1], v9, v3 src0_sel:BYTE_0 src1_sel:DWORD
	s_and_b64 vcc, exec, s[0:1]
	s_cbranch_vccz .LBB66_2218
; %bb.2214:
	global_load_dwordx2 v[12:13], v[4:5], off
	s_mov_b64 s[0:1], 0
	s_waitcnt vmcnt(0)
	v_cvt_f32_f64_e32 v12, v[12:13]
	s_branch .LBB66_2219
.LBB66_2215:
	s_mov_b64 s[0:1], -1
                                        ; implicit-def: $vgpr12
	s_branch .LBB66_2237
.LBB66_2216:
	s_mov_b64 s[0:1], -1
                                        ; implicit-def: $vgpr12
	s_branch .LBB66_2225
.LBB66_2217:
	s_mov_b64 s[0:1], -1
                                        ; implicit-def: $vgpr12
	s_branch .LBB66_2222
.LBB66_2218:
	s_mov_b64 s[0:1], -1
                                        ; implicit-def: $vgpr12
.LBB66_2219:
	s_andn2_b64 vcc, exec, s[0:1]
	s_cbranch_vccnz .LBB66_2221
; %bb.2220:
	global_load_dword v12, v[4:5], off
.LBB66_2221:
	s_mov_b64 s[0:1], 0
.LBB66_2222:
	s_andn2_b64 vcc, exec, s[0:1]
	s_cbranch_vccnz .LBB66_2224
; %bb.2223:
	global_load_dword v3, v[4:5], off
	s_waitcnt vmcnt(0)
	v_cvt_f32_f16_e32 v12, v3
.LBB66_2224:
	s_mov_b64 s[0:1], 0
.LBB66_2225:
	s_andn2_b64 vcc, exec, s[0:1]
	s_cbranch_vccnz .LBB66_2236
; %bb.2226:
	v_mov_b32_e32 v3, 6
	v_cmp_lt_i16_sdwa s[0:1], v9, v3 src0_sel:BYTE_0 src1_sel:DWORD
	s_and_b64 vcc, exec, s[0:1]
	s_cbranch_vccnz .LBB66_2229
; %bb.2227:
	v_cmp_gt_i16_sdwa s[0:1], v9, v3 src0_sel:BYTE_0 src1_sel:DWORD
	s_and_b64 vcc, exec, s[0:1]
	s_cbranch_vccz .LBB66_2230
; %bb.2228:
	global_load_dwordx2 v[12:13], v[4:5], off
	s_mov_b64 s[0:1], 0
	s_waitcnt vmcnt(0)
	v_cvt_f32_f64_e32 v12, v[12:13]
	s_branch .LBB66_2231
.LBB66_2229:
	s_mov_b64 s[0:1], -1
                                        ; implicit-def: $vgpr12
	s_branch .LBB66_2234
.LBB66_2230:
	s_mov_b64 s[0:1], -1
                                        ; implicit-def: $vgpr12
.LBB66_2231:
	s_andn2_b64 vcc, exec, s[0:1]
	s_cbranch_vccnz .LBB66_2233
; %bb.2232:
	global_load_dword v12, v[4:5], off
.LBB66_2233:
	s_mov_b64 s[0:1], 0
.LBB66_2234:
	s_andn2_b64 vcc, exec, s[0:1]
	s_cbranch_vccnz .LBB66_2236
; %bb.2235:
	global_load_ushort v3, v[4:5], off
	s_waitcnt vmcnt(0)
	v_cvt_f32_f16_e32 v12, v3
.LBB66_2236:
	s_mov_b64 s[0:1], 0
.LBB66_2237:
	s_andn2_b64 vcc, exec, s[0:1]
	s_cbranch_vccnz .LBB66_2257
; %bb.2238:
	v_mov_b32_e32 v3, 2
	v_cmp_lt_i16_sdwa s[0:1], v9, v3 src0_sel:BYTE_0 src1_sel:DWORD
	s_and_b64 vcc, exec, s[0:1]
	s_cbranch_vccnz .LBB66_2242
; %bb.2239:
	v_mov_b32_e32 v3, 3
	v_cmp_lt_i16_sdwa s[0:1], v9, v3 src0_sel:BYTE_0 src1_sel:DWORD
	s_and_b64 vcc, exec, s[0:1]
	s_cbranch_vccnz .LBB66_2243
; %bb.2240:
	v_cmp_gt_i16_sdwa s[0:1], v9, v3 src0_sel:BYTE_0 src1_sel:DWORD
	s_and_b64 vcc, exec, s[0:1]
	s_cbranch_vccz .LBB66_2244
; %bb.2241:
	global_load_dwordx2 v[12:13], v[4:5], off
	s_mov_b64 s[0:1], 0
	s_waitcnt vmcnt(0)
	v_xor_b32_e32 v7, v12, v13
	v_ffbh_i32_e32 v3, v13
	v_ashrrev_i32_e32 v7, 31, v7
	v_add_u32_e32 v3, -1, v3
	v_add_u32_e32 v7, 32, v7
	v_min_u32_e32 v3, v3, v7
	v_lshlrev_b64 v[12:13], v3, v[12:13]
	v_min_u32_e32 v7, 1, v12
	v_or_b32_e32 v7, v13, v7
	v_cvt_f32_i32_e32 v7, v7
	v_sub_u32_e32 v3, 32, v3
	v_ldexp_f32 v12, v7, v3
	s_branch .LBB66_2245
.LBB66_2242:
	s_mov_b64 s[0:1], -1
                                        ; implicit-def: $vgpr12
	s_branch .LBB66_2251
.LBB66_2243:
	s_mov_b64 s[0:1], -1
                                        ; implicit-def: $vgpr12
	s_branch .LBB66_2248
.LBB66_2244:
	s_mov_b64 s[0:1], -1
                                        ; implicit-def: $vgpr12
.LBB66_2245:
	s_andn2_b64 vcc, exec, s[0:1]
	s_cbranch_vccnz .LBB66_2247
; %bb.2246:
	global_load_dword v3, v[4:5], off
	s_waitcnt vmcnt(0)
	v_cvt_f32_i32_e32 v12, v3
.LBB66_2247:
	s_mov_b64 s[0:1], 0
.LBB66_2248:
	s_andn2_b64 vcc, exec, s[0:1]
	s_cbranch_vccnz .LBB66_2250
; %bb.2249:
	global_load_sshort v3, v[4:5], off
	s_waitcnt vmcnt(0)
	v_cvt_f32_i32_e32 v12, v3
.LBB66_2250:
	s_mov_b64 s[0:1], 0
.LBB66_2251:
	s_andn2_b64 vcc, exec, s[0:1]
	s_cbranch_vccnz .LBB66_2257
; %bb.2252:
	v_mov_b32_e32 v3, 0
	v_cmp_gt_i16_sdwa s[0:1], v9, v3 src0_sel:BYTE_0 src1_sel:DWORD
	s_and_b64 vcc, exec, s[0:1]
	s_cbranch_vccz .LBB66_2254
; %bb.2253:
	global_load_sbyte v3, v[4:5], off
	s_mov_b64 s[0:1], 0
	s_waitcnt vmcnt(0)
	v_cvt_f32_i32_e32 v12, v3
	s_branch .LBB66_2255
.LBB66_2254:
	s_mov_b64 s[0:1], -1
                                        ; implicit-def: $vgpr12
.LBB66_2255:
	s_andn2_b64 vcc, exec, s[0:1]
	s_cbranch_vccnz .LBB66_2257
; %bb.2256:
	global_load_ubyte v3, v[4:5], off
	s_waitcnt vmcnt(0)
	v_cvt_f32_ubyte0_e32 v12, v3
.LBB66_2257:
	s_mov_b64 s[16:17], -1
.LBB66_2258:
	s_andn2_b64 vcc, exec, s[16:17]
	s_cbranch_vccnz .LBB66_2682
; %bb.2259:
	v_add_u32_e32 v3, s26, v6
	v_ashrrev_i32_e32 v5, 31, v3
	v_mov_b32_e32 v6, s3
	v_add_co_u32_e32 v4, vcc, s2, v3
	v_addc_co_u32_e32 v5, vcc, v6, v5, vcc
	v_mov_b32_e32 v6, 11
	v_cmp_lt_i16_sdwa s[0:1], v8, v6 src0_sel:BYTE_0 src1_sel:DWORD
	s_and_b64 vcc, exec, s[0:1]
	s_cbranch_vccnz .LBB66_2266
; %bb.2260:
	v_mov_b32_e32 v6, 25
	v_cmp_gt_i16_sdwa s[0:1], v8, v6 src0_sel:BYTE_0 src1_sel:DWORD
	s_mov_b64 s[14:15], 0
	s_and_b64 vcc, exec, s[0:1]
	s_cbranch_vccz .LBB66_2267
; %bb.2261:
	v_mov_b32_e32 v6, 28
	v_cmp_gt_i16_sdwa s[0:1], v8, v6 src0_sel:BYTE_0 src1_sel:DWORD
	s_and_b64 vcc, exec, s[0:1]
	s_cbranch_vccz .LBB66_2268
; %bb.2262:
	v_mov_b32_e32 v6, 43
	v_cmp_gt_i16_sdwa s[0:1], v8, v6 src0_sel:BYTE_0 src1_sel:DWORD
	;; [unrolled: 5-line block ×3, first 2 shown]
	s_and_b64 vcc, exec, s[0:1]
	s_cbranch_vccz .LBB66_2271
; %bb.2264:
	v_mov_b32_e32 v6, 46
	v_cmp_eq_u16_sdwa s[0:1], v8, v6 src0_sel:BYTE_0 src1_sel:DWORD
	s_mov_b64 s[20:21], 0
	s_and_b64 vcc, exec, s[0:1]
	s_cbranch_vccz .LBB66_2274
; %bb.2265:
	global_load_dword v6, v[4:5], off
	s_mov_b64 s[0:1], 0
	s_mov_b64 s[16:17], -1
	s_waitcnt vmcnt(0)
	v_lshlrev_b32_e32 v6, 16, v6
	s_branch .LBB66_2275
.LBB66_2266:
	s_mov_b64 s[0:1], -1
	s_mov_b64 s[16:17], 0
                                        ; implicit-def: $vgpr6
	s_branch .LBB66_2341
.LBB66_2267:
	s_mov_b64 s[20:21], -1
	s_mov_b64 s[16:17], 0
	s_mov_b64 s[0:1], 0
                                        ; implicit-def: $vgpr6
	s_branch .LBB66_2304
.LBB66_2268:
	s_mov_b64 s[20:21], -1
	s_mov_b64 s[16:17], 0
	s_mov_b64 s[0:1], 0
                                        ; implicit-def: $vgpr6
	s_branch .LBB66_2285
.LBB66_2269:
	s_mov_b64 s[20:21], -1
	s_mov_b64 s[16:17], 0
	s_mov_b64 s[0:1], 0
                                        ; implicit-def: $vgpr6
	s_branch .LBB66_2280
.LBB66_2270:
	s_trap 2
	s_or_b64 s[18:19], s[18:19], exec
                                        ; implicit-def: $vgpr12
	s_cbranch_execz .LBB66_2207
	s_branch .LBB66_2208
.LBB66_2271:
	s_mov_b64 s[20:21], -1
	s_mov_b64 s[16:17], 0
	s_mov_b64 s[0:1], 0
                                        ; implicit-def: $vgpr6
	s_branch .LBB66_2275
.LBB66_2272:
	s_or_saveexec_b64 s[44:45], s[44:45]
                                        ; implicit-def: $sgpr15
	s_xor_b64 exec, exec, s[44:45]
	s_cbranch_execz .LBB66_1121
.LBB66_2273:
	s_mov_b32 s15, 0x42800000
	v_add_f32_e64 v1, |v0|, s15
	v_and_b32_e32 v1, 0xff, v1
	v_cmp_ne_u32_e32 vcc, 0, v1
	s_andn2_b64 s[42:43], s[42:43], exec
	s_and_b64 s[46:47], vcc, exec
	s_mov_b32 s15, 0
	s_or_b64 s[42:43], s[42:43], s[46:47]
	s_or_b64 exec, exec, s[44:45]
	v_mov_b32_e32 v4, s15
	s_and_saveexec_b64 s[44:45], s[42:43]
	s_cbranch_execnz .LBB66_1122
	s_branch .LBB66_1123
.LBB66_2274:
	s_mov_b64 s[0:1], -1
                                        ; implicit-def: $vgpr6
	s_mov_b64 s[16:17], 0
.LBB66_2275:
	s_and_b64 vcc, exec, s[20:21]
	s_cbranch_vccz .LBB66_2279
; %bb.2276:
	v_mov_b32_e32 v6, 44
	v_cmp_eq_u16_sdwa s[0:1], v8, v6 src0_sel:BYTE_0 src1_sel:DWORD
	s_and_b64 vcc, exec, s[0:1]
	s_cbranch_vccz .LBB66_2278
; %bb.2277:
	global_load_ubyte v6, v[4:5], off
	s_movk_i32 s16, 0xff
	v_mov_b32_e32 v7, 0x7f800001
	v_mov_b32_e32 v13, 0x400000
	s_mov_b64 s[0:1], 0
	s_waitcnt vmcnt(0)
	v_lshlrev_b32_e32 v14, 23, v6
	v_cmp_ne_u32_e32 vcc, s16, v6
	v_cndmask_b32_e32 v7, v7, v14, vcc
	v_cmp_ne_u32_e32 vcc, 0, v6
	v_cndmask_b32_e32 v6, v13, v7, vcc
	s_mov_b64 s[16:17], -1
	s_branch .LBB66_2279
.LBB66_2278:
	s_mov_b64 s[0:1], -1
                                        ; implicit-def: $vgpr6
.LBB66_2279:
	s_mov_b64 s[20:21], 0
.LBB66_2280:
	s_and_b64 vcc, exec, s[20:21]
	s_cbranch_vccz .LBB66_2284
; %bb.2281:
	v_mov_b32_e32 v6, 29
	v_cmp_eq_u16_sdwa s[0:1], v8, v6 src0_sel:BYTE_0 src1_sel:DWORD
	s_and_b64 vcc, exec, s[0:1]
	s_cbranch_vccz .LBB66_2283
; %bb.2282:
	global_load_dwordx2 v[6:7], v[4:5], off
	s_mov_b64 s[0:1], 0
	s_mov_b64 s[16:17], -1
	s_mov_b64 s[20:21], 0
	s_waitcnt vmcnt(0)
	v_ffbh_u32_e32 v13, v7
	v_min_u32_e32 v13, 32, v13
	v_lshlrev_b64 v[6:7], v13, v[6:7]
	v_min_u32_e32 v6, 1, v6
	v_or_b32_e32 v6, v7, v6
	v_cvt_f32_u32_e32 v6, v6
	v_sub_u32_e32 v7, 32, v13
	v_ldexp_f32 v6, v6, v7
	s_branch .LBB66_2285
.LBB66_2283:
	s_mov_b64 s[0:1], -1
                                        ; implicit-def: $vgpr6
.LBB66_2284:
	s_mov_b64 s[20:21], 0
.LBB66_2285:
	s_and_b64 vcc, exec, s[20:21]
	s_cbranch_vccz .LBB66_2303
; %bb.2286:
	v_mov_b32_e32 v6, 27
	v_cmp_lt_i16_sdwa s[16:17], v8, v6 src0_sel:BYTE_0 src1_sel:DWORD
	s_and_b64 vcc, exec, s[16:17]
	s_cbranch_vccnz .LBB66_2289
; %bb.2287:
	v_cmp_gt_i16_sdwa s[16:17], v8, v6 src0_sel:BYTE_0 src1_sel:DWORD
	s_and_b64 vcc, exec, s[16:17]
	s_cbranch_vccz .LBB66_2290
; %bb.2288:
	global_load_dword v6, v[4:5], off
	s_mov_b64 s[16:17], 0
	s_waitcnt vmcnt(0)
	v_cvt_f32_u32_e32 v6, v6
	s_branch .LBB66_2291
.LBB66_2289:
	s_mov_b64 s[16:17], -1
                                        ; implicit-def: $vgpr6
	s_branch .LBB66_2294
.LBB66_2290:
	s_mov_b64 s[16:17], -1
                                        ; implicit-def: $vgpr6
.LBB66_2291:
	s_andn2_b64 vcc, exec, s[16:17]
	s_cbranch_vccnz .LBB66_2293
; %bb.2292:
	global_load_ushort v6, v[4:5], off
	s_waitcnt vmcnt(0)
	v_cvt_f32_u32_e32 v6, v6
.LBB66_2293:
	s_mov_b64 s[16:17], 0
.LBB66_2294:
	s_andn2_b64 vcc, exec, s[16:17]
	s_cbranch_vccnz .LBB66_2302
; %bb.2295:
	global_load_ubyte v7, v[4:5], off
	s_movk_i32 s16, 0x7f
                                        ; implicit-def: $sgpr24
	s_waitcnt vmcnt(0)
	v_cmp_lt_i16_e32 vcc, s16, v7
	s_mov_b64 s[16:17], 0
	s_and_saveexec_b64 s[20:21], vcc
	s_xor_b64 s[20:21], exec, s[20:21]
	s_cbranch_execz .LBB66_2316
; %bb.2296:
	s_movk_i32 s16, 0x80
	v_cmp_eq_u16_e32 vcc, s16, v7
	s_mov_b64 s[16:17], -1
                                        ; implicit-def: $sgpr24
	s_and_saveexec_b64 s[22:23], vcc
; %bb.2297:
	s_mov_b32 s24, 0x7f800001
	s_xor_b64 s[16:17], exec, -1
; %bb.2298:
	s_or_b64 exec, exec, s[22:23]
	s_and_b64 s[16:17], s[16:17], exec
	s_or_saveexec_b64 s[20:21], s[20:21]
	v_mov_b32_e32 v6, s24
	s_xor_b64 exec, exec, s[20:21]
	s_cbranch_execnz .LBB66_2317
.LBB66_2299:
	s_or_b64 exec, exec, s[20:21]
	s_and_saveexec_b64 s[20:21], s[16:17]
	s_cbranch_execz .LBB66_2301
.LBB66_2300:
	v_lshlrev_b32_e32 v6, 24, v7
	v_and_b32_e32 v7, 0xffff, v7
	v_and_b32_e32 v13, 7, v7
	v_ffbh_u32_e32 v15, v13
	v_min_u32_e32 v15, 32, v15
	v_subrev_u32_e32 v16, 28, v15
	v_bfe_u32 v14, v7, 3, 4
	v_lshlrev_b32_e32 v7, v16, v7
	v_sub_u32_e32 v15, 29, v15
	v_and_b32_e32 v7, 7, v7
	v_cmp_eq_u32_e32 vcc, 0, v14
	v_cndmask_b32_e32 v14, v14, v15, vcc
	v_cndmask_b32_e32 v7, v13, v7, vcc
	v_mov_b32_e32 v13, 0x3b800000
	v_lshlrev_b32_e32 v7, 20, v7
	v_and_b32_e32 v6, 0x80000000, v6
	v_lshl_add_u32 v13, v14, 23, v13
	v_or3_b32 v6, v6, v13, v7
.LBB66_2301:
	s_or_b64 exec, exec, s[20:21]
.LBB66_2302:
	s_mov_b64 s[16:17], -1
.LBB66_2303:
	s_mov_b64 s[20:21], 0
.LBB66_2304:
	s_and_b64 vcc, exec, s[20:21]
	s_cbranch_vccz .LBB66_2337
; %bb.2305:
	v_mov_b32_e32 v6, 22
	v_cmp_gt_i16_sdwa s[14:15], v8, v6 src0_sel:BYTE_0 src1_sel:DWORD
	s_and_b64 vcc, exec, s[14:15]
	s_cbranch_vccz .LBB66_2315
; %bb.2306:
	v_mov_b32_e32 v6, 24
	v_cmp_lt_i16_sdwa s[14:15], v8, v6 src0_sel:BYTE_0 src1_sel:DWORD
	s_and_b64 vcc, exec, s[14:15]
	s_cbranch_vccnz .LBB66_2318
; %bb.2307:
	v_cmp_gt_i16_sdwa s[14:15], v8, v6 src0_sel:BYTE_0 src1_sel:DWORD
	s_and_b64 vcc, exec, s[14:15]
	s_cbranch_vccz .LBB66_2319
; %bb.2308:
	global_load_ubyte v7, v[4:5], off
	s_movk_i32 s14, 0x7f
                                        ; implicit-def: $sgpr22
	s_waitcnt vmcnt(0)
	v_cmp_lt_i16_e32 vcc, s14, v7
	s_mov_b64 s[14:15], 0
	s_and_saveexec_b64 s[16:17], vcc
	s_xor_b64 s[16:17], exec, s[16:17]
	s_cbranch_execz .LBB66_2331
; %bb.2309:
	s_movk_i32 s14, 0x80
	v_cmp_eq_u16_e32 vcc, s14, v7
	s_mov_b64 s[14:15], -1
                                        ; implicit-def: $sgpr22
	s_and_saveexec_b64 s[20:21], vcc
; %bb.2310:
	s_mov_b32 s22, 0x7f800001
	s_xor_b64 s[14:15], exec, -1
; %bb.2311:
	s_or_b64 exec, exec, s[20:21]
	s_and_b64 s[14:15], s[14:15], exec
	s_or_saveexec_b64 s[16:17], s[16:17]
	v_mov_b32_e32 v6, s22
	s_xor_b64 exec, exec, s[16:17]
	s_cbranch_execnz .LBB66_2332
.LBB66_2312:
	s_or_b64 exec, exec, s[16:17]
	s_and_saveexec_b64 s[16:17], s[14:15]
	s_cbranch_execz .LBB66_2314
.LBB66_2313:
	v_lshlrev_b32_e32 v6, 24, v7
	v_and_b32_e32 v7, 0xffff, v7
	v_and_b32_e32 v13, 3, v7
	v_ffbh_u32_e32 v15, v13
	v_min_u32_e32 v15, 32, v15
	v_subrev_u32_e32 v16, 29, v15
	v_bfe_u32 v14, v7, 2, 5
	v_lshlrev_b32_e32 v7, v16, v7
	v_sub_u32_e32 v15, 30, v15
	v_and_b32_e32 v7, 3, v7
	v_cmp_eq_u32_e32 vcc, 0, v14
	v_cndmask_b32_e32 v14, v14, v15, vcc
	v_cndmask_b32_e32 v7, v13, v7, vcc
	v_mov_b32_e32 v13, 0x37800000
	v_lshlrev_b32_e32 v7, 21, v7
	v_and_b32_e32 v6, 0x80000000, v6
	v_lshl_add_u32 v13, v14, 23, v13
	v_or3_b32 v6, v6, v13, v7
.LBB66_2314:
	s_or_b64 exec, exec, s[16:17]
	s_mov_b64 s[14:15], 0
	s_branch .LBB66_2320
.LBB66_2315:
	s_mov_b64 s[14:15], -1
                                        ; implicit-def: $vgpr6
	s_branch .LBB66_2326
.LBB66_2316:
	s_or_saveexec_b64 s[20:21], s[20:21]
	v_mov_b32_e32 v6, s24
	s_xor_b64 exec, exec, s[20:21]
	s_cbranch_execz .LBB66_2299
.LBB66_2317:
	v_cmp_ne_u16_e32 vcc, 0, v7
	s_andn2_b64 s[16:17], s[16:17], exec
	s_and_b64 s[22:23], vcc, exec
	v_mov_b32_e32 v6, 0
	s_or_b64 s[16:17], s[16:17], s[22:23]
	s_or_b64 exec, exec, s[20:21]
	s_and_saveexec_b64 s[20:21], s[16:17]
	s_cbranch_execnz .LBB66_2300
	s_branch .LBB66_2301
.LBB66_2318:
	s_mov_b64 s[14:15], -1
                                        ; implicit-def: $vgpr6
	s_branch .LBB66_2323
.LBB66_2319:
	s_mov_b64 s[14:15], -1
                                        ; implicit-def: $vgpr6
.LBB66_2320:
	s_and_b64 vcc, exec, s[14:15]
	s_cbranch_vccz .LBB66_2322
; %bb.2321:
	global_load_ubyte v6, v[4:5], off
	s_mov_b32 s14, 0x7f800000
	s_waitcnt vmcnt(0)
	v_lshlrev_b32_e32 v6, 24, v6
	v_and_b32_e32 v7, 0x7f000000, v6
	v_ffbh_u32_e32 v13, v7
	v_min_u32_e32 v13, 32, v13
	v_sub_u32_e64 v13, v13, 4 clamp
	v_lshlrev_b32_e32 v15, v13, v7
	v_lshlrev_b32_e32 v13, 23, v13
	v_lshrrev_b32_e32 v15, 4, v15
	v_add_u32_e32 v14, 0x1000000, v7
	v_sub_u32_e32 v13, v15, v13
	v_ashrrev_i32_e32 v14, 8, v14
	v_add_u32_e32 v13, 0x3c000000, v13
	v_and_or_b32 v13, v14, s14, v13
	v_cmp_ne_u32_e32 vcc, 0, v7
	v_cndmask_b32_e32 v7, 0, v13, vcc
	s_brev_b32 s14, 1
	v_and_or_b32 v6, v6, s14, v7
.LBB66_2322:
	s_mov_b64 s[14:15], 0
.LBB66_2323:
	s_andn2_b64 vcc, exec, s[14:15]
	s_cbranch_vccnz .LBB66_2325
; %bb.2324:
	global_load_ubyte v6, v[4:5], off
	s_movk_i32 s14, 0x7f00
	s_brev_b32 s15, 16
	s_waitcnt vmcnt(0)
	v_lshlrev_b16_e32 v7, 8, v6
	v_lshlrev_b32_e32 v6, 25, v6
	v_lshrrev_b32_e32 v13, 4, v6
	v_and_or_b32 v14, v7, s14, 0.5
	v_or_b32_e32 v13, 0x70000000, v13
	v_add_f32_e32 v14, -0.5, v14
	v_mul_f32_e32 v13, 0x7800000, v13
	v_cmp_gt_u32_e32 vcc, s15, v6
	v_bfe_i32 v7, v7, 0, 16
	v_cndmask_b32_e32 v6, v13, v14, vcc
	s_brev_b32 s14, 1
	v_and_or_b32 v6, v7, s14, v6
.LBB66_2325:
	s_mov_b64 s[14:15], 0
	s_mov_b64 s[16:17], -1
.LBB66_2326:
	s_andn2_b64 vcc, exec, s[14:15]
	s_mov_b64 s[14:15], 0
	s_cbranch_vccnz .LBB66_2337
; %bb.2327:
	v_mov_b32_e32 v6, 14
	v_cmp_gt_i16_sdwa s[14:15], v8, v6 src0_sel:BYTE_0 src1_sel:DWORD
	s_and_b64 vcc, exec, s[14:15]
	s_cbranch_vccz .LBB66_2330
; %bb.2328:
	v_mov_b32_e32 v6, 15
	v_cmp_eq_u16_sdwa s[0:1], v8, v6 src0_sel:BYTE_0 src1_sel:DWORD
	s_and_b64 vcc, exec, s[0:1]
	s_cbranch_vccz .LBB66_2333
; %bb.2329:
	global_load_ushort v6, v[4:5], off
	s_mov_b64 s[0:1], 0
	s_mov_b64 s[16:17], -1
	s_waitcnt vmcnt(0)
	v_lshlrev_b32_e32 v6, 16, v6
	s_branch .LBB66_2334
.LBB66_2330:
	s_mov_b64 s[20:21], -1
                                        ; implicit-def: $vgpr6
	s_branch .LBB66_2335
.LBB66_2331:
	s_or_saveexec_b64 s[16:17], s[16:17]
	v_mov_b32_e32 v6, s22
	s_xor_b64 exec, exec, s[16:17]
	s_cbranch_execz .LBB66_2312
.LBB66_2332:
	v_cmp_ne_u16_e32 vcc, 0, v7
	s_andn2_b64 s[14:15], s[14:15], exec
	s_and_b64 s[20:21], vcc, exec
	v_mov_b32_e32 v6, 0
	s_or_b64 s[14:15], s[14:15], s[20:21]
	s_or_b64 exec, exec, s[16:17]
	s_and_saveexec_b64 s[16:17], s[14:15]
	s_cbranch_execnz .LBB66_2313
	s_branch .LBB66_2314
.LBB66_2333:
	s_mov_b64 s[0:1], -1
                                        ; implicit-def: $vgpr6
.LBB66_2334:
	s_mov_b64 s[20:21], 0
.LBB66_2335:
	s_mov_b64 s[14:15], 0
	s_and_b64 vcc, exec, s[20:21]
	s_cbranch_vccz .LBB66_2337
; %bb.2336:
	v_mov_b32_e32 v6, 11
	v_cmp_ne_u16_sdwa s[0:1], v8, v6 src0_sel:BYTE_0 src1_sel:DWORD
	s_mov_b64 s[14:15], -1
                                        ; implicit-def: $vgpr6
.LBB66_2337:
	s_and_b64 vcc, exec, s[0:1]
	s_cbranch_vccnz .LBB66_2414
; %bb.2338:
	s_andn2_b64 vcc, exec, s[14:15]
	s_cbranch_vccnz .LBB66_2340
.LBB66_2339:
	global_load_ubyte v6, v[4:5], off
	s_mov_b64 s[16:17], -1
	s_waitcnt vmcnt(0)
	v_cmp_ne_u16_e32 vcc, 0, v6
	v_cndmask_b32_e64 v6, 0, 1.0, vcc
.LBB66_2340:
	s_mov_b64 s[0:1], 0
.LBB66_2341:
	s_and_b64 vcc, exec, s[0:1]
	s_cbranch_vccz .LBB66_2390
; %bb.2342:
	v_mov_b32_e32 v6, 5
	v_cmp_lt_i16_sdwa s[0:1], v8, v6 src0_sel:BYTE_0 src1_sel:DWORD
	s_and_b64 vcc, exec, s[0:1]
	s_cbranch_vccnz .LBB66_2347
; %bb.2343:
	v_mov_b32_e32 v6, 8
	v_cmp_lt_i16_sdwa s[0:1], v8, v6 src0_sel:BYTE_0 src1_sel:DWORD
	s_and_b64 vcc, exec, s[0:1]
	s_cbranch_vccnz .LBB66_2348
	;; [unrolled: 5-line block ×3, first 2 shown]
; %bb.2345:
	v_cmp_gt_i16_sdwa s[0:1], v8, v6 src0_sel:BYTE_0 src1_sel:DWORD
	s_and_b64 vcc, exec, s[0:1]
	s_cbranch_vccz .LBB66_2350
; %bb.2346:
	global_load_dwordx2 v[6:7], v[4:5], off
	s_mov_b64 s[0:1], 0
	s_waitcnt vmcnt(0)
	v_cvt_f32_f64_e32 v6, v[6:7]
	s_branch .LBB66_2351
.LBB66_2347:
	s_mov_b64 s[0:1], -1
                                        ; implicit-def: $vgpr6
	s_branch .LBB66_2369
.LBB66_2348:
	s_mov_b64 s[0:1], -1
                                        ; implicit-def: $vgpr6
	s_branch .LBB66_2357
.LBB66_2349:
	s_mov_b64 s[0:1], -1
                                        ; implicit-def: $vgpr6
	s_branch .LBB66_2354
.LBB66_2350:
	s_mov_b64 s[0:1], -1
                                        ; implicit-def: $vgpr6
.LBB66_2351:
	s_andn2_b64 vcc, exec, s[0:1]
	s_cbranch_vccnz .LBB66_2353
; %bb.2352:
	global_load_dword v6, v[4:5], off
.LBB66_2353:
	s_mov_b64 s[0:1], 0
.LBB66_2354:
	s_andn2_b64 vcc, exec, s[0:1]
	s_cbranch_vccnz .LBB66_2356
; %bb.2355:
	global_load_dword v6, v[4:5], off
	s_waitcnt vmcnt(0)
	v_cvt_f32_f16_e32 v6, v6
.LBB66_2356:
	s_mov_b64 s[0:1], 0
.LBB66_2357:
	s_andn2_b64 vcc, exec, s[0:1]
	s_cbranch_vccnz .LBB66_2368
; %bb.2358:
	s_waitcnt vmcnt(0)
	v_mov_b32_e32 v6, 6
	v_cmp_lt_i16_sdwa s[0:1], v8, v6 src0_sel:BYTE_0 src1_sel:DWORD
	s_and_b64 vcc, exec, s[0:1]
	s_cbranch_vccnz .LBB66_2361
; %bb.2359:
	v_cmp_gt_i16_sdwa s[0:1], v8, v6 src0_sel:BYTE_0 src1_sel:DWORD
	s_and_b64 vcc, exec, s[0:1]
	s_cbranch_vccz .LBB66_2362
; %bb.2360:
	global_load_dwordx2 v[6:7], v[4:5], off
	s_mov_b64 s[0:1], 0
	s_waitcnt vmcnt(0)
	v_cvt_f32_f64_e32 v6, v[6:7]
	s_branch .LBB66_2363
.LBB66_2361:
	s_mov_b64 s[0:1], -1
                                        ; implicit-def: $vgpr6
	s_branch .LBB66_2366
.LBB66_2362:
	s_mov_b64 s[0:1], -1
                                        ; implicit-def: $vgpr6
.LBB66_2363:
	s_andn2_b64 vcc, exec, s[0:1]
	s_cbranch_vccnz .LBB66_2365
; %bb.2364:
	global_load_dword v6, v[4:5], off
.LBB66_2365:
	s_mov_b64 s[0:1], 0
.LBB66_2366:
	s_andn2_b64 vcc, exec, s[0:1]
	s_cbranch_vccnz .LBB66_2368
; %bb.2367:
	global_load_ushort v6, v[4:5], off
	s_waitcnt vmcnt(0)
	v_cvt_f32_f16_e32 v6, v6
.LBB66_2368:
	s_mov_b64 s[0:1], 0
.LBB66_2369:
	s_andn2_b64 vcc, exec, s[0:1]
	s_cbranch_vccnz .LBB66_2389
; %bb.2370:
	s_waitcnt vmcnt(0)
	v_mov_b32_e32 v6, 2
	v_cmp_lt_i16_sdwa s[0:1], v8, v6 src0_sel:BYTE_0 src1_sel:DWORD
	s_and_b64 vcc, exec, s[0:1]
	s_cbranch_vccnz .LBB66_2374
; %bb.2371:
	v_mov_b32_e32 v6, 3
	v_cmp_lt_i16_sdwa s[0:1], v8, v6 src0_sel:BYTE_0 src1_sel:DWORD
	s_and_b64 vcc, exec, s[0:1]
	s_cbranch_vccnz .LBB66_2375
; %bb.2372:
	v_cmp_gt_i16_sdwa s[0:1], v8, v6 src0_sel:BYTE_0 src1_sel:DWORD
	s_and_b64 vcc, exec, s[0:1]
	s_cbranch_vccz .LBB66_2376
; %bb.2373:
	global_load_dwordx2 v[6:7], v[4:5], off
	s_mov_b64 s[0:1], 0
	s_waitcnt vmcnt(0)
	v_xor_b32_e32 v14, v6, v7
	v_ffbh_i32_e32 v13, v7
	v_ashrrev_i32_e32 v14, 31, v14
	v_add_u32_e32 v13, -1, v13
	v_add_u32_e32 v14, 32, v14
	v_min_u32_e32 v13, v13, v14
	v_lshlrev_b64 v[6:7], v13, v[6:7]
	v_min_u32_e32 v6, 1, v6
	v_or_b32_e32 v6, v7, v6
	v_cvt_f32_i32_e32 v6, v6
	v_sub_u32_e32 v7, 32, v13
	v_ldexp_f32 v6, v6, v7
	s_branch .LBB66_2377
.LBB66_2374:
	s_mov_b64 s[0:1], -1
                                        ; implicit-def: $vgpr6
	s_branch .LBB66_2383
.LBB66_2375:
	s_mov_b64 s[0:1], -1
                                        ; implicit-def: $vgpr6
	s_branch .LBB66_2380
.LBB66_2376:
	s_mov_b64 s[0:1], -1
                                        ; implicit-def: $vgpr6
.LBB66_2377:
	s_andn2_b64 vcc, exec, s[0:1]
	s_cbranch_vccnz .LBB66_2379
; %bb.2378:
	global_load_dword v6, v[4:5], off
	s_waitcnt vmcnt(0)
	v_cvt_f32_i32_e32 v6, v6
.LBB66_2379:
	s_mov_b64 s[0:1], 0
.LBB66_2380:
	s_andn2_b64 vcc, exec, s[0:1]
	s_cbranch_vccnz .LBB66_2382
; %bb.2381:
	global_load_sshort v6, v[4:5], off
	s_waitcnt vmcnt(0)
	v_cvt_f32_i32_e32 v6, v6
.LBB66_2382:
	s_mov_b64 s[0:1], 0
.LBB66_2383:
	s_andn2_b64 vcc, exec, s[0:1]
	s_cbranch_vccnz .LBB66_2389
; %bb.2384:
	v_mov_b32_e32 v6, 0
	v_cmp_gt_i16_sdwa s[0:1], v8, v6 src0_sel:BYTE_0 src1_sel:DWORD
	s_and_b64 vcc, exec, s[0:1]
	s_cbranch_vccz .LBB66_2386
; %bb.2385:
	global_load_sbyte v6, v[4:5], off
	s_mov_b64 s[0:1], 0
	s_waitcnt vmcnt(0)
	v_cvt_f32_i32_e32 v6, v6
	s_branch .LBB66_2387
.LBB66_2386:
	s_mov_b64 s[0:1], -1
                                        ; implicit-def: $vgpr6
.LBB66_2387:
	s_andn2_b64 vcc, exec, s[0:1]
	s_cbranch_vccnz .LBB66_2389
; %bb.2388:
	global_load_ubyte v4, v[4:5], off
	s_waitcnt vmcnt(0)
	v_cvt_f32_ubyte0_e32 v6, v4
.LBB66_2389:
	s_mov_b64 s[16:17], -1
.LBB66_2390:
	s_andn2_b64 vcc, exec, s[16:17]
	s_cbranch_vccnz .LBB66_2682
; %bb.2391:
	s_waitcnt vmcnt(0)
	v_trunc_f32_e32 v4, v6
	s_mov_b32 s0, 0x2f800000
	v_mul_f32_e64 v5, |v4|, s0
	v_floor_f32_e32 v5, v5
	s_mov_b32 s0, 0xcf800000
	v_cvt_u32_f32_e32 v6, v5
	v_fma_f32 v5, v5, s0, |v4|
	v_cvt_u32_f32_e32 v5, v5
	v_ashrrev_i32_e32 v4, 31, v4
	v_xor_b32_e32 v7, v6, v4
	v_xor_b32_e32 v5, v5, v4
	v_sub_co_u32_e32 v6, vcc, v5, v4
	v_subb_co_u32_e32 v7, vcc, v7, v4, vcc
	v_cmp_lt_i64_e32 vcc, -1, v[6:7]
	v_mov_b32_e32 v4, 0
	s_and_saveexec_b64 s[0:1], vcc
	s_cbranch_execz .LBB66_2403
; %bb.2392:
	v_cmp_lt_i64_e32 vcc, 0, v[6:7]
	v_mov_b32_e32 v4, 1.0
	s_and_saveexec_b64 s[14:15], vcc
	s_cbranch_execz .LBB66_2402
; %bb.2393:
	v_cmp_ne_u64_e32 vcc, 1, v[6:7]
                                        ; implicit-def: $vgpr4
	s_and_saveexec_b64 s[16:17], vcc
	s_xor_b64 s[16:17], exec, s[16:17]
	s_cbranch_execz .LBB66_2399
; %bb.2394:
	s_mov_b64 s[20:21], 0x81
	v_cmp_gt_u64_e32 vcc, s[20:21], v[6:7]
	v_mov_b32_e32 v4, 0x7fc00000
	s_and_saveexec_b64 s[20:21], vcc
	s_cbranch_execz .LBB66_2398
; %bb.2395:
	s_mov_b64 s[24:25], 1
	s_mov_b64 s[22:23], 0
	v_mov_b32_e32 v5, 1.0
	v_mov_b32_e32 v4, v12
.LBB66_2396:                            ; =>This Inner Loop Header: Depth=1
	s_flbit_i32_b32 s27, s25
	s_min_u32 s27, s27, 32
	s_lshl_b64 s[28:29], s[24:25], s27
	s_min_u32 s28, s28, 1
	s_or_b32 s28, s29, s28
	v_cvt_f32_u32_e32 v13, s28
	s_sub_i32 s27, 32, s27
	s_add_u32 s24, s24, 1
	s_addc_u32 s25, s25, 0
	v_ldexp_f32 v13, v13, s27
	v_cmp_eq_u64_e32 vcc, s[24:25], v[6:7]
	v_mul_f32_e32 v13, v5, v13
	s_or_b64 s[22:23], vcc, s[22:23]
	v_mov_b32_e32 v5, v4
	v_fma_f32 v4, v12, v4, -v13
	s_andn2_b64 exec, exec, s[22:23]
	s_cbranch_execnz .LBB66_2396
; %bb.2397:
	s_or_b64 exec, exec, s[22:23]
.LBB66_2398:
	s_or_b64 exec, exec, s[20:21]
                                        ; implicit-def: $vgpr12
.LBB66_2399:
	s_andn2_saveexec_b64 s[16:17], s[16:17]
; %bb.2400:
	v_mov_b32_e32 v4, v12
; %bb.2401:
	s_or_b64 exec, exec, s[16:17]
.LBB66_2402:
	s_or_b64 exec, exec, s[14:15]
.LBB66_2403:
	s_or_b64 exec, exec, s[0:1]
	v_add_u32_e32 v1, s13, v1
	v_ashrrev_i32_e32 v5, 31, v1
	v_mov_b32_e32 v7, s11
	v_add_co_u32_e32 v6, vcc, s10, v1
	v_mov_b32_e32 v1, 11
	v_addc_co_u32_e32 v7, vcc, v7, v5, vcc
	v_cmp_lt_i16_sdwa s[0:1], v9, v1 src0_sel:BYTE_0 src1_sel:DWORD
	s_and_b64 vcc, exec, s[0:1]
	s_cbranch_vccnz .LBB66_2410
; %bb.2404:
	v_mov_b32_e32 v1, 25
	v_cmp_gt_i16_sdwa s[0:1], v9, v1 src0_sel:BYTE_0 src1_sel:DWORD
	s_mov_b64 s[10:11], 0
	s_and_b64 vcc, exec, s[0:1]
	s_cbranch_vccz .LBB66_2411
; %bb.2405:
	v_mov_b32_e32 v1, 28
	v_cmp_gt_i16_sdwa s[0:1], v9, v1 src0_sel:BYTE_0 src1_sel:DWORD
	s_and_b64 vcc, exec, s[0:1]
	s_cbranch_vccz .LBB66_2412
; %bb.2406:
	v_mov_b32_e32 v1, 43
	v_cmp_gt_i16_sdwa s[0:1], v9, v1 src0_sel:BYTE_0 src1_sel:DWORD
	;; [unrolled: 5-line block ×3, first 2 shown]
	s_and_b64 vcc, exec, s[0:1]
	s_cbranch_vccz .LBB66_2415
; %bb.2408:
	v_mov_b32_e32 v1, 46
	v_cmp_eq_u16_sdwa s[0:1], v9, v1 src0_sel:BYTE_0 src1_sel:DWORD
	s_mov_b64 s[16:17], 0
	s_and_b64 vcc, exec, s[0:1]
	s_cbranch_vccz .LBB66_2416
; %bb.2409:
	global_load_dword v1, v[6:7], off
	s_mov_b64 s[0:1], 0
	s_mov_b64 s[14:15], -1
	s_waitcnt vmcnt(0)
	v_lshlrev_b32_e32 v1, 16, v1
	s_branch .LBB66_2417
.LBB66_2410:
	s_mov_b64 s[0:1], -1
	s_mov_b64 s[14:15], 0
                                        ; implicit-def: $vgpr1
	s_branch .LBB66_2483
.LBB66_2411:
	s_mov_b64 s[16:17], -1
	s_mov_b64 s[14:15], 0
	s_mov_b64 s[0:1], 0
                                        ; implicit-def: $vgpr1
	s_branch .LBB66_2446
.LBB66_2412:
	s_mov_b64 s[16:17], -1
	s_mov_b64 s[14:15], 0
	s_mov_b64 s[0:1], 0
                                        ; implicit-def: $vgpr1
	s_branch .LBB66_2427
.LBB66_2413:
	s_mov_b64 s[16:17], -1
	s_mov_b64 s[14:15], 0
	s_mov_b64 s[0:1], 0
                                        ; implicit-def: $vgpr1
	s_branch .LBB66_2422
.LBB66_2414:
	s_trap 2
	s_or_b64 s[18:19], s[18:19], exec
                                        ; implicit-def: $vgpr6
	s_cbranch_execz .LBB66_2339
	s_branch .LBB66_2340
.LBB66_2415:
	s_mov_b64 s[16:17], -1
	s_mov_b64 s[14:15], 0
	s_mov_b64 s[0:1], 0
                                        ; implicit-def: $vgpr1
	s_branch .LBB66_2417
.LBB66_2416:
	s_mov_b64 s[0:1], -1
                                        ; implicit-def: $vgpr1
	s_mov_b64 s[14:15], 0
.LBB66_2417:
	s_and_b64 vcc, exec, s[16:17]
	s_cbranch_vccz .LBB66_2421
; %bb.2418:
	v_mov_b32_e32 v1, 44
	v_cmp_eq_u16_sdwa s[0:1], v9, v1 src0_sel:BYTE_0 src1_sel:DWORD
	s_and_b64 vcc, exec, s[0:1]
	s_cbranch_vccz .LBB66_2420
; %bb.2419:
	global_load_ubyte v1, v[6:7], off
	s_movk_i32 s13, 0xff
	v_mov_b32_e32 v5, 0x7f800001
	v_mov_b32_e32 v12, 0x400000
	s_mov_b64 s[0:1], 0
	s_mov_b64 s[14:15], -1
	s_waitcnt vmcnt(0)
	v_lshlrev_b32_e32 v13, 23, v1
	v_cmp_ne_u32_e32 vcc, s13, v1
	v_cndmask_b32_e32 v5, v5, v13, vcc
	v_cmp_ne_u32_e32 vcc, 0, v1
	v_cndmask_b32_e32 v1, v12, v5, vcc
	s_branch .LBB66_2421
.LBB66_2420:
	s_mov_b64 s[0:1], -1
                                        ; implicit-def: $vgpr1
.LBB66_2421:
	s_mov_b64 s[16:17], 0
.LBB66_2422:
	s_and_b64 vcc, exec, s[16:17]
	s_cbranch_vccz .LBB66_2426
; %bb.2423:
	v_mov_b32_e32 v1, 29
	v_cmp_eq_u16_sdwa s[0:1], v9, v1 src0_sel:BYTE_0 src1_sel:DWORD
	s_and_b64 vcc, exec, s[0:1]
	s_cbranch_vccz .LBB66_2425
; %bb.2424:
	global_load_dwordx2 v[12:13], v[6:7], off
	s_mov_b64 s[0:1], 0
	s_mov_b64 s[14:15], -1
	s_mov_b64 s[16:17], 0
	s_waitcnt vmcnt(0)
	v_ffbh_u32_e32 v1, v13
	v_min_u32_e32 v1, 32, v1
	v_lshlrev_b64 v[12:13], v1, v[12:13]
	v_min_u32_e32 v5, 1, v12
	v_or_b32_e32 v5, v13, v5
	v_cvt_f32_u32_e32 v5, v5
	v_sub_u32_e32 v1, 32, v1
	v_ldexp_f32 v1, v5, v1
	s_branch .LBB66_2427
.LBB66_2425:
	s_mov_b64 s[0:1], -1
                                        ; implicit-def: $vgpr1
.LBB66_2426:
	s_mov_b64 s[16:17], 0
.LBB66_2427:
	s_and_b64 vcc, exec, s[16:17]
	s_cbranch_vccz .LBB66_2445
; %bb.2428:
	v_mov_b32_e32 v1, 27
	v_cmp_lt_i16_sdwa s[14:15], v9, v1 src0_sel:BYTE_0 src1_sel:DWORD
	s_and_b64 vcc, exec, s[14:15]
	s_cbranch_vccnz .LBB66_2431
; %bb.2429:
	v_cmp_gt_i16_sdwa s[14:15], v9, v1 src0_sel:BYTE_0 src1_sel:DWORD
	s_and_b64 vcc, exec, s[14:15]
	s_cbranch_vccz .LBB66_2432
; %bb.2430:
	global_load_dword v1, v[6:7], off
	s_mov_b64 s[14:15], 0
	s_waitcnt vmcnt(0)
	v_cvt_f32_u32_e32 v1, v1
	s_branch .LBB66_2433
.LBB66_2431:
	s_mov_b64 s[14:15], -1
                                        ; implicit-def: $vgpr1
	s_branch .LBB66_2436
.LBB66_2432:
	s_mov_b64 s[14:15], -1
                                        ; implicit-def: $vgpr1
.LBB66_2433:
	s_andn2_b64 vcc, exec, s[14:15]
	s_cbranch_vccnz .LBB66_2435
; %bb.2434:
	global_load_ushort v1, v[6:7], off
	s_waitcnt vmcnt(0)
	v_cvt_f32_u32_e32 v1, v1
.LBB66_2435:
	s_mov_b64 s[14:15], 0
.LBB66_2436:
	s_andn2_b64 vcc, exec, s[14:15]
	s_cbranch_vccnz .LBB66_2444
; %bb.2437:
	global_load_ubyte v5, v[6:7], off
	s_movk_i32 s13, 0x7f
	s_mov_b64 s[14:15], 0
	s_waitcnt vmcnt(0)
	v_cmp_lt_i16_e32 vcc, s13, v5
                                        ; implicit-def: $sgpr13
	s_and_saveexec_b64 s[16:17], vcc
	s_xor_b64 s[16:17], exec, s[16:17]
	s_cbranch_execz .LBB66_2458
; %bb.2438:
	s_movk_i32 s13, 0x80
	v_cmp_eq_u16_e32 vcc, s13, v5
	s_mov_b64 s[14:15], -1
                                        ; implicit-def: $sgpr13
	s_and_saveexec_b64 s[20:21], vcc
; %bb.2439:
	s_mov_b32 s13, 0x7f800001
	s_xor_b64 s[14:15], exec, -1
; %bb.2440:
	s_or_b64 exec, exec, s[20:21]
	s_and_b64 s[14:15], s[14:15], exec
	s_or_saveexec_b64 s[16:17], s[16:17]
	v_mov_b32_e32 v1, s13
	s_xor_b64 exec, exec, s[16:17]
	s_cbranch_execnz .LBB66_2459
.LBB66_2441:
	s_or_b64 exec, exec, s[16:17]
	s_and_saveexec_b64 s[16:17], s[14:15]
	s_cbranch_execz .LBB66_2443
.LBB66_2442:
	v_lshlrev_b32_e32 v1, 24, v5
	v_and_b32_e32 v5, 0xffff, v5
	v_and_b32_e32 v12, 7, v5
	v_ffbh_u32_e32 v14, v12
	v_min_u32_e32 v14, 32, v14
	v_subrev_u32_e32 v15, 28, v14
	v_bfe_u32 v13, v5, 3, 4
	v_lshlrev_b32_e32 v5, v15, v5
	v_sub_u32_e32 v14, 29, v14
	v_and_b32_e32 v5, 7, v5
	v_cmp_eq_u32_e32 vcc, 0, v13
	v_cndmask_b32_e32 v13, v13, v14, vcc
	v_cndmask_b32_e32 v5, v12, v5, vcc
	v_mov_b32_e32 v12, 0x3b800000
	v_lshlrev_b32_e32 v5, 20, v5
	v_and_b32_e32 v1, 0x80000000, v1
	v_lshl_add_u32 v12, v13, 23, v12
	v_or3_b32 v1, v1, v12, v5
.LBB66_2443:
	s_or_b64 exec, exec, s[16:17]
.LBB66_2444:
	s_mov_b64 s[14:15], -1
.LBB66_2445:
	s_mov_b64 s[16:17], 0
.LBB66_2446:
	s_and_b64 vcc, exec, s[16:17]
	s_cbranch_vccz .LBB66_2479
; %bb.2447:
	v_mov_b32_e32 v1, 22
	v_cmp_gt_i16_sdwa s[10:11], v9, v1 src0_sel:BYTE_0 src1_sel:DWORD
	s_and_b64 vcc, exec, s[10:11]
	s_cbranch_vccz .LBB66_2457
; %bb.2448:
	v_mov_b32_e32 v1, 24
	v_cmp_lt_i16_sdwa s[10:11], v9, v1 src0_sel:BYTE_0 src1_sel:DWORD
	s_and_b64 vcc, exec, s[10:11]
	s_cbranch_vccnz .LBB66_2460
; %bb.2449:
	v_cmp_gt_i16_sdwa s[10:11], v9, v1 src0_sel:BYTE_0 src1_sel:DWORD
	s_and_b64 vcc, exec, s[10:11]
	s_cbranch_vccz .LBB66_2461
; %bb.2450:
	global_load_ubyte v5, v[6:7], off
	s_movk_i32 s10, 0x7f
                                        ; implicit-def: $sgpr13
	s_waitcnt vmcnt(0)
	v_cmp_lt_i16_e32 vcc, s10, v5
	s_mov_b64 s[10:11], 0
	s_and_saveexec_b64 s[14:15], vcc
	s_xor_b64 s[14:15], exec, s[14:15]
	s_cbranch_execz .LBB66_2473
; %bb.2451:
	s_movk_i32 s10, 0x80
	v_cmp_eq_u16_e32 vcc, s10, v5
	s_mov_b64 s[10:11], -1
                                        ; implicit-def: $sgpr13
	s_and_saveexec_b64 s[16:17], vcc
; %bb.2452:
	s_mov_b32 s13, 0x7f800001
	s_xor_b64 s[10:11], exec, -1
; %bb.2453:
	s_or_b64 exec, exec, s[16:17]
	s_and_b64 s[10:11], s[10:11], exec
	s_or_saveexec_b64 s[14:15], s[14:15]
	v_mov_b32_e32 v1, s13
	s_xor_b64 exec, exec, s[14:15]
	s_cbranch_execnz .LBB66_2474
.LBB66_2454:
	s_or_b64 exec, exec, s[14:15]
	s_and_saveexec_b64 s[14:15], s[10:11]
	s_cbranch_execz .LBB66_2456
.LBB66_2455:
	v_lshlrev_b32_e32 v1, 24, v5
	v_and_b32_e32 v5, 0xffff, v5
	v_and_b32_e32 v12, 3, v5
	v_ffbh_u32_e32 v14, v12
	v_min_u32_e32 v14, 32, v14
	v_subrev_u32_e32 v15, 29, v14
	v_bfe_u32 v13, v5, 2, 5
	v_lshlrev_b32_e32 v5, v15, v5
	v_sub_u32_e32 v14, 30, v14
	v_and_b32_e32 v5, 3, v5
	v_cmp_eq_u32_e32 vcc, 0, v13
	v_cndmask_b32_e32 v13, v13, v14, vcc
	v_cndmask_b32_e32 v5, v12, v5, vcc
	v_mov_b32_e32 v12, 0x37800000
	v_lshlrev_b32_e32 v5, 21, v5
	v_and_b32_e32 v1, 0x80000000, v1
	v_lshl_add_u32 v12, v13, 23, v12
	v_or3_b32 v1, v1, v12, v5
.LBB66_2456:
	s_or_b64 exec, exec, s[14:15]
	s_mov_b64 s[10:11], 0
	s_branch .LBB66_2462
.LBB66_2457:
	s_mov_b64 s[10:11], -1
                                        ; implicit-def: $vgpr1
	s_branch .LBB66_2468
.LBB66_2458:
	s_or_saveexec_b64 s[16:17], s[16:17]
	v_mov_b32_e32 v1, s13
	s_xor_b64 exec, exec, s[16:17]
	s_cbranch_execz .LBB66_2441
.LBB66_2459:
	v_cmp_ne_u16_e32 vcc, 0, v5
	s_andn2_b64 s[14:15], s[14:15], exec
	s_and_b64 s[20:21], vcc, exec
	v_mov_b32_e32 v1, 0
	s_or_b64 s[14:15], s[14:15], s[20:21]
	s_or_b64 exec, exec, s[16:17]
	s_and_saveexec_b64 s[16:17], s[14:15]
	s_cbranch_execnz .LBB66_2442
	s_branch .LBB66_2443
.LBB66_2460:
	s_mov_b64 s[10:11], -1
                                        ; implicit-def: $vgpr1
	s_branch .LBB66_2465
.LBB66_2461:
	s_mov_b64 s[10:11], -1
                                        ; implicit-def: $vgpr1
.LBB66_2462:
	s_and_b64 vcc, exec, s[10:11]
	s_cbranch_vccz .LBB66_2464
; %bb.2463:
	global_load_ubyte v1, v[6:7], off
	s_mov_b32 s10, 0x7f800000
	s_waitcnt vmcnt(0)
	v_lshlrev_b32_e32 v1, 24, v1
	v_and_b32_e32 v5, 0x7f000000, v1
	v_ffbh_u32_e32 v12, v5
	v_min_u32_e32 v12, 32, v12
	v_sub_u32_e64 v12, v12, 4 clamp
	v_lshlrev_b32_e32 v14, v12, v5
	v_lshlrev_b32_e32 v12, 23, v12
	v_lshrrev_b32_e32 v14, 4, v14
	v_add_u32_e32 v13, 0x1000000, v5
	v_sub_u32_e32 v12, v14, v12
	v_ashrrev_i32_e32 v13, 8, v13
	v_add_u32_e32 v12, 0x3c000000, v12
	v_and_or_b32 v12, v13, s10, v12
	v_cmp_ne_u32_e32 vcc, 0, v5
	v_cndmask_b32_e32 v5, 0, v12, vcc
	s_brev_b32 s10, 1
	v_and_or_b32 v1, v1, s10, v5
.LBB66_2464:
	s_mov_b64 s[10:11], 0
.LBB66_2465:
	s_andn2_b64 vcc, exec, s[10:11]
	s_cbranch_vccnz .LBB66_2467
; %bb.2466:
	global_load_ubyte v1, v[6:7], off
	s_movk_i32 s10, 0x7f00
	s_brev_b32 s11, 16
	s_waitcnt vmcnt(0)
	v_lshlrev_b16_e32 v5, 8, v1
	v_lshlrev_b32_e32 v1, 25, v1
	v_lshrrev_b32_e32 v12, 4, v1
	v_and_or_b32 v13, v5, s10, 0.5
	v_or_b32_e32 v12, 0x70000000, v12
	v_add_f32_e32 v13, -0.5, v13
	v_mul_f32_e32 v12, 0x7800000, v12
	v_cmp_gt_u32_e32 vcc, s11, v1
	v_bfe_i32 v5, v5, 0, 16
	v_cndmask_b32_e32 v1, v12, v13, vcc
	s_brev_b32 s10, 1
	v_and_or_b32 v1, v5, s10, v1
.LBB66_2467:
	s_mov_b64 s[10:11], 0
	s_mov_b64 s[14:15], -1
.LBB66_2468:
	s_andn2_b64 vcc, exec, s[10:11]
	s_mov_b64 s[10:11], 0
	s_cbranch_vccnz .LBB66_2479
; %bb.2469:
	v_mov_b32_e32 v1, 14
	v_cmp_gt_i16_sdwa s[10:11], v9, v1 src0_sel:BYTE_0 src1_sel:DWORD
	s_and_b64 vcc, exec, s[10:11]
	s_cbranch_vccz .LBB66_2472
; %bb.2470:
	v_mov_b32_e32 v1, 15
	v_cmp_eq_u16_sdwa s[0:1], v9, v1 src0_sel:BYTE_0 src1_sel:DWORD
	s_and_b64 vcc, exec, s[0:1]
	s_cbranch_vccz .LBB66_2475
; %bb.2471:
	global_load_ushort v1, v[6:7], off
	s_mov_b64 s[0:1], 0
	s_mov_b64 s[14:15], -1
	s_waitcnt vmcnt(0)
	v_lshlrev_b32_e32 v1, 16, v1
	s_branch .LBB66_2476
.LBB66_2472:
	s_mov_b64 s[16:17], -1
                                        ; implicit-def: $vgpr1
	s_branch .LBB66_2477
.LBB66_2473:
	s_or_saveexec_b64 s[14:15], s[14:15]
	v_mov_b32_e32 v1, s13
	s_xor_b64 exec, exec, s[14:15]
	s_cbranch_execz .LBB66_2454
.LBB66_2474:
	v_cmp_ne_u16_e32 vcc, 0, v5
	s_andn2_b64 s[10:11], s[10:11], exec
	s_and_b64 s[16:17], vcc, exec
	v_mov_b32_e32 v1, 0
	s_or_b64 s[10:11], s[10:11], s[16:17]
	s_or_b64 exec, exec, s[14:15]
	s_and_saveexec_b64 s[14:15], s[10:11]
	s_cbranch_execnz .LBB66_2455
	s_branch .LBB66_2456
.LBB66_2475:
	s_mov_b64 s[0:1], -1
                                        ; implicit-def: $vgpr1
.LBB66_2476:
	s_mov_b64 s[16:17], 0
.LBB66_2477:
	s_mov_b64 s[10:11], 0
	s_and_b64 vcc, exec, s[16:17]
	s_cbranch_vccz .LBB66_2479
; %bb.2478:
	v_mov_b32_e32 v1, 11
	v_cmp_ne_u16_sdwa s[0:1], v9, v1 src0_sel:BYTE_0 src1_sel:DWORD
	s_mov_b64 s[10:11], -1
                                        ; implicit-def: $vgpr1
.LBB66_2479:
	s_and_b64 vcc, exec, s[0:1]
	s_cbranch_vccnz .LBB66_2544
; %bb.2480:
	s_andn2_b64 vcc, exec, s[10:11]
	s_cbranch_vccnz .LBB66_2482
.LBB66_2481:
	global_load_ubyte v1, v[6:7], off
	s_mov_b64 s[14:15], -1
	s_waitcnt vmcnt(0)
	v_cmp_ne_u16_e32 vcc, 0, v1
	v_cndmask_b32_e64 v1, 0, 1.0, vcc
.LBB66_2482:
	s_mov_b64 s[0:1], 0
.LBB66_2483:
	s_and_b64 vcc, exec, s[0:1]
	s_cbranch_vccz .LBB66_2532
; %bb.2484:
	v_mov_b32_e32 v1, 5
	v_cmp_lt_i16_sdwa s[0:1], v9, v1 src0_sel:BYTE_0 src1_sel:DWORD
	s_and_b64 vcc, exec, s[0:1]
	s_cbranch_vccnz .LBB66_2489
; %bb.2485:
	v_mov_b32_e32 v1, 8
	v_cmp_lt_i16_sdwa s[0:1], v9, v1 src0_sel:BYTE_0 src1_sel:DWORD
	s_and_b64 vcc, exec, s[0:1]
	s_cbranch_vccnz .LBB66_2490
	;; [unrolled: 5-line block ×3, first 2 shown]
; %bb.2487:
	v_cmp_gt_i16_sdwa s[0:1], v9, v1 src0_sel:BYTE_0 src1_sel:DWORD
	s_and_b64 vcc, exec, s[0:1]
	s_cbranch_vccz .LBB66_2492
; %bb.2488:
	global_load_dwordx2 v[12:13], v[6:7], off
	s_mov_b64 s[0:1], 0
	s_waitcnt vmcnt(0)
	v_cvt_f32_f64_e32 v1, v[12:13]
	s_branch .LBB66_2493
.LBB66_2489:
	s_mov_b64 s[0:1], -1
                                        ; implicit-def: $vgpr1
	s_branch .LBB66_2511
.LBB66_2490:
	s_mov_b64 s[0:1], -1
                                        ; implicit-def: $vgpr1
	s_branch .LBB66_2499
.LBB66_2491:
	s_mov_b64 s[0:1], -1
                                        ; implicit-def: $vgpr1
	s_branch .LBB66_2496
.LBB66_2492:
	s_mov_b64 s[0:1], -1
                                        ; implicit-def: $vgpr1
.LBB66_2493:
	s_andn2_b64 vcc, exec, s[0:1]
	s_cbranch_vccnz .LBB66_2495
; %bb.2494:
	global_load_dword v1, v[6:7], off
.LBB66_2495:
	s_mov_b64 s[0:1], 0
.LBB66_2496:
	s_andn2_b64 vcc, exec, s[0:1]
	s_cbranch_vccnz .LBB66_2498
; %bb.2497:
	global_load_dword v1, v[6:7], off
	s_waitcnt vmcnt(0)
	v_cvt_f32_f16_e32 v1, v1
.LBB66_2498:
	s_mov_b64 s[0:1], 0
.LBB66_2499:
	s_andn2_b64 vcc, exec, s[0:1]
	s_cbranch_vccnz .LBB66_2510
; %bb.2500:
	s_waitcnt vmcnt(0)
	v_mov_b32_e32 v1, 6
	v_cmp_lt_i16_sdwa s[0:1], v9, v1 src0_sel:BYTE_0 src1_sel:DWORD
	s_and_b64 vcc, exec, s[0:1]
	s_cbranch_vccnz .LBB66_2503
; %bb.2501:
	v_cmp_gt_i16_sdwa s[0:1], v9, v1 src0_sel:BYTE_0 src1_sel:DWORD
	s_and_b64 vcc, exec, s[0:1]
	s_cbranch_vccz .LBB66_2504
; %bb.2502:
	global_load_dwordx2 v[12:13], v[6:7], off
	s_mov_b64 s[0:1], 0
	s_waitcnt vmcnt(0)
	v_cvt_f32_f64_e32 v1, v[12:13]
	s_branch .LBB66_2505
.LBB66_2503:
	s_mov_b64 s[0:1], -1
                                        ; implicit-def: $vgpr1
	s_branch .LBB66_2508
.LBB66_2504:
	s_mov_b64 s[0:1], -1
                                        ; implicit-def: $vgpr1
.LBB66_2505:
	s_andn2_b64 vcc, exec, s[0:1]
	s_cbranch_vccnz .LBB66_2507
; %bb.2506:
	global_load_dword v1, v[6:7], off
.LBB66_2507:
	s_mov_b64 s[0:1], 0
.LBB66_2508:
	s_andn2_b64 vcc, exec, s[0:1]
	s_cbranch_vccnz .LBB66_2510
; %bb.2509:
	global_load_ushort v1, v[6:7], off
	s_waitcnt vmcnt(0)
	v_cvt_f32_f16_e32 v1, v1
.LBB66_2510:
	s_mov_b64 s[0:1], 0
.LBB66_2511:
	s_andn2_b64 vcc, exec, s[0:1]
	s_cbranch_vccnz .LBB66_2531
; %bb.2512:
	s_waitcnt vmcnt(0)
	v_mov_b32_e32 v1, 2
	v_cmp_lt_i16_sdwa s[0:1], v9, v1 src0_sel:BYTE_0 src1_sel:DWORD
	s_and_b64 vcc, exec, s[0:1]
	s_cbranch_vccnz .LBB66_2516
; %bb.2513:
	v_mov_b32_e32 v1, 3
	v_cmp_lt_i16_sdwa s[0:1], v9, v1 src0_sel:BYTE_0 src1_sel:DWORD
	s_and_b64 vcc, exec, s[0:1]
	s_cbranch_vccnz .LBB66_2517
; %bb.2514:
	v_cmp_gt_i16_sdwa s[0:1], v9, v1 src0_sel:BYTE_0 src1_sel:DWORD
	s_and_b64 vcc, exec, s[0:1]
	s_cbranch_vccz .LBB66_2518
; %bb.2515:
	global_load_dwordx2 v[12:13], v[6:7], off
	s_mov_b64 s[0:1], 0
	s_waitcnt vmcnt(0)
	v_xor_b32_e32 v5, v12, v13
	v_ffbh_i32_e32 v1, v13
	v_ashrrev_i32_e32 v5, 31, v5
	v_add_u32_e32 v1, -1, v1
	v_add_u32_e32 v5, 32, v5
	v_min_u32_e32 v1, v1, v5
	v_lshlrev_b64 v[12:13], v1, v[12:13]
	v_min_u32_e32 v5, 1, v12
	v_or_b32_e32 v5, v13, v5
	v_cvt_f32_i32_e32 v5, v5
	v_sub_u32_e32 v1, 32, v1
	v_ldexp_f32 v1, v5, v1
	s_branch .LBB66_2519
.LBB66_2516:
	s_mov_b64 s[0:1], -1
                                        ; implicit-def: $vgpr1
	s_branch .LBB66_2525
.LBB66_2517:
	s_mov_b64 s[0:1], -1
                                        ; implicit-def: $vgpr1
	s_branch .LBB66_2522
.LBB66_2518:
	s_mov_b64 s[0:1], -1
                                        ; implicit-def: $vgpr1
.LBB66_2519:
	s_andn2_b64 vcc, exec, s[0:1]
	s_cbranch_vccnz .LBB66_2521
; %bb.2520:
	global_load_dword v1, v[6:7], off
	s_waitcnt vmcnt(0)
	v_cvt_f32_i32_e32 v1, v1
.LBB66_2521:
	s_mov_b64 s[0:1], 0
.LBB66_2522:
	s_andn2_b64 vcc, exec, s[0:1]
	s_cbranch_vccnz .LBB66_2524
; %bb.2523:
	global_load_sshort v1, v[6:7], off
	s_waitcnt vmcnt(0)
	v_cvt_f32_i32_e32 v1, v1
.LBB66_2524:
	s_mov_b64 s[0:1], 0
.LBB66_2525:
	s_andn2_b64 vcc, exec, s[0:1]
	s_cbranch_vccnz .LBB66_2531
; %bb.2526:
	v_mov_b32_e32 v1, 0
	v_cmp_gt_i16_sdwa s[0:1], v9, v1 src0_sel:BYTE_0 src1_sel:DWORD
	s_and_b64 vcc, exec, s[0:1]
	s_cbranch_vccz .LBB66_2528
; %bb.2527:
	global_load_sbyte v1, v[6:7], off
	s_mov_b64 s[0:1], 0
	s_waitcnt vmcnt(0)
	v_cvt_f32_i32_e32 v1, v1
	s_branch .LBB66_2529
.LBB66_2528:
	s_mov_b64 s[0:1], -1
                                        ; implicit-def: $vgpr1
.LBB66_2529:
	s_andn2_b64 vcc, exec, s[0:1]
	s_cbranch_vccnz .LBB66_2531
; %bb.2530:
	global_load_ubyte v1, v[6:7], off
	s_waitcnt vmcnt(0)
	v_cvt_f32_ubyte0_e32 v1, v1
.LBB66_2531:
	s_mov_b64 s[14:15], -1
.LBB66_2532:
	s_andn2_b64 vcc, exec, s[14:15]
	s_cbranch_vccnz .LBB66_2682
; %bb.2533:
	v_add_u32_e32 v3, s26, v3
	v_ashrrev_i32_e32 v5, 31, v3
	v_mov_b32_e32 v7, s3
	v_add_co_u32_e32 v6, vcc, s2, v3
	v_mov_b32_e32 v3, 11
	v_addc_co_u32_e32 v7, vcc, v7, v5, vcc
	v_cmp_lt_i16_sdwa s[0:1], v8, v3 src0_sel:BYTE_0 src1_sel:DWORD
	s_and_b64 vcc, exec, s[0:1]
	s_cbranch_vccnz .LBB66_2540
; %bb.2534:
	v_mov_b32_e32 v3, 25
	v_cmp_gt_i16_sdwa s[0:1], v8, v3 src0_sel:BYTE_0 src1_sel:DWORD
	s_mov_b64 s[2:3], 0
	s_and_b64 vcc, exec, s[0:1]
	s_cbranch_vccz .LBB66_2541
; %bb.2535:
	v_mov_b32_e32 v3, 28
	v_cmp_gt_i16_sdwa s[0:1], v8, v3 src0_sel:BYTE_0 src1_sel:DWORD
	s_and_b64 vcc, exec, s[0:1]
	s_cbranch_vccz .LBB66_2542
; %bb.2536:
	v_mov_b32_e32 v3, 43
	v_cmp_gt_i16_sdwa s[0:1], v8, v3 src0_sel:BYTE_0 src1_sel:DWORD
	;; [unrolled: 5-line block ×3, first 2 shown]
	s_and_b64 vcc, exec, s[0:1]
	s_cbranch_vccz .LBB66_2545
; %bb.2538:
	v_mov_b32_e32 v3, 46
	v_cmp_eq_u16_sdwa s[0:1], v8, v3 src0_sel:BYTE_0 src1_sel:DWORD
	s_mov_b64 s[14:15], 0
	s_and_b64 vcc, exec, s[0:1]
	s_cbranch_vccz .LBB66_2546
; %bb.2539:
	global_load_dword v3, v[6:7], off
	s_mov_b64 s[0:1], 0
	s_mov_b64 s[10:11], -1
	s_waitcnt vmcnt(0)
	v_lshlrev_b32_e32 v3, 16, v3
	s_branch .LBB66_2547
.LBB66_2540:
	s_mov_b64 s[0:1], -1
	s_mov_b64 s[10:11], 0
                                        ; implicit-def: $vgpr3
	s_branch .LBB66_2613
.LBB66_2541:
	s_mov_b64 s[14:15], -1
	s_mov_b64 s[10:11], 0
	s_mov_b64 s[0:1], 0
                                        ; implicit-def: $vgpr3
	s_branch .LBB66_2576
.LBB66_2542:
	s_mov_b64 s[14:15], -1
	s_mov_b64 s[10:11], 0
	s_mov_b64 s[0:1], 0
                                        ; implicit-def: $vgpr3
	s_branch .LBB66_2557
.LBB66_2543:
	s_mov_b64 s[14:15], -1
	s_mov_b64 s[10:11], 0
	s_mov_b64 s[0:1], 0
                                        ; implicit-def: $vgpr3
	s_branch .LBB66_2552
.LBB66_2544:
	s_trap 2
	s_or_b64 s[18:19], s[18:19], exec
                                        ; implicit-def: $vgpr1
	s_cbranch_execz .LBB66_2481
	s_branch .LBB66_2482
.LBB66_2545:
	s_mov_b64 s[14:15], -1
	s_mov_b64 s[10:11], 0
	s_mov_b64 s[0:1], 0
                                        ; implicit-def: $vgpr3
	s_branch .LBB66_2547
.LBB66_2546:
	s_mov_b64 s[0:1], -1
                                        ; implicit-def: $vgpr3
	s_mov_b64 s[10:11], 0
.LBB66_2547:
	s_and_b64 vcc, exec, s[14:15]
	s_cbranch_vccz .LBB66_2551
; %bb.2548:
	v_mov_b32_e32 v3, 44
	v_cmp_eq_u16_sdwa s[0:1], v8, v3 src0_sel:BYTE_0 src1_sel:DWORD
	s_and_b64 vcc, exec, s[0:1]
	s_cbranch_vccz .LBB66_2550
; %bb.2549:
	global_load_ubyte v3, v[6:7], off
	s_movk_i32 s10, 0xff
	v_mov_b32_e32 v5, 0x7f800001
	v_mov_b32_e32 v9, 0x400000
	s_mov_b64 s[0:1], 0
	s_waitcnt vmcnt(0)
	v_lshlrev_b32_e32 v12, 23, v3
	v_cmp_ne_u32_e32 vcc, s10, v3
	v_cndmask_b32_e32 v5, v5, v12, vcc
	v_cmp_ne_u32_e32 vcc, 0, v3
	v_cndmask_b32_e32 v3, v9, v5, vcc
	s_mov_b64 s[10:11], -1
	s_branch .LBB66_2551
.LBB66_2550:
	s_mov_b64 s[0:1], -1
                                        ; implicit-def: $vgpr3
.LBB66_2551:
	s_mov_b64 s[14:15], 0
.LBB66_2552:
	s_and_b64 vcc, exec, s[14:15]
	s_cbranch_vccz .LBB66_2556
; %bb.2553:
	v_mov_b32_e32 v3, 29
	v_cmp_eq_u16_sdwa s[0:1], v8, v3 src0_sel:BYTE_0 src1_sel:DWORD
	s_and_b64 vcc, exec, s[0:1]
	s_cbranch_vccz .LBB66_2555
; %bb.2554:
	global_load_dwordx2 v[12:13], v[6:7], off
	s_mov_b64 s[0:1], 0
	s_mov_b64 s[10:11], -1
	s_mov_b64 s[14:15], 0
	s_waitcnt vmcnt(0)
	v_ffbh_u32_e32 v3, v13
	v_min_u32_e32 v3, 32, v3
	v_lshlrev_b64 v[12:13], v3, v[12:13]
	v_min_u32_e32 v5, 1, v12
	v_or_b32_e32 v5, v13, v5
	v_cvt_f32_u32_e32 v5, v5
	v_sub_u32_e32 v3, 32, v3
	v_ldexp_f32 v3, v5, v3
	s_branch .LBB66_2557
.LBB66_2555:
	s_mov_b64 s[0:1], -1
                                        ; implicit-def: $vgpr3
.LBB66_2556:
	s_mov_b64 s[14:15], 0
.LBB66_2557:
	s_and_b64 vcc, exec, s[14:15]
	s_cbranch_vccz .LBB66_2575
; %bb.2558:
	v_mov_b32_e32 v3, 27
	v_cmp_lt_i16_sdwa s[10:11], v8, v3 src0_sel:BYTE_0 src1_sel:DWORD
	s_and_b64 vcc, exec, s[10:11]
	s_cbranch_vccnz .LBB66_2561
; %bb.2559:
	v_cmp_gt_i16_sdwa s[10:11], v8, v3 src0_sel:BYTE_0 src1_sel:DWORD
	s_and_b64 vcc, exec, s[10:11]
	s_cbranch_vccz .LBB66_2562
; %bb.2560:
	global_load_dword v3, v[6:7], off
	s_mov_b64 s[10:11], 0
	s_waitcnt vmcnt(0)
	v_cvt_f32_u32_e32 v3, v3
	s_branch .LBB66_2563
.LBB66_2561:
	s_mov_b64 s[10:11], -1
                                        ; implicit-def: $vgpr3
	s_branch .LBB66_2566
.LBB66_2562:
	s_mov_b64 s[10:11], -1
                                        ; implicit-def: $vgpr3
.LBB66_2563:
	s_andn2_b64 vcc, exec, s[10:11]
	s_cbranch_vccnz .LBB66_2565
; %bb.2564:
	global_load_ushort v3, v[6:7], off
	s_waitcnt vmcnt(0)
	v_cvt_f32_u32_e32 v3, v3
.LBB66_2565:
	s_mov_b64 s[10:11], 0
.LBB66_2566:
	s_andn2_b64 vcc, exec, s[10:11]
	s_cbranch_vccnz .LBB66_2574
; %bb.2567:
	global_load_ubyte v5, v[6:7], off
	s_movk_i32 s10, 0x7f
                                        ; implicit-def: $sgpr13
	s_waitcnt vmcnt(0)
	v_cmp_lt_i16_e32 vcc, s10, v5
	s_mov_b64 s[10:11], 0
	s_and_saveexec_b64 s[14:15], vcc
	s_xor_b64 s[14:15], exec, s[14:15]
	s_cbranch_execz .LBB66_2588
; %bb.2568:
	s_movk_i32 s10, 0x80
	v_cmp_eq_u16_e32 vcc, s10, v5
	s_mov_b64 s[10:11], -1
                                        ; implicit-def: $sgpr13
	s_and_saveexec_b64 s[16:17], vcc
; %bb.2569:
	s_mov_b32 s13, 0x7f800001
	s_xor_b64 s[10:11], exec, -1
; %bb.2570:
	s_or_b64 exec, exec, s[16:17]
	s_and_b64 s[10:11], s[10:11], exec
	s_or_saveexec_b64 s[14:15], s[14:15]
	v_mov_b32_e32 v3, s13
	s_xor_b64 exec, exec, s[14:15]
	s_cbranch_execnz .LBB66_2589
.LBB66_2571:
	s_or_b64 exec, exec, s[14:15]
	s_and_saveexec_b64 s[14:15], s[10:11]
	s_cbranch_execz .LBB66_2573
.LBB66_2572:
	v_lshlrev_b32_e32 v3, 24, v5
	v_and_b32_e32 v5, 0xffff, v5
	v_and_b32_e32 v9, 7, v5
	v_ffbh_u32_e32 v13, v9
	v_min_u32_e32 v13, 32, v13
	v_subrev_u32_e32 v14, 28, v13
	v_bfe_u32 v12, v5, 3, 4
	v_lshlrev_b32_e32 v5, v14, v5
	v_sub_u32_e32 v13, 29, v13
	v_and_b32_e32 v5, 7, v5
	v_cmp_eq_u32_e32 vcc, 0, v12
	v_cndmask_b32_e32 v12, v12, v13, vcc
	v_cndmask_b32_e32 v5, v9, v5, vcc
	v_mov_b32_e32 v9, 0x3b800000
	v_lshlrev_b32_e32 v5, 20, v5
	v_and_b32_e32 v3, 0x80000000, v3
	v_lshl_add_u32 v9, v12, 23, v9
	v_or3_b32 v3, v3, v9, v5
.LBB66_2573:
	s_or_b64 exec, exec, s[14:15]
.LBB66_2574:
	s_mov_b64 s[10:11], -1
.LBB66_2575:
	s_mov_b64 s[14:15], 0
.LBB66_2576:
	s_and_b64 vcc, exec, s[14:15]
	s_cbranch_vccz .LBB66_2609
; %bb.2577:
	v_mov_b32_e32 v3, 22
	v_cmp_gt_i16_sdwa s[2:3], v8, v3 src0_sel:BYTE_0 src1_sel:DWORD
	s_and_b64 vcc, exec, s[2:3]
	s_cbranch_vccz .LBB66_2587
; %bb.2578:
	v_mov_b32_e32 v3, 24
	v_cmp_lt_i16_sdwa s[2:3], v8, v3 src0_sel:BYTE_0 src1_sel:DWORD
	s_and_b64 vcc, exec, s[2:3]
	s_cbranch_vccnz .LBB66_2590
; %bb.2579:
	v_cmp_gt_i16_sdwa s[2:3], v8, v3 src0_sel:BYTE_0 src1_sel:DWORD
	s_and_b64 vcc, exec, s[2:3]
	s_cbranch_vccz .LBB66_2591
; %bb.2580:
	global_load_ubyte v5, v[6:7], off
	s_movk_i32 s2, 0x7f
                                        ; implicit-def: $sgpr13
	s_waitcnt vmcnt(0)
	v_cmp_lt_i16_e32 vcc, s2, v5
	s_mov_b64 s[2:3], 0
	s_and_saveexec_b64 s[10:11], vcc
	s_xor_b64 s[10:11], exec, s[10:11]
	s_cbranch_execz .LBB66_2603
; %bb.2581:
	s_movk_i32 s2, 0x80
	v_cmp_eq_u16_e32 vcc, s2, v5
	s_mov_b64 s[2:3], -1
                                        ; implicit-def: $sgpr13
	s_and_saveexec_b64 s[14:15], vcc
; %bb.2582:
	s_mov_b32 s13, 0x7f800001
	s_xor_b64 s[2:3], exec, -1
; %bb.2583:
	s_or_b64 exec, exec, s[14:15]
	s_and_b64 s[2:3], s[2:3], exec
	s_or_saveexec_b64 s[10:11], s[10:11]
	v_mov_b32_e32 v3, s13
	s_xor_b64 exec, exec, s[10:11]
	s_cbranch_execnz .LBB66_2604
.LBB66_2584:
	s_or_b64 exec, exec, s[10:11]
	s_and_saveexec_b64 s[10:11], s[2:3]
	s_cbranch_execz .LBB66_2586
.LBB66_2585:
	v_lshlrev_b32_e32 v3, 24, v5
	v_and_b32_e32 v5, 0xffff, v5
	v_and_b32_e32 v9, 3, v5
	v_ffbh_u32_e32 v13, v9
	v_min_u32_e32 v13, 32, v13
	v_subrev_u32_e32 v14, 29, v13
	v_bfe_u32 v12, v5, 2, 5
	v_lshlrev_b32_e32 v5, v14, v5
	v_sub_u32_e32 v13, 30, v13
	v_and_b32_e32 v5, 3, v5
	v_cmp_eq_u32_e32 vcc, 0, v12
	v_cndmask_b32_e32 v12, v12, v13, vcc
	v_cndmask_b32_e32 v5, v9, v5, vcc
	v_mov_b32_e32 v9, 0x37800000
	v_lshlrev_b32_e32 v5, 21, v5
	v_and_b32_e32 v3, 0x80000000, v3
	v_lshl_add_u32 v9, v12, 23, v9
	v_or3_b32 v3, v3, v9, v5
.LBB66_2586:
	s_or_b64 exec, exec, s[10:11]
	s_mov_b64 s[2:3], 0
	s_branch .LBB66_2592
.LBB66_2587:
	s_mov_b64 s[2:3], -1
                                        ; implicit-def: $vgpr3
	s_branch .LBB66_2598
.LBB66_2588:
	s_or_saveexec_b64 s[14:15], s[14:15]
	v_mov_b32_e32 v3, s13
	s_xor_b64 exec, exec, s[14:15]
	s_cbranch_execz .LBB66_2571
.LBB66_2589:
	v_cmp_ne_u16_e32 vcc, 0, v5
	s_andn2_b64 s[10:11], s[10:11], exec
	s_and_b64 s[16:17], vcc, exec
	v_mov_b32_e32 v3, 0
	s_or_b64 s[10:11], s[10:11], s[16:17]
	s_or_b64 exec, exec, s[14:15]
	s_and_saveexec_b64 s[14:15], s[10:11]
	s_cbranch_execnz .LBB66_2572
	s_branch .LBB66_2573
.LBB66_2590:
	s_mov_b64 s[2:3], -1
                                        ; implicit-def: $vgpr3
	s_branch .LBB66_2595
.LBB66_2591:
	s_mov_b64 s[2:3], -1
                                        ; implicit-def: $vgpr3
.LBB66_2592:
	s_and_b64 vcc, exec, s[2:3]
	s_cbranch_vccz .LBB66_2594
; %bb.2593:
	global_load_ubyte v3, v[6:7], off
	s_mov_b32 s2, 0x7f800000
	s_waitcnt vmcnt(0)
	v_lshlrev_b32_e32 v3, 24, v3
	v_and_b32_e32 v5, 0x7f000000, v3
	v_ffbh_u32_e32 v9, v5
	v_min_u32_e32 v9, 32, v9
	v_sub_u32_e64 v9, v9, 4 clamp
	v_lshlrev_b32_e32 v13, v9, v5
	v_lshlrev_b32_e32 v9, 23, v9
	v_lshrrev_b32_e32 v13, 4, v13
	v_add_u32_e32 v12, 0x1000000, v5
	v_sub_u32_e32 v9, v13, v9
	v_ashrrev_i32_e32 v12, 8, v12
	v_add_u32_e32 v9, 0x3c000000, v9
	v_and_or_b32 v9, v12, s2, v9
	v_cmp_ne_u32_e32 vcc, 0, v5
	v_cndmask_b32_e32 v5, 0, v9, vcc
	s_brev_b32 s2, 1
	v_and_or_b32 v3, v3, s2, v5
.LBB66_2594:
	s_mov_b64 s[2:3], 0
.LBB66_2595:
	s_andn2_b64 vcc, exec, s[2:3]
	s_cbranch_vccnz .LBB66_2597
; %bb.2596:
	global_load_ubyte v3, v[6:7], off
	s_movk_i32 s2, 0x7f00
	s_brev_b32 s3, 16
	s_waitcnt vmcnt(0)
	v_lshlrev_b16_e32 v5, 8, v3
	v_lshlrev_b32_e32 v3, 25, v3
	v_lshrrev_b32_e32 v9, 4, v3
	v_and_or_b32 v12, v5, s2, 0.5
	v_or_b32_e32 v9, 0x70000000, v9
	v_add_f32_e32 v12, -0.5, v12
	v_mul_f32_e32 v9, 0x7800000, v9
	v_cmp_gt_u32_e32 vcc, s3, v3
	v_bfe_i32 v5, v5, 0, 16
	v_cndmask_b32_e32 v3, v9, v12, vcc
	s_brev_b32 s2, 1
	v_and_or_b32 v3, v5, s2, v3
.LBB66_2597:
	s_mov_b64 s[2:3], 0
	s_mov_b64 s[10:11], -1
.LBB66_2598:
	s_andn2_b64 vcc, exec, s[2:3]
	s_mov_b64 s[2:3], 0
	s_cbranch_vccnz .LBB66_2609
; %bb.2599:
	v_mov_b32_e32 v3, 14
	v_cmp_gt_i16_sdwa s[2:3], v8, v3 src0_sel:BYTE_0 src1_sel:DWORD
	s_and_b64 vcc, exec, s[2:3]
	s_cbranch_vccz .LBB66_2602
; %bb.2600:
	v_mov_b32_e32 v3, 15
	v_cmp_eq_u16_sdwa s[0:1], v8, v3 src0_sel:BYTE_0 src1_sel:DWORD
	s_and_b64 vcc, exec, s[0:1]
	s_cbranch_vccz .LBB66_2605
; %bb.2601:
	global_load_ushort v3, v[6:7], off
	s_mov_b64 s[0:1], 0
	s_mov_b64 s[10:11], -1
	s_waitcnt vmcnt(0)
	v_lshlrev_b32_e32 v3, 16, v3
	s_branch .LBB66_2606
.LBB66_2602:
	s_mov_b64 s[14:15], -1
                                        ; implicit-def: $vgpr3
	s_branch .LBB66_2607
.LBB66_2603:
	s_or_saveexec_b64 s[10:11], s[10:11]
	v_mov_b32_e32 v3, s13
	s_xor_b64 exec, exec, s[10:11]
	s_cbranch_execz .LBB66_2584
.LBB66_2604:
	v_cmp_ne_u16_e32 vcc, 0, v5
	s_andn2_b64 s[2:3], s[2:3], exec
	s_and_b64 s[14:15], vcc, exec
	v_mov_b32_e32 v3, 0
	s_or_b64 s[2:3], s[2:3], s[14:15]
	s_or_b64 exec, exec, s[10:11]
	s_and_saveexec_b64 s[10:11], s[2:3]
	s_cbranch_execnz .LBB66_2585
	s_branch .LBB66_2586
.LBB66_2605:
	s_mov_b64 s[0:1], -1
                                        ; implicit-def: $vgpr3
.LBB66_2606:
	s_mov_b64 s[14:15], 0
.LBB66_2607:
	s_mov_b64 s[2:3], 0
	s_and_b64 vcc, exec, s[14:15]
	s_cbranch_vccz .LBB66_2609
; %bb.2608:
	v_mov_b32_e32 v3, 11
	v_cmp_ne_u16_sdwa s[0:1], v8, v3 src0_sel:BYTE_0 src1_sel:DWORD
	s_mov_b64 s[2:3], -1
                                        ; implicit-def: $vgpr3
.LBB66_2609:
	s_and_b64 vcc, exec, s[0:1]
	s_cbranch_vccnz .LBB66_2731
; %bb.2610:
	s_andn2_b64 vcc, exec, s[2:3]
	s_cbranch_vccnz .LBB66_2612
.LBB66_2611:
	global_load_ubyte v3, v[6:7], off
	s_mov_b64 s[10:11], -1
	s_waitcnt vmcnt(0)
	v_cmp_ne_u16_e32 vcc, 0, v3
	v_cndmask_b32_e64 v3, 0, 1.0, vcc
.LBB66_2612:
	s_mov_b64 s[0:1], 0
.LBB66_2613:
	s_and_b64 vcc, exec, s[0:1]
	s_cbranch_vccz .LBB66_2662
; %bb.2614:
	v_mov_b32_e32 v3, 5
	v_cmp_lt_i16_sdwa s[0:1], v8, v3 src0_sel:BYTE_0 src1_sel:DWORD
	s_and_b64 vcc, exec, s[0:1]
	s_cbranch_vccnz .LBB66_2619
; %bb.2615:
	v_mov_b32_e32 v3, 8
	v_cmp_lt_i16_sdwa s[0:1], v8, v3 src0_sel:BYTE_0 src1_sel:DWORD
	s_and_b64 vcc, exec, s[0:1]
	s_cbranch_vccnz .LBB66_2620
; %bb.2616:
	v_mov_b32_e32 v3, 9
	v_cmp_lt_i16_sdwa s[0:1], v8, v3 src0_sel:BYTE_0 src1_sel:DWORD
	s_and_b64 vcc, exec, s[0:1]
	s_cbranch_vccnz .LBB66_2621
; %bb.2617:
	v_cmp_gt_i16_sdwa s[0:1], v8, v3 src0_sel:BYTE_0 src1_sel:DWORD
	s_and_b64 vcc, exec, s[0:1]
	s_cbranch_vccz .LBB66_2622
; %bb.2618:
	global_load_dwordx2 v[12:13], v[6:7], off
	s_mov_b64 s[0:1], 0
	s_waitcnt vmcnt(0)
	v_cvt_f32_f64_e32 v3, v[12:13]
	s_branch .LBB66_2623
.LBB66_2619:
	s_mov_b64 s[0:1], -1
                                        ; implicit-def: $vgpr3
	s_branch .LBB66_2641
.LBB66_2620:
	s_mov_b64 s[0:1], -1
                                        ; implicit-def: $vgpr3
	s_branch .LBB66_2629
.LBB66_2621:
	s_mov_b64 s[0:1], -1
                                        ; implicit-def: $vgpr3
	s_branch .LBB66_2626
.LBB66_2622:
	s_mov_b64 s[0:1], -1
                                        ; implicit-def: $vgpr3
.LBB66_2623:
	s_andn2_b64 vcc, exec, s[0:1]
	s_cbranch_vccnz .LBB66_2625
; %bb.2624:
	global_load_dword v3, v[6:7], off
.LBB66_2625:
	s_mov_b64 s[0:1], 0
.LBB66_2626:
	s_andn2_b64 vcc, exec, s[0:1]
	s_cbranch_vccnz .LBB66_2628
; %bb.2627:
	global_load_dword v3, v[6:7], off
	s_waitcnt vmcnt(0)
	v_cvt_f32_f16_e32 v3, v3
.LBB66_2628:
	s_mov_b64 s[0:1], 0
.LBB66_2629:
	s_andn2_b64 vcc, exec, s[0:1]
	s_cbranch_vccnz .LBB66_2640
; %bb.2630:
	s_waitcnt vmcnt(0)
	v_mov_b32_e32 v3, 6
	v_cmp_lt_i16_sdwa s[0:1], v8, v3 src0_sel:BYTE_0 src1_sel:DWORD
	s_and_b64 vcc, exec, s[0:1]
	s_cbranch_vccnz .LBB66_2633
; %bb.2631:
	v_cmp_gt_i16_sdwa s[0:1], v8, v3 src0_sel:BYTE_0 src1_sel:DWORD
	s_and_b64 vcc, exec, s[0:1]
	s_cbranch_vccz .LBB66_2634
; %bb.2632:
	global_load_dwordx2 v[12:13], v[6:7], off
	s_mov_b64 s[0:1], 0
	s_waitcnt vmcnt(0)
	v_cvt_f32_f64_e32 v3, v[12:13]
	s_branch .LBB66_2635
.LBB66_2633:
	s_mov_b64 s[0:1], -1
                                        ; implicit-def: $vgpr3
	s_branch .LBB66_2638
.LBB66_2634:
	s_mov_b64 s[0:1], -1
                                        ; implicit-def: $vgpr3
.LBB66_2635:
	s_andn2_b64 vcc, exec, s[0:1]
	s_cbranch_vccnz .LBB66_2637
; %bb.2636:
	global_load_dword v3, v[6:7], off
.LBB66_2637:
	s_mov_b64 s[0:1], 0
.LBB66_2638:
	s_andn2_b64 vcc, exec, s[0:1]
	s_cbranch_vccnz .LBB66_2640
; %bb.2639:
	global_load_ushort v3, v[6:7], off
	s_waitcnt vmcnt(0)
	v_cvt_f32_f16_e32 v3, v3
.LBB66_2640:
	s_mov_b64 s[0:1], 0
.LBB66_2641:
	s_andn2_b64 vcc, exec, s[0:1]
	s_cbranch_vccnz .LBB66_2661
; %bb.2642:
	s_waitcnt vmcnt(0)
	v_mov_b32_e32 v3, 2
	v_cmp_lt_i16_sdwa s[0:1], v8, v3 src0_sel:BYTE_0 src1_sel:DWORD
	s_and_b64 vcc, exec, s[0:1]
	s_cbranch_vccnz .LBB66_2646
; %bb.2643:
	v_mov_b32_e32 v3, 3
	v_cmp_lt_i16_sdwa s[0:1], v8, v3 src0_sel:BYTE_0 src1_sel:DWORD
	s_and_b64 vcc, exec, s[0:1]
	s_cbranch_vccnz .LBB66_2647
; %bb.2644:
	v_cmp_gt_i16_sdwa s[0:1], v8, v3 src0_sel:BYTE_0 src1_sel:DWORD
	s_and_b64 vcc, exec, s[0:1]
	s_cbranch_vccz .LBB66_2648
; %bb.2645:
	global_load_dwordx2 v[12:13], v[6:7], off
	s_mov_b64 s[0:1], 0
	s_waitcnt vmcnt(0)
	v_xor_b32_e32 v5, v12, v13
	v_ffbh_i32_e32 v3, v13
	v_ashrrev_i32_e32 v5, 31, v5
	v_add_u32_e32 v3, -1, v3
	v_add_u32_e32 v5, 32, v5
	v_min_u32_e32 v3, v3, v5
	v_lshlrev_b64 v[12:13], v3, v[12:13]
	v_min_u32_e32 v5, 1, v12
	v_or_b32_e32 v5, v13, v5
	v_cvt_f32_i32_e32 v5, v5
	v_sub_u32_e32 v3, 32, v3
	v_ldexp_f32 v3, v5, v3
	s_branch .LBB66_2649
.LBB66_2646:
	s_mov_b64 s[0:1], -1
                                        ; implicit-def: $vgpr3
	s_branch .LBB66_2655
.LBB66_2647:
	s_mov_b64 s[0:1], -1
                                        ; implicit-def: $vgpr3
	s_branch .LBB66_2652
.LBB66_2648:
	s_mov_b64 s[0:1], -1
                                        ; implicit-def: $vgpr3
.LBB66_2649:
	s_andn2_b64 vcc, exec, s[0:1]
	s_cbranch_vccnz .LBB66_2651
; %bb.2650:
	global_load_dword v3, v[6:7], off
	s_waitcnt vmcnt(0)
	v_cvt_f32_i32_e32 v3, v3
.LBB66_2651:
	s_mov_b64 s[0:1], 0
.LBB66_2652:
	s_andn2_b64 vcc, exec, s[0:1]
	s_cbranch_vccnz .LBB66_2654
; %bb.2653:
	global_load_sshort v3, v[6:7], off
	s_waitcnt vmcnt(0)
	v_cvt_f32_i32_e32 v3, v3
.LBB66_2654:
	s_mov_b64 s[0:1], 0
.LBB66_2655:
	s_andn2_b64 vcc, exec, s[0:1]
	s_cbranch_vccnz .LBB66_2661
; %bb.2656:
	v_mov_b32_e32 v3, 0
	v_cmp_gt_i16_sdwa s[0:1], v8, v3 src0_sel:BYTE_0 src1_sel:DWORD
	s_and_b64 vcc, exec, s[0:1]
	s_cbranch_vccz .LBB66_2658
; %bb.2657:
	global_load_sbyte v3, v[6:7], off
	s_mov_b64 s[0:1], 0
	s_waitcnt vmcnt(0)
	v_cvt_f32_i32_e32 v3, v3
	s_branch .LBB66_2659
.LBB66_2658:
	s_mov_b64 s[0:1], -1
                                        ; implicit-def: $vgpr3
.LBB66_2659:
	s_andn2_b64 vcc, exec, s[0:1]
	s_cbranch_vccnz .LBB66_2661
; %bb.2660:
	global_load_ubyte v3, v[6:7], off
	s_waitcnt vmcnt(0)
	v_cvt_f32_ubyte0_e32 v3, v3
.LBB66_2661:
	s_mov_b64 s[10:11], -1
.LBB66_2662:
	s_andn2_b64 vcc, exec, s[10:11]
	s_cbranch_vccnz .LBB66_2682
; %bb.2663:
	s_waitcnt vmcnt(0)
	v_trunc_f32_e32 v3, v3
	s_mov_b32 s0, 0x2f800000
	v_mul_f32_e64 v5, |v3|, s0
	v_floor_f32_e32 v5, v5
	s_mov_b32 s0, 0xcf800000
	v_cvt_u32_f32_e32 v6, v5
	v_fma_f32 v5, v5, s0, |v3|
	v_cvt_u32_f32_e32 v5, v5
	v_ashrrev_i32_e32 v3, 31, v3
	v_xor_b32_e32 v6, v6, v3
	v_xor_b32_e32 v5, v5, v3
	v_sub_co_u32_e32 v8, vcc, v5, v3
	v_subb_co_u32_e32 v9, vcc, v6, v3, vcc
	v_cmp_lt_i64_e32 vcc, -1, v[8:9]
	v_mov_b32_e32 v6, 0
	s_and_saveexec_b64 s[0:1], vcc
	s_cbranch_execz .LBB66_2675
; %bb.2664:
	v_cmp_lt_i64_e32 vcc, 0, v[8:9]
	v_mov_b32_e32 v6, 1.0
	s_and_saveexec_b64 s[2:3], vcc
	s_cbranch_execz .LBB66_2674
; %bb.2665:
	v_cmp_ne_u64_e32 vcc, 1, v[8:9]
                                        ; implicit-def: $vgpr6
	s_and_saveexec_b64 s[10:11], vcc
	s_xor_b64 s[10:11], exec, s[10:11]
	s_cbranch_execz .LBB66_2671
; %bb.2666:
	s_mov_b64 s[14:15], 0x81
	v_cmp_gt_u64_e32 vcc, s[14:15], v[8:9]
	v_mov_b32_e32 v6, 0x7fc00000
	s_and_saveexec_b64 s[14:15], vcc
	s_cbranch_execz .LBB66_2670
; %bb.2667:
	s_mov_b64 s[20:21], 1
	s_mov_b64 s[16:17], 0
	v_mov_b32_e32 v3, 1.0
	v_mov_b32_e32 v6, v1
.LBB66_2668:                            ; =>This Inner Loop Header: Depth=1
	s_flbit_i32_b32 s13, s21
	s_min_u32 s13, s13, 32
	s_lshl_b64 s[22:23], s[20:21], s13
	s_min_u32 s22, s22, 1
	s_or_b32 s22, s23, s22
	v_mov_b32_e32 v5, v6
	v_cvt_f32_u32_e32 v6, s22
	s_sub_i32 s13, 32, s13
	s_add_u32 s20, s20, 1
	s_addc_u32 s21, s21, 0
	v_ldexp_f32 v6, v6, s13
	v_cmp_eq_u64_e32 vcc, s[20:21], v[8:9]
	v_mul_f32_e32 v6, v3, v6
	s_or_b64 s[16:17], vcc, s[16:17]
	v_mov_b32_e32 v3, v5
	v_fma_f32 v6, v1, v5, -v6
	s_andn2_b64 exec, exec, s[16:17]
	s_cbranch_execnz .LBB66_2668
; %bb.2669:
	s_or_b64 exec, exec, s[16:17]
.LBB66_2670:
	s_or_b64 exec, exec, s[14:15]
                                        ; implicit-def: $vgpr1
.LBB66_2671:
	s_andn2_saveexec_b64 s[10:11], s[10:11]
; %bb.2672:
	v_mov_b32_e32 v6, v1
; %bb.2673:
	s_or_b64 exec, exec, s[10:11]
.LBB66_2674:
	s_or_b64 exec, exec, s[2:3]
.LBB66_2675:
	s_or_b64 exec, exec, s[0:1]
	v_mul_lo_u32 v3, s12, v11
	v_ashrrev_i32_e32 v1, 31, v3
	v_mov_b32_e32 v5, s9
	v_add_co_u32_e32 v8, vcc, s8, v3
	v_addc_co_u32_e32 v9, vcc, v5, v1, vcc
	v_mov_b32_e32 v1, 11
	v_cmp_lt_i16_sdwa s[0:1], v10, v1 src0_sel:BYTE_0 src1_sel:DWORD
	s_and_b64 vcc, exec, s[0:1]
	s_cbranch_vccnz .LBB66_2728
; %bb.2676:
	v_mov_b32_e32 v1, 25
	v_cmp_gt_i16_sdwa s[0:1], v10, v1 src0_sel:BYTE_0 src1_sel:DWORD
	s_mov_b64 s[14:15], -1
	s_mov_b64 s[2:3], 0
	s_and_b64 vcc, exec, s[0:1]
	s_mov_b64 s[10:11], 0
	s_mov_b64 s[0:1], 0
	s_cbranch_vccz .LBB66_2760
; %bb.2677:
	v_mov_b32_e32 v1, 28
	v_cmp_gt_i16_sdwa s[0:1], v10, v1 src0_sel:BYTE_0 src1_sel:DWORD
	s_and_b64 vcc, exec, s[0:1]
	s_cbranch_vccz .LBB66_2729
; %bb.2678:
	v_mov_b32_e32 v1, 43
	v_cmp_gt_i16_sdwa s[0:1], v10, v1 src0_sel:BYTE_0 src1_sel:DWORD
	s_and_b64 vcc, exec, s[0:1]
	;; [unrolled: 5-line block ×3, first 2 shown]
	s_cbranch_vccz .LBB66_2732
; %bb.2680:
	v_mov_b32_e32 v1, 46
	v_cmp_eq_u16_sdwa s[10:11], v10, v1 src0_sel:BYTE_0 src1_sel:DWORD
	s_mov_b64 s[0:1], -1
	s_mov_b64 s[14:15], 0
	s_and_b64 vcc, exec, s[10:11]
	s_mov_b64 s[10:11], 0
	s_cbranch_vccz .LBB66_2733
; %bb.2681:
	v_bfe_u32 v1, v0, 16, 1
	s_movk_i32 s0, 0x7fff
	v_add3_u32 v1, v0, v1, s0
	v_lshrrev_b32_e32 v1, 16, v1
	v_mov_b32_e32 v5, 0x7fc0
	v_cmp_o_f32_e32 vcc, v0, v0
	v_cndmask_b32_e32 v1, v5, v1, vcc
	global_store_dword v[8:9], v1, off
	s_mov_b64 s[0:1], 0
	s_mov_b64 s[10:11], -1
	s_branch .LBB66_2733
.LBB66_2682:
	s_mov_b64 s[0:1], 0
                                        ; implicit-def: $vgpr2
                                        ; implicit-def: $vgpr0_vgpr1
                                        ; implicit-def: $vgpr6
.LBB66_2683:
	s_mov_b64 s[2:3], 0
.LBB66_2684:
	s_and_b64 s[16:17], s[2:3], exec
	s_andn2_b64 s[2:3], s[6:7], exec
	s_and_b64 s[6:7], s[18:19], exec
	s_and_b64 s[0:1], s[0:1], exec
	s_or_b64 s[6:7], s[2:3], s[6:7]
.LBB66_2685:
	s_or_b64 exec, exec, s[4:5]
	s_and_saveexec_b64 s[2:3], s[6:7]
	s_cbranch_execz .LBB66_2688
; %bb.2686:
	; divergent unreachable
	s_or_b64 exec, exec, s[2:3]
	s_and_saveexec_b64 s[2:3], s[16:17]
	s_xor_b64 s[2:3], exec, s[2:3]
	s_cbranch_execnz .LBB66_2689
.LBB66_2687:
	s_or_b64 exec, exec, s[2:3]
	s_and_saveexec_b64 s[2:3], s[0:1]
	s_cbranch_execnz .LBB66_2690
	s_branch .LBB66_2727
.LBB66_2688:
	s_or_b64 exec, exec, s[2:3]
	s_and_saveexec_b64 s[2:3], s[16:17]
	s_xor_b64 s[2:3], exec, s[2:3]
	s_cbranch_execz .LBB66_2687
.LBB66_2689:
	s_waitcnt vmcnt(0)
	v_cmp_neq_f32_e32 vcc, 0, v6
	v_cndmask_b32_e64 v3, 0, 1, vcc
	global_store_byte v[0:1], v3, off
	s_or_b64 exec, exec, s[2:3]
	s_and_saveexec_b64 s[2:3], s[0:1]
	s_cbranch_execz .LBB66_2727
.LBB66_2690:
	s_waitcnt vmcnt(0)
	v_cmp_gt_i16_e32 vcc, 5, v2
	s_mov_b64 s[0:1], -1
	s_cbranch_vccnz .LBB66_2711
; %bb.2691:
	v_cmp_gt_i16_e32 vcc, 8, v2
	s_cbranch_vccnz .LBB66_2701
; %bb.2692:
	v_cmp_gt_i16_e32 vcc, 9, v2
	s_cbranch_vccnz .LBB66_2698
; %bb.2693:
	v_cmp_lt_i16_e32 vcc, 9, v2
	s_cbranch_vccz .LBB66_2695
; %bb.2694:
	v_mov_b32_e32 v10, 0
	v_cvt_f64_f32_e32 v[8:9], v6
	v_mov_b32_e32 v11, v10
	global_store_dwordx4 v[0:1], v[8:11], off
	s_mov_b64 s[0:1], 0
.LBB66_2695:
	s_andn2_b64 vcc, exec, s[0:1]
	s_cbranch_vccnz .LBB66_2697
; %bb.2696:
	v_mov_b32_e32 v7, 0
	global_store_dwordx2 v[0:1], v[6:7], off
.LBB66_2697:
	s_mov_b64 s[0:1], 0
.LBB66_2698:
	s_andn2_b64 vcc, exec, s[0:1]
	s_cbranch_vccnz .LBB66_2700
; %bb.2699:
	v_cvt_f16_f32_e32 v3, v6
	global_store_dword v[0:1], v3, off
.LBB66_2700:
	s_mov_b64 s[0:1], 0
.LBB66_2701:
	s_andn2_b64 vcc, exec, s[0:1]
	s_cbranch_vccnz .LBB66_2710
; %bb.2702:
	v_cmp_gt_i16_e32 vcc, 6, v2
	s_mov_b64 s[0:1], -1
	s_cbranch_vccnz .LBB66_2708
; %bb.2703:
	v_cmp_lt_i16_e32 vcc, 6, v2
	s_cbranch_vccz .LBB66_2705
; %bb.2704:
	v_cvt_f64_f32_e32 v[4:5], v6
	global_store_dwordx2 v[0:1], v[4:5], off
	s_mov_b64 s[0:1], 0
.LBB66_2705:
	s_andn2_b64 vcc, exec, s[0:1]
	s_cbranch_vccnz .LBB66_2707
; %bb.2706:
	global_store_dword v[0:1], v6, off
.LBB66_2707:
	s_mov_b64 s[0:1], 0
.LBB66_2708:
	s_andn2_b64 vcc, exec, s[0:1]
	s_cbranch_vccnz .LBB66_2710
; %bb.2709:
	v_cvt_f16_f32_e32 v3, v6
	global_store_short v[0:1], v3, off
.LBB66_2710:
	s_mov_b64 s[0:1], 0
.LBB66_2711:
	s_andn2_b64 vcc, exec, s[0:1]
	s_cbranch_vccnz .LBB66_2727
; %bb.2712:
	v_cmp_gt_i16_e32 vcc, 2, v2
	s_mov_b64 s[0:1], -1
	s_cbranch_vccnz .LBB66_2722
; %bb.2713:
	v_cmp_gt_i16_e32 vcc, 3, v2
	s_cbranch_vccnz .LBB66_2719
; %bb.2714:
	v_cmp_lt_i16_e32 vcc, 3, v2
	s_cbranch_vccz .LBB66_2716
; %bb.2715:
	v_trunc_f32_e32 v3, v6
	s_mov_b32 s0, 0x2f800000
	v_mul_f32_e64 v4, |v3|, s0
	v_floor_f32_e32 v4, v4
	s_mov_b32 s0, 0xcf800000
	v_cvt_u32_f32_e32 v5, v4
	v_fma_f32 v4, v4, s0, |v3|
	v_cvt_u32_f32_e32 v4, v4
	v_ashrrev_i32_e32 v3, 31, v3
	v_xor_b32_e32 v5, v5, v3
	s_mov_b64 s[0:1], 0
	v_xor_b32_e32 v4, v4, v3
	v_sub_co_u32_e32 v4, vcc, v4, v3
	v_subb_co_u32_e32 v5, vcc, v5, v3, vcc
	global_store_dwordx2 v[0:1], v[4:5], off
.LBB66_2716:
	s_andn2_b64 vcc, exec, s[0:1]
	s_cbranch_vccnz .LBB66_2718
; %bb.2717:
	v_cvt_i32_f32_e32 v3, v6
	global_store_dword v[0:1], v3, off
.LBB66_2718:
	s_mov_b64 s[0:1], 0
.LBB66_2719:
	s_andn2_b64 vcc, exec, s[0:1]
	s_cbranch_vccnz .LBB66_2721
; %bb.2720:
	v_cvt_i32_f32_e32 v3, v6
	global_store_short v[0:1], v3, off
.LBB66_2721:
	s_mov_b64 s[0:1], 0
.LBB66_2722:
	s_andn2_b64 vcc, exec, s[0:1]
	s_cbranch_vccnz .LBB66_2727
; %bb.2723:
	v_cmp_lt_i16_e32 vcc, 0, v2
	s_mov_b64 s[0:1], -1
	s_cbranch_vccz .LBB66_2725
; %bb.2724:
	v_cvt_i32_f32_e32 v2, v6
	s_mov_b64 s[0:1], 0
	global_store_byte v[0:1], v2, off
.LBB66_2725:
	s_andn2_b64 vcc, exec, s[0:1]
	s_cbranch_vccnz .LBB66_2727
; %bb.2726:
	v_trunc_f32_e32 v2, v6
	s_mov_b32 s0, 0x2f800000
	v_mul_f32_e64 v3, |v2|, s0
	v_floor_f32_e32 v3, v3
	s_mov_b32 s0, 0xcf800000
	v_fma_f32 v3, v3, s0, |v2|
	v_cvt_u32_f32_e32 v3, v3
	v_ashrrev_i32_e32 v2, 31, v2
	v_xor_b32_e32 v3, v3, v2
	v_sub_u32_e32 v2, v3, v2
	global_store_byte v[0:1], v2, off
	s_endpgm
.LBB66_2727:
	s_endpgm
.LBB66_2728:
	s_mov_b64 s[0:1], -1
	s_mov_b64 s[10:11], 0
	s_branch .LBB66_2804
.LBB66_2729:
	s_mov_b64 s[0:1], 0
	s_branch .LBB66_2743
.LBB66_2730:
	s_mov_b64 s[0:1], 0
	s_branch .LBB66_2739
.LBB66_2731:
	s_trap 2
	s_or_b64 s[18:19], s[18:19], exec
                                        ; implicit-def: $vgpr3
	s_cbranch_execz .LBB66_2611
	s_branch .LBB66_2612
.LBB66_2732:
	s_mov_b64 s[0:1], 0
.LBB66_2733:
	s_and_b64 vcc, exec, s[14:15]
	s_cbranch_vccz .LBB66_2738
; %bb.2734:
	v_mov_b32_e32 v1, 44
	v_cmp_eq_u16_sdwa s[14:15], v10, v1 src0_sel:BYTE_0 src1_sel:DWORD
	s_mov_b64 s[0:1], -1
	s_and_b64 vcc, exec, s[14:15]
	s_cbranch_vccz .LBB66_2738
; %bb.2735:
	v_bfe_u32 v1, v0, 23, 8
	s_movk_i32 s0, 0xff
	v_cmp_ne_u32_e32 vcc, s0, v1
	v_mov_b32_e32 v5, 0xff
	s_and_saveexec_b64 s[10:11], vcc
; %bb.2736:
	s_mov_b32 s0, 0x3fffff
	v_and_b32_e32 v7, 0x400000, v0
	v_and_or_b32 v1, v0, s0, v1
	v_cmp_ne_u32_e32 vcc, 0, v7
	v_cmp_ne_u32_e64 s[0:1], 0, v1
	s_and_b64 s[0:1], vcc, s[0:1]
	v_lshrrev_b32_e32 v5, 23, v0
	v_cndmask_b32_e64 v1, 0, 1, s[0:1]
	v_add_u32_e32 v5, v5, v1
; %bb.2737:
	s_or_b64 exec, exec, s[10:11]
	s_mov_b64 s[0:1], 0
	s_mov_b64 s[10:11], -1
	global_store_byte v[8:9], v5, off
.LBB66_2738:
	s_mov_b64 s[14:15], 0
.LBB66_2739:
	s_and_b64 vcc, exec, s[14:15]
	s_cbranch_vccz .LBB66_2742
; %bb.2740:
	v_mov_b32_e32 v1, 29
	v_cmp_eq_u16_sdwa s[14:15], v10, v1 src0_sel:BYTE_0 src1_sel:DWORD
	s_mov_b64 s[0:1], -1
	s_and_b64 vcc, exec, s[14:15]
	s_cbranch_vccz .LBB66_2742
; %bb.2741:
	v_trunc_f32_e32 v1, v0
	v_mul_f32_e32 v5, 0x2f800000, v1
	v_floor_f32_e32 v5, v5
	v_fmac_f32_e32 v1, 0xcf800000, v5
	v_cvt_u32_f32_e32 v13, v5
	v_cvt_u32_f32_e32 v12, v1
	s_mov_b64 s[0:1], 0
	s_mov_b64 s[10:11], -1
	s_mov_b64 s[14:15], 0
	global_store_dwordx2 v[8:9], v[12:13], off
	s_branch .LBB66_2743
.LBB66_2742:
	s_mov_b64 s[14:15], 0
.LBB66_2743:
	s_and_b64 vcc, exec, s[14:15]
	s_cbranch_vccz .LBB66_2759
; %bb.2744:
	v_mov_b32_e32 v1, 27
	v_cmp_lt_i16_sdwa s[14:15], v10, v1 src0_sel:BYTE_0 src1_sel:DWORD
	s_mov_b64 s[10:11], -1
	s_and_b64 vcc, exec, s[14:15]
	s_cbranch_vccnz .LBB66_2750
; %bb.2745:
	v_cmp_gt_i16_sdwa s[14:15], v10, v1 src0_sel:BYTE_0 src1_sel:DWORD
	v_cvt_u32_f32_e32 v1, v0
	s_and_b64 vcc, exec, s[14:15]
	s_cbranch_vccz .LBB66_2747
; %bb.2746:
	s_mov_b64 s[10:11], 0
	global_store_dword v[8:9], v1, off
.LBB66_2747:
	s_andn2_b64 vcc, exec, s[10:11]
	s_cbranch_vccnz .LBB66_2749
; %bb.2748:
	global_store_short v[8:9], v1, off
.LBB66_2749:
	s_mov_b64 s[10:11], 0
.LBB66_2750:
	s_andn2_b64 vcc, exec, s[10:11]
	s_cbranch_vccnz .LBB66_2758
; %bb.2751:
	v_and_b32_e32 v1, 0x7fffffff, v0
	s_mov_b32 s10, 0x43800000
	v_cmp_gt_u32_e32 vcc, s10, v1
	v_mov_b32_e32 v5, 0x80
	s_and_saveexec_b64 s[10:11], vcc
	s_cbranch_execz .LBB66_2757
; %bb.2752:
	s_mov_b32 s13, 0x3bffffff
	v_cmp_lt_u32_e32 vcc, s13, v1
	s_mov_b64 s[14:15], 0
                                        ; implicit-def: $vgpr1
	s_and_saveexec_b64 s[16:17], vcc
	s_xor_b64 s[16:17], exec, s[16:17]
	s_cbranch_execz .LBB66_2853
; %bb.2753:
	v_bfe_u32 v1, v0, 20, 1
	s_mov_b32 s13, 0x487ffff
	v_add3_u32 v1, v0, v1, s13
	s_mov_b64 s[14:15], exec
	v_lshrrev_b32_e32 v1, 20, v1
	s_or_saveexec_b64 s[16:17], s[16:17]
                                        ; implicit-def: $sgpr13
	s_xor_b64 exec, exec, s[16:17]
	s_cbranch_execnz .LBB66_2854
.LBB66_2754:
	s_or_b64 exec, exec, s[16:17]
	v_mov_b32_e32 v5, s13
	s_and_saveexec_b64 s[16:17], s[14:15]
.LBB66_2755:
	v_lshrrev_b32_e32 v5, 24, v0
	s_movk_i32 s13, 0x80
	v_and_or_b32 v5, v5, s13, v1
.LBB66_2756:
	s_or_b64 exec, exec, s[16:17]
.LBB66_2757:
	s_or_b64 exec, exec, s[10:11]
	global_store_byte v[8:9], v5, off
.LBB66_2758:
	s_mov_b64 s[10:11], -1
.LBB66_2759:
	s_mov_b64 s[14:15], 0
.LBB66_2760:
	s_and_b64 vcc, exec, s[14:15]
	s_cbranch_vccz .LBB66_2800
; %bb.2761:
	v_mov_b32_e32 v1, 22
	v_cmp_gt_i16_sdwa s[14:15], v10, v1 src0_sel:BYTE_0 src1_sel:DWORD
	s_mov_b64 s[2:3], -1
	s_and_b64 vcc, exec, s[14:15]
	s_cbranch_vccz .LBB66_2793
; %bb.2762:
	v_mov_b32_e32 v1, 24
	v_cmp_lt_i16_sdwa s[10:11], v10, v1 src0_sel:BYTE_0 src1_sel:DWORD
	s_and_b64 vcc, exec, s[10:11]
	s_cbranch_vccnz .LBB66_2782
; %bb.2763:
	v_cmp_gt_i16_sdwa s[10:11], v10, v1 src0_sel:BYTE_0 src1_sel:DWORD
	s_and_b64 vcc, exec, s[10:11]
	s_cbranch_vccz .LBB66_2771
; %bb.2764:
	v_and_b32_e32 v1, 0x7fffffff, v0
	s_mov_b32 s2, 0x47800000
	v_cmp_gt_u32_e32 vcc, s2, v1
	v_mov_b32_e32 v5, 0x80
	s_and_saveexec_b64 s[2:3], vcc
	s_cbranch_execz .LBB66_2770
; %bb.2765:
	s_mov_b32 s10, 0x37ffffff
	v_cmp_lt_u32_e32 vcc, s10, v1
	s_mov_b64 s[10:11], 0
                                        ; implicit-def: $vgpr1
	s_and_saveexec_b64 s[14:15], vcc
	s_xor_b64 s[14:15], exec, s[14:15]
	s_cbranch_execz .LBB66_2857
; %bb.2766:
	v_bfe_u32 v1, v0, 21, 1
	s_mov_b32 s13, 0x88fffff
	v_add3_u32 v1, v0, v1, s13
	s_mov_b64 s[10:11], exec
	v_lshrrev_b32_e32 v1, 21, v1
	s_or_saveexec_b64 s[14:15], s[14:15]
                                        ; implicit-def: $sgpr13
	s_xor_b64 exec, exec, s[14:15]
	s_cbranch_execnz .LBB66_2858
.LBB66_2767:
	s_or_b64 exec, exec, s[14:15]
	v_mov_b32_e32 v5, s13
	s_and_saveexec_b64 s[14:15], s[10:11]
.LBB66_2768:
	v_lshrrev_b32_e32 v5, 24, v0
	s_movk_i32 s10, 0x80
	v_and_or_b32 v5, v5, s10, v1
.LBB66_2769:
	s_or_b64 exec, exec, s[14:15]
.LBB66_2770:
	s_or_b64 exec, exec, s[2:3]
	s_mov_b64 s[2:3], 0
	global_store_byte v[8:9], v5, off
.LBB66_2771:
	s_and_b64 vcc, exec, s[2:3]
	s_cbranch_vccz .LBB66_2781
; %bb.2772:
	v_and_b32_e32 v5, 0x7fffffff, v0
	s_mov_b32 s2, 0x43f00000
	v_cmp_gt_u32_e32 vcc, s2, v5
                                        ; implicit-def: $vgpr1
	s_and_saveexec_b64 s[2:3], vcc
	s_xor_b64 s[2:3], exec, s[2:3]
	s_cbranch_execz .LBB66_2778
; %bb.2773:
	s_mov_b32 s10, 0x3c7fffff
	v_cmp_lt_u32_e32 vcc, s10, v5
                                        ; implicit-def: $vgpr1
	s_and_saveexec_b64 s[10:11], vcc
	s_xor_b64 s[10:11], exec, s[10:11]
; %bb.2774:
	v_bfe_u32 v1, v0, 20, 1
	s_mov_b32 s13, 0x407ffff
	v_add3_u32 v1, v0, v1, s13
	v_lshrrev_b32_e32 v5, 20, v1
	v_and_b32_e32 v1, 0xff00000, v1
	s_mov_b32 s13, 0x7f00000
	v_mov_b32_e32 v7, 0x7e
	v_cmp_ne_u32_e32 vcc, s13, v1
	v_cndmask_b32_e32 v1, v7, v5, vcc
; %bb.2775:
	s_andn2_saveexec_b64 s[10:11], s[10:11]
; %bb.2776:
	s_mov_b32 s13, 0x46800000
	v_add_f32_e64 v1, |v0|, s13
; %bb.2777:
	s_or_b64 exec, exec, s[10:11]
                                        ; implicit-def: $vgpr5
.LBB66_2778:
	s_andn2_saveexec_b64 s[2:3], s[2:3]
; %bb.2779:
	s_mov_b32 s10, 0x7f800000
	v_mov_b32_e32 v1, 0x7e
	v_mov_b32_e32 v7, 0x7f
	v_cmp_lt_u32_e32 vcc, s10, v5
	v_cndmask_b32_e32 v1, v1, v7, vcc
; %bb.2780:
	s_or_b64 exec, exec, s[2:3]
	v_lshrrev_b32_e32 v5, 24, v0
	s_movk_i32 s2, 0x80
	v_and_or_b32 v1, v5, s2, v1
	global_store_byte v[8:9], v1, off
.LBB66_2781:
	s_mov_b64 s[2:3], 0
.LBB66_2782:
	s_andn2_b64 vcc, exec, s[2:3]
	s_cbranch_vccnz .LBB66_2792
; %bb.2783:
	v_and_b32_e32 v5, 0x7fffffff, v0
	s_mov_b32 s2, 0x47800000
	v_cmp_gt_u32_e32 vcc, s2, v5
                                        ; implicit-def: $vgpr1
	s_and_saveexec_b64 s[2:3], vcc
	s_xor_b64 s[2:3], exec, s[2:3]
	s_cbranch_execz .LBB66_2789
; %bb.2784:
	s_mov_b32 s10, 0x387fffff
	v_cmp_lt_u32_e32 vcc, s10, v5
                                        ; implicit-def: $vgpr1
	s_and_saveexec_b64 s[10:11], vcc
	s_xor_b64 s[10:11], exec, s[10:11]
; %bb.2785:
	v_bfe_u32 v1, v0, 21, 1
	s_mov_b32 s13, 0x80fffff
	v_add3_u32 v1, v0, v1, s13
	v_lshrrev_b32_e32 v1, 21, v1
; %bb.2786:
	s_andn2_saveexec_b64 s[10:11], s[10:11]
; %bb.2787:
	s_mov_b32 s13, 0x43000000
	v_add_f32_e64 v1, |v0|, s13
; %bb.2788:
	s_or_b64 exec, exec, s[10:11]
                                        ; implicit-def: $vgpr5
.LBB66_2789:
	s_andn2_saveexec_b64 s[2:3], s[2:3]
; %bb.2790:
	s_mov_b32 s10, 0x7f800000
	v_mov_b32_e32 v1, 0x7c
	v_mov_b32_e32 v7, 0x7f
	v_cmp_lt_u32_e32 vcc, s10, v5
	v_cndmask_b32_e32 v1, v1, v7, vcc
; %bb.2791:
	s_or_b64 exec, exec, s[2:3]
	v_lshrrev_b32_e32 v5, 24, v0
	s_movk_i32 s2, 0x80
	v_and_or_b32 v1, v5, s2, v1
	global_store_byte v[8:9], v1, off
.LBB66_2792:
	s_mov_b64 s[2:3], 0
	s_mov_b64 s[10:11], -1
.LBB66_2793:
	s_andn2_b64 vcc, exec, s[2:3]
	s_mov_b64 s[2:3], 0
	s_cbranch_vccnz .LBB66_2800
; %bb.2794:
	v_mov_b32_e32 v1, 14
	v_cmp_gt_i16_sdwa s[2:3], v10, v1 src0_sel:BYTE_0 src1_sel:DWORD
	s_mov_b64 s[14:15], -1
	s_and_b64 vcc, exec, s[2:3]
	s_cbranch_vccz .LBB66_2798
; %bb.2795:
	v_mov_b32_e32 v1, 15
	v_cmp_eq_u16_sdwa s[2:3], v10, v1 src0_sel:BYTE_0 src1_sel:DWORD
	s_mov_b64 s[0:1], -1
	s_and_b64 vcc, exec, s[2:3]
	s_cbranch_vccz .LBB66_2797
; %bb.2796:
	v_bfe_u32 v1, v0, 16, 1
	s_movk_i32 s0, 0x7fff
	v_add3_u32 v1, v0, v1, s0
	v_lshrrev_b32_e32 v1, 16, v1
	v_mov_b32_e32 v5, 0x7fc0
	v_cmp_o_f32_e32 vcc, v0, v0
	v_cndmask_b32_e32 v1, v5, v1, vcc
	global_store_short v[8:9], v1, off
	s_mov_b64 s[0:1], 0
	s_mov_b64 s[10:11], -1
.LBB66_2797:
	s_mov_b64 s[14:15], 0
.LBB66_2798:
	s_mov_b64 s[2:3], 0
	s_and_b64 vcc, exec, s[14:15]
	s_cbranch_vccz .LBB66_2800
; %bb.2799:
	v_mov_b32_e32 v1, 11
	v_cmp_ne_u16_sdwa s[0:1], v10, v1 src0_sel:BYTE_0 src1_sel:DWORD
	s_mov_b64 s[2:3], -1
.LBB66_2800:
	s_and_b64 vcc, exec, s[0:1]
	s_cbranch_vccnz .LBB66_2856
; %bb.2801:
	s_andn2_b64 vcc, exec, s[2:3]
	s_cbranch_vccnz .LBB66_2803
.LBB66_2802:
	v_cmp_neq_f32_e32 vcc, 0, v0
	v_cndmask_b32_e64 v1, 0, 1, vcc
	s_mov_b64 s[10:11], -1
	global_store_byte v[8:9], v1, off
.LBB66_2803:
	s_mov_b64 s[0:1], 0
.LBB66_2804:
	s_and_b64 vcc, exec, s[0:1]
	s_cbranch_vccz .LBB66_2843
; %bb.2805:
	v_mov_b32_e32 v1, 5
	v_cmp_lt_i16_sdwa s[2:3], v10, v1 src0_sel:BYTE_0 src1_sel:DWORD
	s_mov_b64 s[0:1], -1
	s_and_b64 vcc, exec, s[2:3]
	s_cbranch_vccnz .LBB66_2826
; %bb.2806:
	v_mov_b32_e32 v1, 8
	v_cmp_lt_i16_sdwa s[2:3], v10, v1 src0_sel:BYTE_0 src1_sel:DWORD
	s_and_b64 vcc, exec, s[2:3]
	s_cbranch_vccnz .LBB66_2816
; %bb.2807:
	v_mov_b32_e32 v1, 9
	v_cmp_lt_i16_sdwa s[2:3], v10, v1 src0_sel:BYTE_0 src1_sel:DWORD
	s_and_b64 vcc, exec, s[2:3]
	s_cbranch_vccnz .LBB66_2813
; %bb.2808:
	v_cmp_gt_i16_sdwa s[2:3], v10, v1 src0_sel:BYTE_0 src1_sel:DWORD
	s_and_b64 vcc, exec, s[2:3]
	s_cbranch_vccz .LBB66_2810
; %bb.2809:
	v_mov_b32_e32 v14, 0
	v_cvt_f64_f32_e32 v[12:13], v0
	v_mov_b32_e32 v15, v14
	global_store_dwordx4 v[8:9], v[12:15], off
	s_mov_b64 s[0:1], 0
.LBB66_2810:
	s_andn2_b64 vcc, exec, s[0:1]
	s_cbranch_vccnz .LBB66_2812
; %bb.2811:
	v_mov_b32_e32 v1, 0
	global_store_dwordx2 v[8:9], v[0:1], off
.LBB66_2812:
	s_mov_b64 s[0:1], 0
.LBB66_2813:
	s_andn2_b64 vcc, exec, s[0:1]
	s_cbranch_vccnz .LBB66_2815
; %bb.2814:
	v_cvt_f16_f32_e32 v1, v0
	global_store_dword v[8:9], v1, off
.LBB66_2815:
	s_mov_b64 s[0:1], 0
.LBB66_2816:
	s_andn2_b64 vcc, exec, s[0:1]
	s_cbranch_vccnz .LBB66_2825
; %bb.2817:
	v_mov_b32_e32 v1, 6
	v_cmp_lt_i16_sdwa s[2:3], v10, v1 src0_sel:BYTE_0 src1_sel:DWORD
	s_mov_b64 s[0:1], -1
	s_and_b64 vcc, exec, s[2:3]
	s_cbranch_vccnz .LBB66_2823
; %bb.2818:
	v_cmp_gt_i16_sdwa s[2:3], v10, v1 src0_sel:BYTE_0 src1_sel:DWORD
	s_and_b64 vcc, exec, s[2:3]
	s_cbranch_vccz .LBB66_2820
; %bb.2819:
	v_cvt_f64_f32_e32 v[12:13], v0
	global_store_dwordx2 v[8:9], v[12:13], off
	s_mov_b64 s[0:1], 0
.LBB66_2820:
	s_andn2_b64 vcc, exec, s[0:1]
	s_cbranch_vccnz .LBB66_2822
; %bb.2821:
	global_store_dword v[8:9], v0, off
.LBB66_2822:
	s_mov_b64 s[0:1], 0
.LBB66_2823:
	s_andn2_b64 vcc, exec, s[0:1]
	s_cbranch_vccnz .LBB66_2825
; %bb.2824:
	v_cvt_f16_f32_e32 v1, v0
	global_store_short v[8:9], v1, off
.LBB66_2825:
	s_mov_b64 s[0:1], 0
.LBB66_2826:
	s_andn2_b64 vcc, exec, s[0:1]
	s_cbranch_vccnz .LBB66_2842
; %bb.2827:
	v_mov_b32_e32 v1, 2
	v_cmp_lt_i16_sdwa s[2:3], v10, v1 src0_sel:BYTE_0 src1_sel:DWORD
	s_mov_b64 s[0:1], -1
	s_and_b64 vcc, exec, s[2:3]
	s_cbranch_vccnz .LBB66_2837
; %bb.2828:
	v_mov_b32_e32 v1, 3
	v_cmp_lt_i16_sdwa s[2:3], v10, v1 src0_sel:BYTE_0 src1_sel:DWORD
	s_and_b64 vcc, exec, s[2:3]
	s_cbranch_vccnz .LBB66_2834
; %bb.2829:
	v_cmp_gt_i16_sdwa s[2:3], v10, v1 src0_sel:BYTE_0 src1_sel:DWORD
	s_and_b64 vcc, exec, s[2:3]
	s_cbranch_vccz .LBB66_2831
; %bb.2830:
	v_trunc_f32_e32 v1, v0
	s_mov_b32 s0, 0x2f800000
	v_mul_f32_e64 v5, |v1|, s0
	v_floor_f32_e32 v5, v5
	s_mov_b32 s0, 0xcf800000
	v_cvt_u32_f32_e32 v7, v5
	v_fma_f32 v5, v5, s0, |v1|
	v_cvt_u32_f32_e32 v5, v5
	v_ashrrev_i32_e32 v1, 31, v1
	v_xor_b32_e32 v7, v7, v1
	s_mov_b64 s[0:1], 0
	v_xor_b32_e32 v5, v5, v1
	v_sub_co_u32_e32 v12, vcc, v5, v1
	v_subb_co_u32_e32 v13, vcc, v7, v1, vcc
	global_store_dwordx2 v[8:9], v[12:13], off
.LBB66_2831:
	s_andn2_b64 vcc, exec, s[0:1]
	s_cbranch_vccnz .LBB66_2833
; %bb.2832:
	v_cvt_i32_f32_e32 v1, v0
	global_store_dword v[8:9], v1, off
.LBB66_2833:
	s_mov_b64 s[0:1], 0
.LBB66_2834:
	s_andn2_b64 vcc, exec, s[0:1]
	s_cbranch_vccnz .LBB66_2836
; %bb.2835:
	v_cvt_i32_f32_e32 v1, v0
	global_store_short v[8:9], v1, off
.LBB66_2836:
	s_mov_b64 s[0:1], 0
.LBB66_2837:
	s_andn2_b64 vcc, exec, s[0:1]
	s_cbranch_vccnz .LBB66_2842
; %bb.2838:
	v_mov_b32_e32 v1, 0
	v_cmp_gt_i16_sdwa s[2:3], v10, v1 src0_sel:BYTE_0 src1_sel:DWORD
	s_mov_b64 s[0:1], -1
	s_and_b64 vcc, exec, s[2:3]
	s_cbranch_vccz .LBB66_2840
; %bb.2839:
	v_cvt_i32_f32_e32 v1, v0
	s_mov_b64 s[0:1], 0
	global_store_byte v[8:9], v1, off
.LBB66_2840:
	s_andn2_b64 vcc, exec, s[0:1]
	s_cbranch_vccnz .LBB66_2842
; %bb.2841:
	v_trunc_f32_e32 v0, v0
	s_mov_b32 s0, 0x2f800000
	v_mul_f32_e64 v1, |v0|, s0
	v_floor_f32_e32 v1, v1
	s_mov_b32 s0, 0xcf800000
	v_fma_f32 v1, v1, s0, |v0|
	v_cvt_u32_f32_e32 v1, v1
	v_ashrrev_i32_e32 v0, 31, v0
	v_xor_b32_e32 v1, v1, v0
	v_sub_u32_e32 v0, v1, v0
	global_store_byte v[8:9], v0, off
.LBB66_2842:
	s_mov_b64 s[10:11], -1
.LBB66_2843:
	s_andn2_b64 vcc, exec, s[10:11]
	s_cbranch_vccnz .LBB66_3174
; %bb.2844:
	s_lshl_b32 s16, s12, 7
	v_add_u32_e32 v5, s16, v3
	v_ashrrev_i32_e32 v1, 31, v5
	v_mov_b32_e32 v3, s9
	v_add_co_u32_e32 v0, vcc, s8, v5
	v_addc_co_u32_e32 v1, vcc, v3, v1, vcc
	v_mov_b32_e32 v3, 11
	v_cmp_lt_i16_sdwa s[0:1], v10, v3 src0_sel:BYTE_0 src1_sel:DWORD
	s_and_b64 vcc, exec, s[0:1]
	s_cbranch_vccnz .LBB66_2851
; %bb.2845:
	v_mov_b32_e32 v3, 25
	v_cmp_gt_i16_sdwa s[0:1], v10, v3 src0_sel:BYTE_0 src1_sel:DWORD
	s_mov_b64 s[12:13], -1
	s_mov_b64 s[2:3], 0
	s_and_b64 vcc, exec, s[0:1]
	s_mov_b64 s[10:11], 0
	s_mov_b64 s[0:1], 0
	s_cbranch_vccz .LBB66_2887
; %bb.2846:
	v_mov_b32_e32 v3, 28
	v_cmp_gt_i16_sdwa s[0:1], v10, v3 src0_sel:BYTE_0 src1_sel:DWORD
	s_and_b64 vcc, exec, s[0:1]
	s_cbranch_vccz .LBB66_2852
; %bb.2847:
	v_mov_b32_e32 v3, 43
	v_cmp_gt_i16_sdwa s[0:1], v10, v3 src0_sel:BYTE_0 src1_sel:DWORD
	s_and_b64 vcc, exec, s[0:1]
	;; [unrolled: 5-line block ×3, first 2 shown]
	s_cbranch_vccz .LBB66_2859
; %bb.2849:
	v_mov_b32_e32 v3, 46
	v_cmp_eq_u16_sdwa s[10:11], v10, v3 src0_sel:BYTE_0 src1_sel:DWORD
	s_mov_b64 s[0:1], -1
	s_mov_b64 s[12:13], 0
	s_and_b64 vcc, exec, s[10:11]
	s_mov_b64 s[10:11], 0
	s_cbranch_vccz .LBB66_2860
; %bb.2850:
	v_bfe_u32 v3, v2, 16, 1
	s_movk_i32 s0, 0x7fff
	v_add3_u32 v3, v2, v3, s0
	v_lshrrev_b32_e32 v3, 16, v3
	v_mov_b32_e32 v7, 0x7fc0
	v_cmp_o_f32_e32 vcc, v2, v2
	v_cndmask_b32_e32 v3, v7, v3, vcc
	global_store_dword v[0:1], v3, off
	s_mov_b64 s[0:1], 0
	s_mov_b64 s[10:11], -1
	s_branch .LBB66_2860
.LBB66_2851:
	s_mov_b64 s[0:1], -1
	s_mov_b64 s[10:11], 0
	s_branch .LBB66_2931
.LBB66_2852:
	s_mov_b64 s[0:1], 0
	s_branch .LBB66_2870
.LBB66_2853:
	s_or_saveexec_b64 s[16:17], s[16:17]
                                        ; implicit-def: $sgpr13
	s_xor_b64 exec, exec, s[16:17]
	s_cbranch_execz .LBB66_2754
.LBB66_2854:
	s_mov_b32 s13, 0x46000000
	v_add_f32_e64 v1, |v0|, s13
	v_and_b32_e32 v1, 0xff, v1
	v_cmp_ne_u32_e32 vcc, 0, v1
	s_andn2_b64 s[14:15], s[14:15], exec
	s_and_b64 s[20:21], vcc, exec
	s_mov_b32 s13, 0
	s_or_b64 s[14:15], s[14:15], s[20:21]
	s_or_b64 exec, exec, s[16:17]
	v_mov_b32_e32 v5, s13
	s_and_saveexec_b64 s[16:17], s[14:15]
	s_cbranch_execnz .LBB66_2755
	s_branch .LBB66_2756
.LBB66_2855:
	s_mov_b64 s[0:1], 0
	s_branch .LBB66_2866
.LBB66_2856:
	s_trap 2
	s_or_b64 s[18:19], s[18:19], exec
	s_cbranch_execz .LBB66_2802
	s_branch .LBB66_2803
.LBB66_2857:
	s_or_saveexec_b64 s[14:15], s[14:15]
                                        ; implicit-def: $sgpr13
	s_xor_b64 exec, exec, s[14:15]
	s_cbranch_execz .LBB66_2767
.LBB66_2858:
	s_mov_b32 s13, 0x42800000
	v_add_f32_e64 v1, |v0|, s13
	v_and_b32_e32 v1, 0xff, v1
	v_cmp_ne_u32_e32 vcc, 0, v1
	s_andn2_b64 s[10:11], s[10:11], exec
	s_and_b64 s[16:17], vcc, exec
	s_mov_b32 s13, 0
	s_or_b64 s[10:11], s[10:11], s[16:17]
	s_or_b64 exec, exec, s[14:15]
	v_mov_b32_e32 v5, s13
	s_and_saveexec_b64 s[14:15], s[10:11]
	s_cbranch_execnz .LBB66_2768
	s_branch .LBB66_2769
.LBB66_2859:
	s_mov_b64 s[0:1], 0
.LBB66_2860:
	s_and_b64 vcc, exec, s[12:13]
	s_cbranch_vccz .LBB66_2865
; %bb.2861:
	v_mov_b32_e32 v3, 44
	v_cmp_eq_u16_sdwa s[12:13], v10, v3 src0_sel:BYTE_0 src1_sel:DWORD
	s_mov_b64 s[0:1], -1
	s_and_b64 vcc, exec, s[12:13]
	s_cbranch_vccz .LBB66_2865
; %bb.2862:
	v_bfe_u32 v3, v2, 23, 8
	s_movk_i32 s0, 0xff
	v_cmp_ne_u32_e32 vcc, s0, v3
	v_mov_b32_e32 v7, 0xff
	s_and_saveexec_b64 s[10:11], vcc
; %bb.2863:
	s_mov_b32 s0, 0x3fffff
	v_and_b32_e32 v8, 0x400000, v2
	v_and_or_b32 v3, v2, s0, v3
	v_cmp_ne_u32_e32 vcc, 0, v8
	v_cmp_ne_u32_e64 s[0:1], 0, v3
	s_and_b64 s[0:1], vcc, s[0:1]
	v_lshrrev_b32_e32 v7, 23, v2
	v_cndmask_b32_e64 v3, 0, 1, s[0:1]
	v_add_u32_e32 v7, v7, v3
; %bb.2864:
	s_or_b64 exec, exec, s[10:11]
	s_mov_b64 s[0:1], 0
	s_mov_b64 s[10:11], -1
	global_store_byte v[0:1], v7, off
.LBB66_2865:
	s_mov_b64 s[12:13], 0
.LBB66_2866:
	s_and_b64 vcc, exec, s[12:13]
	s_cbranch_vccz .LBB66_2869
; %bb.2867:
	v_mov_b32_e32 v3, 29
	v_cmp_eq_u16_sdwa s[12:13], v10, v3 src0_sel:BYTE_0 src1_sel:DWORD
	s_mov_b64 s[0:1], -1
	s_and_b64 vcc, exec, s[12:13]
	s_cbranch_vccz .LBB66_2869
; %bb.2868:
	v_trunc_f32_e32 v3, v2
	v_mul_f32_e32 v7, 0x2f800000, v3
	v_floor_f32_e32 v7, v7
	v_fmac_f32_e32 v3, 0xcf800000, v7
	v_cvt_u32_f32_e32 v9, v7
	v_cvt_u32_f32_e32 v8, v3
	s_mov_b64 s[0:1], 0
	s_mov_b64 s[10:11], -1
	s_mov_b64 s[12:13], 0
	global_store_dwordx2 v[0:1], v[8:9], off
	s_branch .LBB66_2870
.LBB66_2869:
	s_mov_b64 s[12:13], 0
.LBB66_2870:
	s_and_b64 vcc, exec, s[12:13]
	s_cbranch_vccz .LBB66_2886
; %bb.2871:
	v_mov_b32_e32 v3, 27
	v_cmp_lt_i16_sdwa s[12:13], v10, v3 src0_sel:BYTE_0 src1_sel:DWORD
	s_mov_b64 s[10:11], -1
	s_and_b64 vcc, exec, s[12:13]
	s_cbranch_vccnz .LBB66_2877
; %bb.2872:
	v_cmp_gt_i16_sdwa s[12:13], v10, v3 src0_sel:BYTE_0 src1_sel:DWORD
	v_cvt_u32_f32_e32 v3, v2
	s_and_b64 vcc, exec, s[12:13]
	s_cbranch_vccz .LBB66_2874
; %bb.2873:
	s_mov_b64 s[10:11], 0
	global_store_dword v[0:1], v3, off
.LBB66_2874:
	s_andn2_b64 vcc, exec, s[10:11]
	s_cbranch_vccnz .LBB66_2876
; %bb.2875:
	global_store_short v[0:1], v3, off
.LBB66_2876:
	s_mov_b64 s[10:11], 0
.LBB66_2877:
	s_andn2_b64 vcc, exec, s[10:11]
	s_cbranch_vccnz .LBB66_2885
; %bb.2878:
	v_and_b32_e32 v3, 0x7fffffff, v2
	s_mov_b32 s10, 0x43800000
	v_cmp_gt_u32_e32 vcc, s10, v3
	v_mov_b32_e32 v7, 0x80
	s_and_saveexec_b64 s[10:11], vcc
	s_cbranch_execz .LBB66_2884
; %bb.2879:
	s_mov_b32 s12, 0x3bffffff
	v_cmp_lt_u32_e32 vcc, s12, v3
	s_mov_b64 s[12:13], 0
                                        ; implicit-def: $vgpr3
	s_and_saveexec_b64 s[14:15], vcc
	s_xor_b64 s[14:15], exec, s[14:15]
	s_cbranch_execz .LBB66_2980
; %bb.2880:
	v_bfe_u32 v3, v2, 20, 1
	s_mov_b32 s17, 0x487ffff
	v_add3_u32 v3, v2, v3, s17
	s_mov_b64 s[12:13], exec
	v_lshrrev_b32_e32 v3, 20, v3
	s_or_saveexec_b64 s[14:15], s[14:15]
                                        ; implicit-def: $sgpr17
	s_xor_b64 exec, exec, s[14:15]
	s_cbranch_execnz .LBB66_2981
.LBB66_2881:
	s_or_b64 exec, exec, s[14:15]
	v_mov_b32_e32 v7, s17
	s_and_saveexec_b64 s[14:15], s[12:13]
.LBB66_2882:
	v_lshrrev_b32_e32 v7, 24, v2
	s_movk_i32 s12, 0x80
	v_and_or_b32 v7, v7, s12, v3
.LBB66_2883:
	s_or_b64 exec, exec, s[14:15]
.LBB66_2884:
	s_or_b64 exec, exec, s[10:11]
	global_store_byte v[0:1], v7, off
.LBB66_2885:
	s_mov_b64 s[10:11], -1
.LBB66_2886:
	s_mov_b64 s[12:13], 0
.LBB66_2887:
	s_and_b64 vcc, exec, s[12:13]
	s_cbranch_vccz .LBB66_2927
; %bb.2888:
	v_mov_b32_e32 v3, 22
	v_cmp_gt_i16_sdwa s[12:13], v10, v3 src0_sel:BYTE_0 src1_sel:DWORD
	s_mov_b64 s[2:3], -1
	s_and_b64 vcc, exec, s[12:13]
	s_cbranch_vccz .LBB66_2920
; %bb.2889:
	v_mov_b32_e32 v3, 24
	v_cmp_lt_i16_sdwa s[10:11], v10, v3 src0_sel:BYTE_0 src1_sel:DWORD
	s_and_b64 vcc, exec, s[10:11]
	s_cbranch_vccnz .LBB66_2909
; %bb.2890:
	v_cmp_gt_i16_sdwa s[10:11], v10, v3 src0_sel:BYTE_0 src1_sel:DWORD
	s_and_b64 vcc, exec, s[10:11]
	s_cbranch_vccz .LBB66_2898
; %bb.2891:
	v_and_b32_e32 v3, 0x7fffffff, v2
	s_mov_b32 s2, 0x47800000
	v_cmp_gt_u32_e32 vcc, s2, v3
	v_mov_b32_e32 v7, 0x80
	s_and_saveexec_b64 s[2:3], vcc
	s_cbranch_execz .LBB66_2897
; %bb.2892:
	s_mov_b32 s10, 0x37ffffff
	v_cmp_lt_u32_e32 vcc, s10, v3
	s_mov_b64 s[10:11], 0
                                        ; implicit-def: $vgpr3
	s_and_saveexec_b64 s[12:13], vcc
	s_xor_b64 s[12:13], exec, s[12:13]
	s_cbranch_execz .LBB66_2984
; %bb.2893:
	v_bfe_u32 v3, v2, 21, 1
	s_mov_b32 s14, 0x88fffff
	v_add3_u32 v3, v2, v3, s14
	s_mov_b64 s[10:11], exec
	v_lshrrev_b32_e32 v3, 21, v3
	s_or_saveexec_b64 s[12:13], s[12:13]
                                        ; implicit-def: $sgpr14
	s_xor_b64 exec, exec, s[12:13]
	s_cbranch_execnz .LBB66_2985
.LBB66_2894:
	s_or_b64 exec, exec, s[12:13]
	v_mov_b32_e32 v7, s14
	s_and_saveexec_b64 s[12:13], s[10:11]
.LBB66_2895:
	v_lshrrev_b32_e32 v7, 24, v2
	s_movk_i32 s10, 0x80
	v_and_or_b32 v7, v7, s10, v3
.LBB66_2896:
	s_or_b64 exec, exec, s[12:13]
.LBB66_2897:
	s_or_b64 exec, exec, s[2:3]
	s_mov_b64 s[2:3], 0
	global_store_byte v[0:1], v7, off
.LBB66_2898:
	s_and_b64 vcc, exec, s[2:3]
	s_cbranch_vccz .LBB66_2908
; %bb.2899:
	v_and_b32_e32 v7, 0x7fffffff, v2
	s_mov_b32 s2, 0x43f00000
	v_cmp_gt_u32_e32 vcc, s2, v7
                                        ; implicit-def: $vgpr3
	s_and_saveexec_b64 s[2:3], vcc
	s_xor_b64 s[2:3], exec, s[2:3]
	s_cbranch_execz .LBB66_2905
; %bb.2900:
	s_mov_b32 s10, 0x3c7fffff
	v_cmp_lt_u32_e32 vcc, s10, v7
                                        ; implicit-def: $vgpr3
	s_and_saveexec_b64 s[10:11], vcc
	s_xor_b64 s[10:11], exec, s[10:11]
; %bb.2901:
	v_bfe_u32 v3, v2, 20, 1
	s_mov_b32 s12, 0x407ffff
	v_add3_u32 v3, v2, v3, s12
	v_lshrrev_b32_e32 v7, 20, v3
	v_and_b32_e32 v3, 0xff00000, v3
	s_mov_b32 s12, 0x7f00000
	v_mov_b32_e32 v8, 0x7e
	v_cmp_ne_u32_e32 vcc, s12, v3
	v_cndmask_b32_e32 v3, v8, v7, vcc
; %bb.2902:
	s_andn2_saveexec_b64 s[10:11], s[10:11]
; %bb.2903:
	s_mov_b32 s12, 0x46800000
	v_add_f32_e64 v3, |v2|, s12
; %bb.2904:
	s_or_b64 exec, exec, s[10:11]
                                        ; implicit-def: $vgpr7
.LBB66_2905:
	s_andn2_saveexec_b64 s[2:3], s[2:3]
; %bb.2906:
	s_mov_b32 s10, 0x7f800000
	v_mov_b32_e32 v3, 0x7e
	v_mov_b32_e32 v8, 0x7f
	v_cmp_lt_u32_e32 vcc, s10, v7
	v_cndmask_b32_e32 v3, v3, v8, vcc
; %bb.2907:
	s_or_b64 exec, exec, s[2:3]
	v_lshrrev_b32_e32 v7, 24, v2
	s_movk_i32 s2, 0x80
	v_and_or_b32 v3, v7, s2, v3
	global_store_byte v[0:1], v3, off
.LBB66_2908:
	s_mov_b64 s[2:3], 0
.LBB66_2909:
	s_andn2_b64 vcc, exec, s[2:3]
	s_cbranch_vccnz .LBB66_2919
; %bb.2910:
	v_and_b32_e32 v7, 0x7fffffff, v2
	s_mov_b32 s2, 0x47800000
	v_cmp_gt_u32_e32 vcc, s2, v7
                                        ; implicit-def: $vgpr3
	s_and_saveexec_b64 s[2:3], vcc
	s_xor_b64 s[2:3], exec, s[2:3]
	s_cbranch_execz .LBB66_2916
; %bb.2911:
	s_mov_b32 s10, 0x387fffff
	v_cmp_lt_u32_e32 vcc, s10, v7
                                        ; implicit-def: $vgpr3
	s_and_saveexec_b64 s[10:11], vcc
	s_xor_b64 s[10:11], exec, s[10:11]
; %bb.2912:
	v_bfe_u32 v3, v2, 21, 1
	s_mov_b32 s12, 0x80fffff
	v_add3_u32 v3, v2, v3, s12
	v_lshrrev_b32_e32 v3, 21, v3
; %bb.2913:
	s_andn2_saveexec_b64 s[10:11], s[10:11]
; %bb.2914:
	s_mov_b32 s12, 0x43000000
	v_add_f32_e64 v3, |v2|, s12
; %bb.2915:
	s_or_b64 exec, exec, s[10:11]
                                        ; implicit-def: $vgpr7
.LBB66_2916:
	s_andn2_saveexec_b64 s[2:3], s[2:3]
; %bb.2917:
	s_mov_b32 s10, 0x7f800000
	v_mov_b32_e32 v3, 0x7c
	v_mov_b32_e32 v8, 0x7f
	v_cmp_lt_u32_e32 vcc, s10, v7
	v_cndmask_b32_e32 v3, v3, v8, vcc
; %bb.2918:
	s_or_b64 exec, exec, s[2:3]
	v_lshrrev_b32_e32 v7, 24, v2
	s_movk_i32 s2, 0x80
	v_and_or_b32 v3, v7, s2, v3
	global_store_byte v[0:1], v3, off
.LBB66_2919:
	s_mov_b64 s[2:3], 0
	s_mov_b64 s[10:11], -1
.LBB66_2920:
	s_andn2_b64 vcc, exec, s[2:3]
	s_mov_b64 s[2:3], 0
	s_cbranch_vccnz .LBB66_2927
; %bb.2921:
	v_mov_b32_e32 v3, 14
	v_cmp_gt_i16_sdwa s[2:3], v10, v3 src0_sel:BYTE_0 src1_sel:DWORD
	s_mov_b64 s[12:13], -1
	s_and_b64 vcc, exec, s[2:3]
	s_cbranch_vccz .LBB66_2925
; %bb.2922:
	v_mov_b32_e32 v3, 15
	v_cmp_eq_u16_sdwa s[2:3], v10, v3 src0_sel:BYTE_0 src1_sel:DWORD
	s_mov_b64 s[0:1], -1
	s_and_b64 vcc, exec, s[2:3]
	s_cbranch_vccz .LBB66_2924
; %bb.2923:
	v_bfe_u32 v3, v2, 16, 1
	s_movk_i32 s0, 0x7fff
	v_add3_u32 v3, v2, v3, s0
	v_lshrrev_b32_e32 v3, 16, v3
	v_mov_b32_e32 v7, 0x7fc0
	v_cmp_o_f32_e32 vcc, v2, v2
	v_cndmask_b32_e32 v3, v7, v3, vcc
	global_store_short v[0:1], v3, off
	s_mov_b64 s[0:1], 0
	s_mov_b64 s[10:11], -1
.LBB66_2924:
	s_mov_b64 s[12:13], 0
.LBB66_2925:
	s_mov_b64 s[2:3], 0
	s_and_b64 vcc, exec, s[12:13]
	s_cbranch_vccz .LBB66_2927
; %bb.2926:
	v_mov_b32_e32 v3, 11
	v_cmp_ne_u16_sdwa s[0:1], v10, v3 src0_sel:BYTE_0 src1_sel:DWORD
	s_mov_b64 s[2:3], -1
.LBB66_2927:
	s_and_b64 vcc, exec, s[0:1]
	s_cbranch_vccnz .LBB66_2983
; %bb.2928:
	s_andn2_b64 vcc, exec, s[2:3]
	s_cbranch_vccnz .LBB66_2930
.LBB66_2929:
	v_cmp_neq_f32_e32 vcc, 0, v2
	v_cndmask_b32_e64 v3, 0, 1, vcc
	s_mov_b64 s[10:11], -1
	global_store_byte v[0:1], v3, off
.LBB66_2930:
	s_mov_b64 s[0:1], 0
.LBB66_2931:
	s_and_b64 vcc, exec, s[0:1]
	s_cbranch_vccz .LBB66_2970
; %bb.2932:
	v_mov_b32_e32 v3, 5
	v_cmp_lt_i16_sdwa s[2:3], v10, v3 src0_sel:BYTE_0 src1_sel:DWORD
	s_mov_b64 s[0:1], -1
	s_and_b64 vcc, exec, s[2:3]
	s_cbranch_vccnz .LBB66_2953
; %bb.2933:
	v_mov_b32_e32 v3, 8
	v_cmp_lt_i16_sdwa s[2:3], v10, v3 src0_sel:BYTE_0 src1_sel:DWORD
	s_and_b64 vcc, exec, s[2:3]
	s_cbranch_vccnz .LBB66_2943
; %bb.2934:
	v_mov_b32_e32 v3, 9
	v_cmp_lt_i16_sdwa s[2:3], v10, v3 src0_sel:BYTE_0 src1_sel:DWORD
	s_and_b64 vcc, exec, s[2:3]
	s_cbranch_vccnz .LBB66_2940
; %bb.2935:
	v_cmp_gt_i16_sdwa s[2:3], v10, v3 src0_sel:BYTE_0 src1_sel:DWORD
	s_and_b64 vcc, exec, s[2:3]
	s_cbranch_vccz .LBB66_2937
; %bb.2936:
	v_mov_b32_e32 v14, 0
	v_cvt_f64_f32_e32 v[12:13], v2
	v_mov_b32_e32 v15, v14
	global_store_dwordx4 v[0:1], v[12:15], off
	s_mov_b64 s[0:1], 0
.LBB66_2937:
	s_andn2_b64 vcc, exec, s[0:1]
	s_cbranch_vccnz .LBB66_2939
; %bb.2938:
	v_mov_b32_e32 v3, 0
	global_store_dwordx2 v[0:1], v[2:3], off
.LBB66_2939:
	s_mov_b64 s[0:1], 0
.LBB66_2940:
	s_andn2_b64 vcc, exec, s[0:1]
	s_cbranch_vccnz .LBB66_2942
; %bb.2941:
	v_cvt_f16_f32_e32 v3, v2
	global_store_dword v[0:1], v3, off
.LBB66_2942:
	s_mov_b64 s[0:1], 0
.LBB66_2943:
	s_andn2_b64 vcc, exec, s[0:1]
	s_cbranch_vccnz .LBB66_2952
; %bb.2944:
	v_mov_b32_e32 v3, 6
	v_cmp_lt_i16_sdwa s[2:3], v10, v3 src0_sel:BYTE_0 src1_sel:DWORD
	s_mov_b64 s[0:1], -1
	s_and_b64 vcc, exec, s[2:3]
	s_cbranch_vccnz .LBB66_2950
; %bb.2945:
	v_cmp_gt_i16_sdwa s[2:3], v10, v3 src0_sel:BYTE_0 src1_sel:DWORD
	s_and_b64 vcc, exec, s[2:3]
	s_cbranch_vccz .LBB66_2947
; %bb.2946:
	v_cvt_f64_f32_e32 v[8:9], v2
	global_store_dwordx2 v[0:1], v[8:9], off
	s_mov_b64 s[0:1], 0
.LBB66_2947:
	s_andn2_b64 vcc, exec, s[0:1]
	s_cbranch_vccnz .LBB66_2949
; %bb.2948:
	global_store_dword v[0:1], v2, off
.LBB66_2949:
	s_mov_b64 s[0:1], 0
.LBB66_2950:
	s_andn2_b64 vcc, exec, s[0:1]
	s_cbranch_vccnz .LBB66_2952
; %bb.2951:
	v_cvt_f16_f32_e32 v3, v2
	global_store_short v[0:1], v3, off
.LBB66_2952:
	s_mov_b64 s[0:1], 0
.LBB66_2953:
	s_andn2_b64 vcc, exec, s[0:1]
	s_cbranch_vccnz .LBB66_2969
; %bb.2954:
	v_mov_b32_e32 v3, 2
	v_cmp_lt_i16_sdwa s[2:3], v10, v3 src0_sel:BYTE_0 src1_sel:DWORD
	s_mov_b64 s[0:1], -1
	s_and_b64 vcc, exec, s[2:3]
	s_cbranch_vccnz .LBB66_2964
; %bb.2955:
	v_mov_b32_e32 v3, 3
	v_cmp_lt_i16_sdwa s[2:3], v10, v3 src0_sel:BYTE_0 src1_sel:DWORD
	s_and_b64 vcc, exec, s[2:3]
	s_cbranch_vccnz .LBB66_2961
; %bb.2956:
	v_cmp_gt_i16_sdwa s[2:3], v10, v3 src0_sel:BYTE_0 src1_sel:DWORD
	s_and_b64 vcc, exec, s[2:3]
	s_cbranch_vccz .LBB66_2958
; %bb.2957:
	v_trunc_f32_e32 v3, v2
	s_mov_b32 s0, 0x2f800000
	v_mul_f32_e64 v7, |v3|, s0
	v_floor_f32_e32 v7, v7
	s_mov_b32 s0, 0xcf800000
	v_cvt_u32_f32_e32 v8, v7
	v_fma_f32 v7, v7, s0, |v3|
	v_cvt_u32_f32_e32 v7, v7
	v_ashrrev_i32_e32 v3, 31, v3
	v_xor_b32_e32 v9, v8, v3
	s_mov_b64 s[0:1], 0
	v_xor_b32_e32 v7, v7, v3
	v_sub_co_u32_e32 v8, vcc, v7, v3
	v_subb_co_u32_e32 v9, vcc, v9, v3, vcc
	global_store_dwordx2 v[0:1], v[8:9], off
.LBB66_2958:
	s_andn2_b64 vcc, exec, s[0:1]
	s_cbranch_vccnz .LBB66_2960
; %bb.2959:
	v_cvt_i32_f32_e32 v3, v2
	global_store_dword v[0:1], v3, off
.LBB66_2960:
	s_mov_b64 s[0:1], 0
.LBB66_2961:
	s_andn2_b64 vcc, exec, s[0:1]
	s_cbranch_vccnz .LBB66_2963
; %bb.2962:
	v_cvt_i32_f32_e32 v3, v2
	global_store_short v[0:1], v3, off
.LBB66_2963:
	s_mov_b64 s[0:1], 0
.LBB66_2964:
	s_andn2_b64 vcc, exec, s[0:1]
	s_cbranch_vccnz .LBB66_2969
; %bb.2965:
	v_mov_b32_e32 v3, 0
	v_cmp_gt_i16_sdwa s[2:3], v10, v3 src0_sel:BYTE_0 src1_sel:DWORD
	s_mov_b64 s[0:1], -1
	s_and_b64 vcc, exec, s[2:3]
	s_cbranch_vccz .LBB66_2967
; %bb.2966:
	v_cvt_i32_f32_e32 v3, v2
	s_mov_b64 s[0:1], 0
	global_store_byte v[0:1], v3, off
.LBB66_2967:
	s_andn2_b64 vcc, exec, s[0:1]
	s_cbranch_vccnz .LBB66_2969
; %bb.2968:
	v_trunc_f32_e32 v2, v2
	s_mov_b32 s0, 0x2f800000
	v_mul_f32_e64 v3, |v2|, s0
	v_floor_f32_e32 v3, v3
	s_mov_b32 s0, 0xcf800000
	v_fma_f32 v3, v3, s0, |v2|
	v_cvt_u32_f32_e32 v3, v3
	v_ashrrev_i32_e32 v2, 31, v2
	v_xor_b32_e32 v3, v3, v2
	v_sub_u32_e32 v2, v3, v2
	global_store_byte v[0:1], v2, off
.LBB66_2969:
	s_mov_b64 s[10:11], -1
.LBB66_2970:
	s_andn2_b64 vcc, exec, s[10:11]
	s_cbranch_vccnz .LBB66_3174
; %bb.2971:
	v_add_u32_e32 v2, s16, v5
	v_ashrrev_i32_e32 v1, 31, v2
	v_mov_b32_e32 v3, s9
	v_add_co_u32_e32 v0, vcc, s8, v2
	v_addc_co_u32_e32 v1, vcc, v3, v1, vcc
	v_mov_b32_e32 v3, 11
	v_cmp_lt_i16_sdwa s[0:1], v10, v3 src0_sel:BYTE_0 src1_sel:DWORD
	s_and_b64 vcc, exec, s[0:1]
	s_cbranch_vccnz .LBB66_2978
; %bb.2972:
	v_mov_b32_e32 v3, 25
	v_cmp_gt_i16_sdwa s[0:1], v10, v3 src0_sel:BYTE_0 src1_sel:DWORD
	s_mov_b64 s[12:13], -1
	s_mov_b64 s[2:3], 0
	s_and_b64 vcc, exec, s[0:1]
	s_mov_b64 s[10:11], 0
	s_mov_b64 s[0:1], 0
	s_cbranch_vccz .LBB66_3014
; %bb.2973:
	v_mov_b32_e32 v3, 28
	v_cmp_gt_i16_sdwa s[0:1], v10, v3 src0_sel:BYTE_0 src1_sel:DWORD
	s_and_b64 vcc, exec, s[0:1]
	s_cbranch_vccz .LBB66_2979
; %bb.2974:
	v_mov_b32_e32 v3, 43
	v_cmp_gt_i16_sdwa s[0:1], v10, v3 src0_sel:BYTE_0 src1_sel:DWORD
	s_and_b64 vcc, exec, s[0:1]
	;; [unrolled: 5-line block ×3, first 2 shown]
	s_cbranch_vccz .LBB66_2986
; %bb.2976:
	v_mov_b32_e32 v3, 46
	v_cmp_eq_u16_sdwa s[10:11], v10, v3 src0_sel:BYTE_0 src1_sel:DWORD
	s_mov_b64 s[0:1], -1
	s_mov_b64 s[12:13], 0
	s_and_b64 vcc, exec, s[10:11]
	s_mov_b64 s[10:11], 0
	s_cbranch_vccz .LBB66_2987
; %bb.2977:
	v_bfe_u32 v3, v4, 16, 1
	s_movk_i32 s0, 0x7fff
	v_add3_u32 v3, v4, v3, s0
	v_lshrrev_b32_e32 v3, 16, v3
	v_mov_b32_e32 v5, 0x7fc0
	v_cmp_o_f32_e32 vcc, v4, v4
	v_cndmask_b32_e32 v3, v5, v3, vcc
	global_store_dword v[0:1], v3, off
	s_mov_b64 s[0:1], 0
	s_mov_b64 s[10:11], -1
	s_branch .LBB66_2987
.LBB66_2978:
	s_mov_b64 s[0:1], -1
	s_mov_b64 s[10:11], 0
	s_branch .LBB66_3058
.LBB66_2979:
	s_mov_b64 s[0:1], 0
	s_branch .LBB66_2997
.LBB66_2980:
	s_or_saveexec_b64 s[14:15], s[14:15]
                                        ; implicit-def: $sgpr17
	s_xor_b64 exec, exec, s[14:15]
	s_cbranch_execz .LBB66_2881
.LBB66_2981:
	s_mov_b32 s17, 0x46000000
	v_add_f32_e64 v3, |v2|, s17
	v_and_b32_e32 v3, 0xff, v3
	v_cmp_ne_u32_e32 vcc, 0, v3
	s_andn2_b64 s[12:13], s[12:13], exec
	s_and_b64 s[20:21], vcc, exec
	s_mov_b32 s17, 0
	s_or_b64 s[12:13], s[12:13], s[20:21]
	s_or_b64 exec, exec, s[14:15]
	v_mov_b32_e32 v7, s17
	s_and_saveexec_b64 s[14:15], s[12:13]
	s_cbranch_execnz .LBB66_2882
	s_branch .LBB66_2883
.LBB66_2982:
	s_mov_b64 s[0:1], 0
	s_branch .LBB66_2993
.LBB66_2983:
	s_trap 2
	s_or_b64 s[18:19], s[18:19], exec
	s_cbranch_execz .LBB66_2929
	s_branch .LBB66_2930
.LBB66_2984:
	s_or_saveexec_b64 s[12:13], s[12:13]
                                        ; implicit-def: $sgpr14
	s_xor_b64 exec, exec, s[12:13]
	s_cbranch_execz .LBB66_2894
.LBB66_2985:
	s_mov_b32 s14, 0x42800000
	v_add_f32_e64 v3, |v2|, s14
	v_and_b32_e32 v3, 0xff, v3
	v_cmp_ne_u32_e32 vcc, 0, v3
	s_andn2_b64 s[10:11], s[10:11], exec
	s_and_b64 s[20:21], vcc, exec
	s_mov_b32 s14, 0
	s_or_b64 s[10:11], s[10:11], s[20:21]
	s_or_b64 exec, exec, s[12:13]
	v_mov_b32_e32 v7, s14
	s_and_saveexec_b64 s[12:13], s[10:11]
	s_cbranch_execnz .LBB66_2895
	s_branch .LBB66_2896
.LBB66_2986:
	s_mov_b64 s[0:1], 0
.LBB66_2987:
	s_and_b64 vcc, exec, s[12:13]
	s_cbranch_vccz .LBB66_2992
; %bb.2988:
	v_mov_b32_e32 v3, 44
	v_cmp_eq_u16_sdwa s[12:13], v10, v3 src0_sel:BYTE_0 src1_sel:DWORD
	s_mov_b64 s[0:1], -1
	s_and_b64 vcc, exec, s[12:13]
	s_cbranch_vccz .LBB66_2992
; %bb.2989:
	v_bfe_u32 v3, v4, 23, 8
	s_movk_i32 s0, 0xff
	v_cmp_ne_u32_e32 vcc, s0, v3
	v_mov_b32_e32 v5, 0xff
	s_and_saveexec_b64 s[10:11], vcc
; %bb.2990:
	s_mov_b32 s0, 0x3fffff
	v_and_b32_e32 v7, 0x400000, v4
	v_and_or_b32 v3, v4, s0, v3
	v_cmp_ne_u32_e32 vcc, 0, v7
	v_cmp_ne_u32_e64 s[0:1], 0, v3
	s_and_b64 s[0:1], vcc, s[0:1]
	v_lshrrev_b32_e32 v5, 23, v4
	v_cndmask_b32_e64 v3, 0, 1, s[0:1]
	v_add_u32_e32 v5, v5, v3
; %bb.2991:
	s_or_b64 exec, exec, s[10:11]
	s_mov_b64 s[0:1], 0
	s_mov_b64 s[10:11], -1
	global_store_byte v[0:1], v5, off
.LBB66_2992:
	s_mov_b64 s[12:13], 0
.LBB66_2993:
	s_and_b64 vcc, exec, s[12:13]
	s_cbranch_vccz .LBB66_2996
; %bb.2994:
	v_mov_b32_e32 v3, 29
	v_cmp_eq_u16_sdwa s[12:13], v10, v3 src0_sel:BYTE_0 src1_sel:DWORD
	s_mov_b64 s[0:1], -1
	s_and_b64 vcc, exec, s[12:13]
	s_cbranch_vccz .LBB66_2996
; %bb.2995:
	v_trunc_f32_e32 v3, v4
	v_mul_f32_e32 v5, 0x2f800000, v3
	v_floor_f32_e32 v5, v5
	v_fmac_f32_e32 v3, 0xcf800000, v5
	v_cvt_u32_f32_e32 v9, v5
	v_cvt_u32_f32_e32 v8, v3
	s_mov_b64 s[0:1], 0
	s_mov_b64 s[10:11], -1
	s_mov_b64 s[12:13], 0
	global_store_dwordx2 v[0:1], v[8:9], off
	s_branch .LBB66_2997
.LBB66_2996:
	s_mov_b64 s[12:13], 0
.LBB66_2997:
	s_and_b64 vcc, exec, s[12:13]
	s_cbranch_vccz .LBB66_3013
; %bb.2998:
	v_mov_b32_e32 v3, 27
	v_cmp_lt_i16_sdwa s[12:13], v10, v3 src0_sel:BYTE_0 src1_sel:DWORD
	s_mov_b64 s[10:11], -1
	s_and_b64 vcc, exec, s[12:13]
	s_cbranch_vccnz .LBB66_3004
; %bb.2999:
	v_cmp_gt_i16_sdwa s[12:13], v10, v3 src0_sel:BYTE_0 src1_sel:DWORD
	v_cvt_u32_f32_e32 v3, v4
	s_and_b64 vcc, exec, s[12:13]
	s_cbranch_vccz .LBB66_3001
; %bb.3000:
	s_mov_b64 s[10:11], 0
	global_store_dword v[0:1], v3, off
.LBB66_3001:
	s_andn2_b64 vcc, exec, s[10:11]
	s_cbranch_vccnz .LBB66_3003
; %bb.3002:
	global_store_short v[0:1], v3, off
.LBB66_3003:
	s_mov_b64 s[10:11], 0
.LBB66_3004:
	s_andn2_b64 vcc, exec, s[10:11]
	s_cbranch_vccnz .LBB66_3012
; %bb.3005:
	v_and_b32_e32 v3, 0x7fffffff, v4
	s_mov_b32 s10, 0x43800000
	v_cmp_gt_u32_e32 vcc, s10, v3
	v_mov_b32_e32 v5, 0x80
	s_and_saveexec_b64 s[10:11], vcc
	s_cbranch_execz .LBB66_3011
; %bb.3006:
	s_mov_b32 s12, 0x3bffffff
	v_cmp_lt_u32_e32 vcc, s12, v3
	s_mov_b64 s[12:13], 0
                                        ; implicit-def: $vgpr3
	s_and_saveexec_b64 s[14:15], vcc
	s_xor_b64 s[14:15], exec, s[14:15]
	s_cbranch_execz .LBB66_3176
; %bb.3007:
	v_bfe_u32 v3, v4, 20, 1
	s_mov_b32 s17, 0x487ffff
	v_add3_u32 v3, v4, v3, s17
	s_mov_b64 s[12:13], exec
	v_lshrrev_b32_e32 v3, 20, v3
	s_or_saveexec_b64 s[14:15], s[14:15]
                                        ; implicit-def: $sgpr17
	s_xor_b64 exec, exec, s[14:15]
	s_cbranch_execnz .LBB66_3177
.LBB66_3008:
	s_or_b64 exec, exec, s[14:15]
	v_mov_b32_e32 v5, s17
	s_and_saveexec_b64 s[14:15], s[12:13]
.LBB66_3009:
	v_lshrrev_b32_e32 v5, 24, v4
	s_movk_i32 s12, 0x80
	v_and_or_b32 v5, v5, s12, v3
.LBB66_3010:
	s_or_b64 exec, exec, s[14:15]
.LBB66_3011:
	s_or_b64 exec, exec, s[10:11]
	global_store_byte v[0:1], v5, off
.LBB66_3012:
	s_mov_b64 s[10:11], -1
.LBB66_3013:
	s_mov_b64 s[12:13], 0
.LBB66_3014:
	s_and_b64 vcc, exec, s[12:13]
	s_cbranch_vccz .LBB66_3054
; %bb.3015:
	v_mov_b32_e32 v3, 22
	v_cmp_gt_i16_sdwa s[12:13], v10, v3 src0_sel:BYTE_0 src1_sel:DWORD
	s_mov_b64 s[2:3], -1
	s_and_b64 vcc, exec, s[12:13]
	s_cbranch_vccz .LBB66_3047
; %bb.3016:
	v_mov_b32_e32 v3, 24
	v_cmp_lt_i16_sdwa s[10:11], v10, v3 src0_sel:BYTE_0 src1_sel:DWORD
	s_and_b64 vcc, exec, s[10:11]
	s_cbranch_vccnz .LBB66_3036
; %bb.3017:
	v_cmp_gt_i16_sdwa s[10:11], v10, v3 src0_sel:BYTE_0 src1_sel:DWORD
	s_and_b64 vcc, exec, s[10:11]
	s_cbranch_vccz .LBB66_3025
; %bb.3018:
	v_and_b32_e32 v3, 0x7fffffff, v4
	s_mov_b32 s2, 0x47800000
	v_cmp_gt_u32_e32 vcc, s2, v3
	v_mov_b32_e32 v5, 0x80
	s_and_saveexec_b64 s[2:3], vcc
	s_cbranch_execz .LBB66_3024
; %bb.3019:
	s_mov_b32 s10, 0x37ffffff
	v_cmp_lt_u32_e32 vcc, s10, v3
	s_mov_b64 s[10:11], 0
                                        ; implicit-def: $vgpr3
	s_and_saveexec_b64 s[12:13], vcc
	s_xor_b64 s[12:13], exec, s[12:13]
	s_cbranch_execz .LBB66_3179
; %bb.3020:
	v_bfe_u32 v3, v4, 21, 1
	s_mov_b32 s14, 0x88fffff
	v_add3_u32 v3, v4, v3, s14
	s_mov_b64 s[10:11], exec
	v_lshrrev_b32_e32 v3, 21, v3
	s_or_saveexec_b64 s[12:13], s[12:13]
                                        ; implicit-def: $sgpr14
	s_xor_b64 exec, exec, s[12:13]
	s_cbranch_execnz .LBB66_3180
.LBB66_3021:
	s_or_b64 exec, exec, s[12:13]
	v_mov_b32_e32 v5, s14
	s_and_saveexec_b64 s[12:13], s[10:11]
.LBB66_3022:
	v_lshrrev_b32_e32 v5, 24, v4
	s_movk_i32 s10, 0x80
	v_and_or_b32 v5, v5, s10, v3
.LBB66_3023:
	s_or_b64 exec, exec, s[12:13]
.LBB66_3024:
	s_or_b64 exec, exec, s[2:3]
	s_mov_b64 s[2:3], 0
	global_store_byte v[0:1], v5, off
.LBB66_3025:
	s_and_b64 vcc, exec, s[2:3]
	s_cbranch_vccz .LBB66_3035
; %bb.3026:
	v_and_b32_e32 v5, 0x7fffffff, v4
	s_mov_b32 s2, 0x43f00000
	v_cmp_gt_u32_e32 vcc, s2, v5
                                        ; implicit-def: $vgpr3
	s_and_saveexec_b64 s[2:3], vcc
	s_xor_b64 s[2:3], exec, s[2:3]
	s_cbranch_execz .LBB66_3032
; %bb.3027:
	s_mov_b32 s10, 0x3c7fffff
	v_cmp_lt_u32_e32 vcc, s10, v5
                                        ; implicit-def: $vgpr3
	s_and_saveexec_b64 s[10:11], vcc
	s_xor_b64 s[10:11], exec, s[10:11]
; %bb.3028:
	v_bfe_u32 v3, v4, 20, 1
	s_mov_b32 s12, 0x407ffff
	v_add3_u32 v3, v4, v3, s12
	v_lshrrev_b32_e32 v5, 20, v3
	v_and_b32_e32 v3, 0xff00000, v3
	s_mov_b32 s12, 0x7f00000
	v_mov_b32_e32 v7, 0x7e
	v_cmp_ne_u32_e32 vcc, s12, v3
	v_cndmask_b32_e32 v3, v7, v5, vcc
; %bb.3029:
	s_andn2_saveexec_b64 s[10:11], s[10:11]
; %bb.3030:
	s_mov_b32 s12, 0x46800000
	v_add_f32_e64 v3, |v4|, s12
; %bb.3031:
	s_or_b64 exec, exec, s[10:11]
                                        ; implicit-def: $vgpr5
.LBB66_3032:
	s_andn2_saveexec_b64 s[2:3], s[2:3]
; %bb.3033:
	s_mov_b32 s10, 0x7f800000
	v_mov_b32_e32 v3, 0x7e
	v_mov_b32_e32 v7, 0x7f
	v_cmp_lt_u32_e32 vcc, s10, v5
	v_cndmask_b32_e32 v3, v3, v7, vcc
; %bb.3034:
	s_or_b64 exec, exec, s[2:3]
	v_lshrrev_b32_e32 v5, 24, v4
	s_movk_i32 s2, 0x80
	v_and_or_b32 v3, v5, s2, v3
	global_store_byte v[0:1], v3, off
.LBB66_3035:
	s_mov_b64 s[2:3], 0
.LBB66_3036:
	s_andn2_b64 vcc, exec, s[2:3]
	s_cbranch_vccnz .LBB66_3046
; %bb.3037:
	v_and_b32_e32 v5, 0x7fffffff, v4
	s_mov_b32 s2, 0x47800000
	v_cmp_gt_u32_e32 vcc, s2, v5
                                        ; implicit-def: $vgpr3
	s_and_saveexec_b64 s[2:3], vcc
	s_xor_b64 s[2:3], exec, s[2:3]
	s_cbranch_execz .LBB66_3043
; %bb.3038:
	s_mov_b32 s10, 0x387fffff
	v_cmp_lt_u32_e32 vcc, s10, v5
                                        ; implicit-def: $vgpr3
	s_and_saveexec_b64 s[10:11], vcc
	s_xor_b64 s[10:11], exec, s[10:11]
; %bb.3039:
	v_bfe_u32 v3, v4, 21, 1
	s_mov_b32 s12, 0x80fffff
	v_add3_u32 v3, v4, v3, s12
	v_lshrrev_b32_e32 v3, 21, v3
; %bb.3040:
	s_andn2_saveexec_b64 s[10:11], s[10:11]
; %bb.3041:
	s_mov_b32 s12, 0x43000000
	v_add_f32_e64 v3, |v4|, s12
; %bb.3042:
	s_or_b64 exec, exec, s[10:11]
                                        ; implicit-def: $vgpr5
.LBB66_3043:
	s_andn2_saveexec_b64 s[2:3], s[2:3]
; %bb.3044:
	s_mov_b32 s10, 0x7f800000
	v_mov_b32_e32 v3, 0x7c
	v_mov_b32_e32 v7, 0x7f
	v_cmp_lt_u32_e32 vcc, s10, v5
	v_cndmask_b32_e32 v3, v3, v7, vcc
; %bb.3045:
	s_or_b64 exec, exec, s[2:3]
	v_lshrrev_b32_e32 v5, 24, v4
	s_movk_i32 s2, 0x80
	v_and_or_b32 v3, v5, s2, v3
	global_store_byte v[0:1], v3, off
.LBB66_3046:
	s_mov_b64 s[2:3], 0
	s_mov_b64 s[10:11], -1
.LBB66_3047:
	s_andn2_b64 vcc, exec, s[2:3]
	s_mov_b64 s[2:3], 0
	s_cbranch_vccnz .LBB66_3054
; %bb.3048:
	v_mov_b32_e32 v3, 14
	v_cmp_gt_i16_sdwa s[2:3], v10, v3 src0_sel:BYTE_0 src1_sel:DWORD
	s_mov_b64 s[12:13], -1
	s_and_b64 vcc, exec, s[2:3]
	s_cbranch_vccz .LBB66_3052
; %bb.3049:
	v_mov_b32_e32 v3, 15
	v_cmp_eq_u16_sdwa s[2:3], v10, v3 src0_sel:BYTE_0 src1_sel:DWORD
	s_mov_b64 s[0:1], -1
	s_and_b64 vcc, exec, s[2:3]
	s_cbranch_vccz .LBB66_3051
; %bb.3050:
	v_bfe_u32 v3, v4, 16, 1
	s_movk_i32 s0, 0x7fff
	v_add3_u32 v3, v4, v3, s0
	v_lshrrev_b32_e32 v3, 16, v3
	v_mov_b32_e32 v5, 0x7fc0
	v_cmp_o_f32_e32 vcc, v4, v4
	v_cndmask_b32_e32 v3, v5, v3, vcc
	global_store_short v[0:1], v3, off
	s_mov_b64 s[0:1], 0
	s_mov_b64 s[10:11], -1
.LBB66_3051:
	s_mov_b64 s[12:13], 0
.LBB66_3052:
	s_mov_b64 s[2:3], 0
	s_and_b64 vcc, exec, s[12:13]
	s_cbranch_vccz .LBB66_3054
; %bb.3053:
	v_mov_b32_e32 v3, 11
	v_cmp_ne_u16_sdwa s[0:1], v10, v3 src0_sel:BYTE_0 src1_sel:DWORD
	s_mov_b64 s[2:3], -1
.LBB66_3054:
	s_and_b64 vcc, exec, s[0:1]
	s_cbranch_vccnz .LBB66_3178
; %bb.3055:
	s_andn2_b64 vcc, exec, s[2:3]
	s_cbranch_vccnz .LBB66_3057
.LBB66_3056:
	v_cmp_neq_f32_e32 vcc, 0, v4
	v_cndmask_b32_e64 v3, 0, 1, vcc
	s_mov_b64 s[10:11], -1
	global_store_byte v[0:1], v3, off
.LBB66_3057:
	s_mov_b64 s[0:1], 0
.LBB66_3058:
	s_and_b64 vcc, exec, s[0:1]
	s_cbranch_vccz .LBB66_3097
; %bb.3059:
	v_mov_b32_e32 v3, 5
	v_cmp_lt_i16_sdwa s[2:3], v10, v3 src0_sel:BYTE_0 src1_sel:DWORD
	s_mov_b64 s[0:1], -1
	s_and_b64 vcc, exec, s[2:3]
	s_cbranch_vccnz .LBB66_3080
; %bb.3060:
	v_mov_b32_e32 v3, 8
	v_cmp_lt_i16_sdwa s[2:3], v10, v3 src0_sel:BYTE_0 src1_sel:DWORD
	s_and_b64 vcc, exec, s[2:3]
	s_cbranch_vccnz .LBB66_3070
; %bb.3061:
	v_mov_b32_e32 v3, 9
	v_cmp_lt_i16_sdwa s[2:3], v10, v3 src0_sel:BYTE_0 src1_sel:DWORD
	s_and_b64 vcc, exec, s[2:3]
	s_cbranch_vccnz .LBB66_3067
; %bb.3062:
	v_cmp_gt_i16_sdwa s[2:3], v10, v3 src0_sel:BYTE_0 src1_sel:DWORD
	s_and_b64 vcc, exec, s[2:3]
	s_cbranch_vccz .LBB66_3064
; %bb.3063:
	v_mov_b32_e32 v14, 0
	v_cvt_f64_f32_e32 v[12:13], v4
	v_mov_b32_e32 v15, v14
	global_store_dwordx4 v[0:1], v[12:15], off
	s_mov_b64 s[0:1], 0
.LBB66_3064:
	s_andn2_b64 vcc, exec, s[0:1]
	s_cbranch_vccnz .LBB66_3066
; %bb.3065:
	v_mov_b32_e32 v5, 0
	global_store_dwordx2 v[0:1], v[4:5], off
.LBB66_3066:
	s_mov_b64 s[0:1], 0
.LBB66_3067:
	s_andn2_b64 vcc, exec, s[0:1]
	s_cbranch_vccnz .LBB66_3069
; %bb.3068:
	v_cvt_f16_f32_e32 v3, v4
	global_store_dword v[0:1], v3, off
.LBB66_3069:
	s_mov_b64 s[0:1], 0
.LBB66_3070:
	s_andn2_b64 vcc, exec, s[0:1]
	s_cbranch_vccnz .LBB66_3079
; %bb.3071:
	v_mov_b32_e32 v3, 6
	v_cmp_lt_i16_sdwa s[2:3], v10, v3 src0_sel:BYTE_0 src1_sel:DWORD
	s_mov_b64 s[0:1], -1
	s_and_b64 vcc, exec, s[2:3]
	s_cbranch_vccnz .LBB66_3077
; %bb.3072:
	v_cmp_gt_i16_sdwa s[2:3], v10, v3 src0_sel:BYTE_0 src1_sel:DWORD
	s_and_b64 vcc, exec, s[2:3]
	s_cbranch_vccz .LBB66_3074
; %bb.3073:
	v_cvt_f64_f32_e32 v[8:9], v4
	global_store_dwordx2 v[0:1], v[8:9], off
	s_mov_b64 s[0:1], 0
.LBB66_3074:
	s_andn2_b64 vcc, exec, s[0:1]
	s_cbranch_vccnz .LBB66_3076
; %bb.3075:
	global_store_dword v[0:1], v4, off
.LBB66_3076:
	s_mov_b64 s[0:1], 0
.LBB66_3077:
	s_andn2_b64 vcc, exec, s[0:1]
	s_cbranch_vccnz .LBB66_3079
; %bb.3078:
	v_cvt_f16_f32_e32 v3, v4
	global_store_short v[0:1], v3, off
.LBB66_3079:
	s_mov_b64 s[0:1], 0
.LBB66_3080:
	s_andn2_b64 vcc, exec, s[0:1]
	s_cbranch_vccnz .LBB66_3096
; %bb.3081:
	v_mov_b32_e32 v3, 2
	v_cmp_lt_i16_sdwa s[2:3], v10, v3 src0_sel:BYTE_0 src1_sel:DWORD
	s_mov_b64 s[0:1], -1
	s_and_b64 vcc, exec, s[2:3]
	s_cbranch_vccnz .LBB66_3091
; %bb.3082:
	v_mov_b32_e32 v3, 3
	v_cmp_lt_i16_sdwa s[2:3], v10, v3 src0_sel:BYTE_0 src1_sel:DWORD
	s_and_b64 vcc, exec, s[2:3]
	s_cbranch_vccnz .LBB66_3088
; %bb.3083:
	v_cmp_gt_i16_sdwa s[2:3], v10, v3 src0_sel:BYTE_0 src1_sel:DWORD
	s_and_b64 vcc, exec, s[2:3]
	s_cbranch_vccz .LBB66_3085
; %bb.3084:
	v_trunc_f32_e32 v3, v4
	s_mov_b32 s0, 0x2f800000
	v_mul_f32_e64 v5, |v3|, s0
	v_floor_f32_e32 v5, v5
	s_mov_b32 s0, 0xcf800000
	v_cvt_u32_f32_e32 v7, v5
	v_fma_f32 v5, v5, s0, |v3|
	v_cvt_u32_f32_e32 v5, v5
	v_ashrrev_i32_e32 v3, 31, v3
	v_xor_b32_e32 v7, v7, v3
	s_mov_b64 s[0:1], 0
	v_xor_b32_e32 v5, v5, v3
	v_sub_co_u32_e32 v8, vcc, v5, v3
	v_subb_co_u32_e32 v9, vcc, v7, v3, vcc
	global_store_dwordx2 v[0:1], v[8:9], off
.LBB66_3085:
	s_andn2_b64 vcc, exec, s[0:1]
	s_cbranch_vccnz .LBB66_3087
; %bb.3086:
	v_cvt_i32_f32_e32 v3, v4
	global_store_dword v[0:1], v3, off
.LBB66_3087:
	s_mov_b64 s[0:1], 0
.LBB66_3088:
	s_andn2_b64 vcc, exec, s[0:1]
	s_cbranch_vccnz .LBB66_3090
; %bb.3089:
	v_cvt_i32_f32_e32 v3, v4
	global_store_short v[0:1], v3, off
.LBB66_3090:
	s_mov_b64 s[0:1], 0
.LBB66_3091:
	s_andn2_b64 vcc, exec, s[0:1]
	s_cbranch_vccnz .LBB66_3096
; %bb.3092:
	v_mov_b32_e32 v3, 0
	v_cmp_gt_i16_sdwa s[2:3], v10, v3 src0_sel:BYTE_0 src1_sel:DWORD
	s_mov_b64 s[0:1], -1
	s_and_b64 vcc, exec, s[2:3]
	s_cbranch_vccz .LBB66_3094
; %bb.3093:
	v_cvt_i32_f32_e32 v3, v4
	s_mov_b64 s[0:1], 0
	global_store_byte v[0:1], v3, off
.LBB66_3094:
	s_andn2_b64 vcc, exec, s[0:1]
	s_cbranch_vccnz .LBB66_3096
; %bb.3095:
	v_trunc_f32_e32 v3, v4
	s_mov_b32 s0, 0x2f800000
	v_mul_f32_e64 v4, |v3|, s0
	v_floor_f32_e32 v4, v4
	s_mov_b32 s0, 0xcf800000
	v_fma_f32 v4, v4, s0, |v3|
	v_cvt_u32_f32_e32 v4, v4
	v_ashrrev_i32_e32 v3, 31, v3
	v_xor_b32_e32 v4, v4, v3
	v_sub_u32_e32 v3, v4, v3
	global_store_byte v[0:1], v3, off
.LBB66_3096:
	s_mov_b64 s[10:11], -1
.LBB66_3097:
	s_andn2_b64 vcc, exec, s[10:11]
	s_cbranch_vccnz .LBB66_3174
; %bb.3098:
	v_add_u32_e32 v0, s16, v2
	v_ashrrev_i32_e32 v1, 31, v0
	v_mov_b32_e32 v2, s9
	v_add_co_u32_e32 v0, vcc, s8, v0
	v_addc_co_u32_e32 v1, vcc, v2, v1, vcc
	v_and_b32_e32 v2, 0xff, v10
	v_cmp_gt_i16_e32 vcc, 11, v2
	s_cbranch_vccnz .LBB66_3175
; %bb.3099:
	v_cmp_lt_i16_e32 vcc, 25, v2
	s_mov_b64 s[8:9], -1
	s_mov_b64 s[2:3], 0
	s_mov_b64 s[0:1], 0
	s_cbranch_vccz .LBB66_3132
; %bb.3100:
	v_cmp_lt_i16_e32 vcc, 28, v2
	s_cbranch_vccz .LBB66_3116
; %bb.3101:
	v_cmp_lt_i16_e32 vcc, 43, v2
	;; [unrolled: 3-line block ×3, first 2 shown]
	s_cbranch_vccz .LBB66_3106
; %bb.3103:
	v_cmp_eq_u16_e32 vcc, 46, v2
	s_mov_b64 s[0:1], -1
	s_cbranch_vccz .LBB66_3105
; %bb.3104:
	v_bfe_u32 v3, v6, 16, 1
	s_movk_i32 s0, 0x7fff
	v_add3_u32 v3, v6, v3, s0
	v_lshrrev_b32_e32 v3, 16, v3
	v_mov_b32_e32 v4, 0x7fc0
	v_cmp_o_f32_e32 vcc, v6, v6
	v_cndmask_b32_e32 v3, v4, v3, vcc
	global_store_dword v[0:1], v3, off
	s_mov_b64 s[0:1], 0
.LBB66_3105:
	s_mov_b64 s[8:9], 0
.LBB66_3106:
	s_and_b64 vcc, exec, s[8:9]
	s_cbranch_vccz .LBB66_3111
; %bb.3107:
	v_cmp_eq_u16_e32 vcc, 44, v2
	s_mov_b64 s[0:1], -1
	s_cbranch_vccz .LBB66_3111
; %bb.3108:
	v_bfe_u32 v3, v6, 23, 8
	s_movk_i32 s0, 0xff
	v_cmp_ne_u32_e32 vcc, s0, v3
	v_mov_b32_e32 v4, 0xff
	s_and_saveexec_b64 s[8:9], vcc
; %bb.3109:
	s_mov_b32 s0, 0x3fffff
	v_and_b32_e32 v5, 0x400000, v6
	v_and_or_b32 v3, v6, s0, v3
	v_cmp_ne_u32_e32 vcc, 0, v5
	v_cmp_ne_u32_e64 s[0:1], 0, v3
	s_and_b64 s[0:1], vcc, s[0:1]
	v_lshrrev_b32_e32 v4, 23, v6
	v_cndmask_b32_e64 v3, 0, 1, s[0:1]
	v_add_u32_e32 v4, v4, v3
; %bb.3110:
	s_or_b64 exec, exec, s[8:9]
	s_mov_b64 s[0:1], 0
	global_store_byte v[0:1], v4, off
.LBB66_3111:
	s_mov_b64 s[8:9], 0
.LBB66_3112:
	s_and_b64 vcc, exec, s[8:9]
	s_cbranch_vccz .LBB66_3115
; %bb.3113:
	v_cmp_eq_u16_e32 vcc, 29, v2
	s_mov_b64 s[0:1], -1
	s_cbranch_vccz .LBB66_3115
; %bb.3114:
	v_trunc_f32_e32 v3, v6
	v_mul_f32_e32 v4, 0x2f800000, v3
	v_floor_f32_e32 v4, v4
	v_fmac_f32_e32 v3, 0xcf800000, v4
	v_cvt_u32_f32_e32 v5, v4
	v_cvt_u32_f32_e32 v4, v3
	s_mov_b64 s[0:1], 0
	global_store_dwordx2 v[0:1], v[4:5], off
.LBB66_3115:
	s_mov_b64 s[8:9], 0
.LBB66_3116:
	s_and_b64 vcc, exec, s[8:9]
	s_cbranch_vccz .LBB66_3131
; %bb.3117:
	v_cmp_gt_i16_e32 vcc, 27, v2
	s_mov_b64 s[8:9], -1
	s_cbranch_vccnz .LBB66_3123
; %bb.3118:
	v_cvt_u32_f32_e32 v3, v6
	v_cmp_lt_i16_e32 vcc, 27, v2
	s_cbranch_vccz .LBB66_3120
; %bb.3119:
	global_store_dword v[0:1], v3, off
	s_mov_b64 s[8:9], 0
.LBB66_3120:
	s_andn2_b64 vcc, exec, s[8:9]
	s_cbranch_vccnz .LBB66_3122
; %bb.3121:
	global_store_short v[0:1], v3, off
.LBB66_3122:
	s_mov_b64 s[8:9], 0
.LBB66_3123:
	s_andn2_b64 vcc, exec, s[8:9]
	s_cbranch_vccnz .LBB66_3131
; %bb.3124:
	v_and_b32_e32 v3, 0x7fffffff, v6
	s_mov_b32 s8, 0x43800000
	v_cmp_gt_u32_e32 vcc, s8, v3
	v_mov_b32_e32 v4, 0x80
	s_and_saveexec_b64 s[8:9], vcc
	s_cbranch_execz .LBB66_3130
; %bb.3125:
	s_mov_b32 s10, 0x3bffffff
	v_cmp_lt_u32_e32 vcc, s10, v3
	s_mov_b64 s[10:11], 0
                                        ; implicit-def: $vgpr3
	s_and_saveexec_b64 s[12:13], vcc
	s_xor_b64 s[12:13], exec, s[12:13]
	s_cbranch_execz .LBB66_3181
; %bb.3126:
	v_bfe_u32 v3, v6, 20, 1
	s_mov_b32 s14, 0x487ffff
	v_add3_u32 v3, v6, v3, s14
	s_mov_b64 s[10:11], exec
	v_lshrrev_b32_e32 v3, 20, v3
	s_or_saveexec_b64 s[12:13], s[12:13]
                                        ; implicit-def: $sgpr14
	s_xor_b64 exec, exec, s[12:13]
	s_cbranch_execnz .LBB66_3182
.LBB66_3127:
	s_or_b64 exec, exec, s[12:13]
	v_mov_b32_e32 v4, s14
	s_and_saveexec_b64 s[12:13], s[10:11]
.LBB66_3128:
	v_lshrrev_b32_e32 v4, 24, v6
	s_movk_i32 s10, 0x80
	v_and_or_b32 v4, v4, s10, v3
.LBB66_3129:
	s_or_b64 exec, exec, s[12:13]
.LBB66_3130:
	s_or_b64 exec, exec, s[8:9]
	global_store_byte v[0:1], v4, off
.LBB66_3131:
	s_mov_b64 s[8:9], 0
.LBB66_3132:
	s_and_b64 vcc, exec, s[8:9]
	s_cbranch_vccz .LBB66_3172
; %bb.3133:
	v_cmp_lt_i16_e32 vcc, 22, v2
	s_mov_b64 s[2:3], -1
	s_cbranch_vccz .LBB66_3165
; %bb.3134:
	v_cmp_gt_i16_e32 vcc, 24, v2
	s_cbranch_vccnz .LBB66_3154
; %bb.3135:
	v_cmp_lt_i16_e32 vcc, 24, v2
	s_cbranch_vccz .LBB66_3143
; %bb.3136:
	v_and_b32_e32 v3, 0x7fffffff, v6
	s_mov_b32 s2, 0x47800000
	v_cmp_gt_u32_e32 vcc, s2, v3
	v_mov_b32_e32 v4, 0x80
	s_and_saveexec_b64 s[2:3], vcc
	s_cbranch_execz .LBB66_3142
; %bb.3137:
	s_mov_b32 s8, 0x37ffffff
	v_cmp_lt_u32_e32 vcc, s8, v3
	s_mov_b64 s[8:9], 0
                                        ; implicit-def: $vgpr3
	s_and_saveexec_b64 s[10:11], vcc
	s_xor_b64 s[10:11], exec, s[10:11]
	s_cbranch_execz .LBB66_3184
; %bb.3138:
	v_bfe_u32 v3, v6, 21, 1
	s_mov_b32 s12, 0x88fffff
	v_add3_u32 v3, v6, v3, s12
	s_mov_b64 s[8:9], exec
	v_lshrrev_b32_e32 v3, 21, v3
	s_or_saveexec_b64 s[10:11], s[10:11]
                                        ; implicit-def: $sgpr12
	s_xor_b64 exec, exec, s[10:11]
	s_cbranch_execnz .LBB66_3185
.LBB66_3139:
	s_or_b64 exec, exec, s[10:11]
	v_mov_b32_e32 v4, s12
	s_and_saveexec_b64 s[10:11], s[8:9]
.LBB66_3140:
	v_lshrrev_b32_e32 v4, 24, v6
	s_movk_i32 s8, 0x80
	v_and_or_b32 v4, v4, s8, v3
.LBB66_3141:
	s_or_b64 exec, exec, s[10:11]
.LBB66_3142:
	s_or_b64 exec, exec, s[2:3]
	s_mov_b64 s[2:3], 0
	global_store_byte v[0:1], v4, off
.LBB66_3143:
	s_and_b64 vcc, exec, s[2:3]
	s_cbranch_vccz .LBB66_3153
; %bb.3144:
	v_and_b32_e32 v4, 0x7fffffff, v6
	s_mov_b32 s2, 0x43f00000
	v_cmp_gt_u32_e32 vcc, s2, v4
                                        ; implicit-def: $vgpr3
	s_and_saveexec_b64 s[2:3], vcc
	s_xor_b64 s[2:3], exec, s[2:3]
	s_cbranch_execz .LBB66_3150
; %bb.3145:
	s_mov_b32 s8, 0x3c7fffff
	v_cmp_lt_u32_e32 vcc, s8, v4
                                        ; implicit-def: $vgpr3
	s_and_saveexec_b64 s[8:9], vcc
	s_xor_b64 s[8:9], exec, s[8:9]
; %bb.3146:
	v_bfe_u32 v3, v6, 20, 1
	s_mov_b32 s10, 0x407ffff
	v_add3_u32 v3, v6, v3, s10
	v_lshrrev_b32_e32 v4, 20, v3
	v_and_b32_e32 v3, 0xff00000, v3
	s_mov_b32 s10, 0x7f00000
	v_mov_b32_e32 v5, 0x7e
	v_cmp_ne_u32_e32 vcc, s10, v3
	v_cndmask_b32_e32 v3, v5, v4, vcc
; %bb.3147:
	s_andn2_saveexec_b64 s[8:9], s[8:9]
; %bb.3148:
	s_mov_b32 s10, 0x46800000
	v_add_f32_e64 v3, |v6|, s10
; %bb.3149:
	s_or_b64 exec, exec, s[8:9]
                                        ; implicit-def: $vgpr4
.LBB66_3150:
	s_andn2_saveexec_b64 s[2:3], s[2:3]
; %bb.3151:
	s_mov_b32 s8, 0x7f800000
	v_mov_b32_e32 v3, 0x7e
	v_mov_b32_e32 v5, 0x7f
	v_cmp_lt_u32_e32 vcc, s8, v4
	v_cndmask_b32_e32 v3, v3, v5, vcc
; %bb.3152:
	s_or_b64 exec, exec, s[2:3]
	v_lshrrev_b32_e32 v4, 24, v6
	s_movk_i32 s2, 0x80
	v_and_or_b32 v3, v4, s2, v3
	global_store_byte v[0:1], v3, off
.LBB66_3153:
	s_mov_b64 s[2:3], 0
.LBB66_3154:
	s_andn2_b64 vcc, exec, s[2:3]
	s_cbranch_vccnz .LBB66_3164
; %bb.3155:
	v_and_b32_e32 v4, 0x7fffffff, v6
	s_mov_b32 s2, 0x47800000
	v_cmp_gt_u32_e32 vcc, s2, v4
                                        ; implicit-def: $vgpr3
	s_and_saveexec_b64 s[2:3], vcc
	s_xor_b64 s[2:3], exec, s[2:3]
	s_cbranch_execz .LBB66_3161
; %bb.3156:
	s_mov_b32 s8, 0x387fffff
	v_cmp_lt_u32_e32 vcc, s8, v4
                                        ; implicit-def: $vgpr3
	s_and_saveexec_b64 s[8:9], vcc
	s_xor_b64 s[8:9], exec, s[8:9]
; %bb.3157:
	v_bfe_u32 v3, v6, 21, 1
	s_mov_b32 s10, 0x80fffff
	v_add3_u32 v3, v6, v3, s10
	v_lshrrev_b32_e32 v3, 21, v3
; %bb.3158:
	s_andn2_saveexec_b64 s[8:9], s[8:9]
; %bb.3159:
	s_mov_b32 s10, 0x43000000
	v_add_f32_e64 v3, |v6|, s10
; %bb.3160:
	s_or_b64 exec, exec, s[8:9]
                                        ; implicit-def: $vgpr4
.LBB66_3161:
	s_andn2_saveexec_b64 s[2:3], s[2:3]
; %bb.3162:
	s_mov_b32 s8, 0x7f800000
	v_mov_b32_e32 v3, 0x7c
	v_mov_b32_e32 v5, 0x7f
	v_cmp_lt_u32_e32 vcc, s8, v4
	v_cndmask_b32_e32 v3, v3, v5, vcc
; %bb.3163:
	s_or_b64 exec, exec, s[2:3]
	v_lshrrev_b32_e32 v4, 24, v6
	s_movk_i32 s2, 0x80
	v_and_or_b32 v3, v4, s2, v3
	global_store_byte v[0:1], v3, off
.LBB66_3164:
	s_mov_b64 s[2:3], 0
.LBB66_3165:
	s_andn2_b64 vcc, exec, s[2:3]
	s_mov_b64 s[2:3], 0
	s_cbranch_vccnz .LBB66_3172
; %bb.3166:
	v_cmp_lt_i16_e32 vcc, 14, v2
	s_mov_b64 s[8:9], -1
	s_cbranch_vccz .LBB66_3170
; %bb.3167:
	v_cmp_eq_u16_e32 vcc, 15, v2
	s_mov_b64 s[0:1], -1
	s_cbranch_vccz .LBB66_3169
; %bb.3168:
	v_bfe_u32 v3, v6, 16, 1
	s_movk_i32 s0, 0x7fff
	v_add3_u32 v3, v6, v3, s0
	v_lshrrev_b32_e32 v3, 16, v3
	v_mov_b32_e32 v4, 0x7fc0
	v_cmp_o_f32_e32 vcc, v6, v6
	v_cndmask_b32_e32 v3, v4, v3, vcc
	global_store_short v[0:1], v3, off
	s_mov_b64 s[0:1], 0
.LBB66_3169:
	s_mov_b64 s[8:9], 0
.LBB66_3170:
	s_and_b64 vcc, exec, s[8:9]
	s_cbranch_vccz .LBB66_3172
; %bb.3171:
	v_cmp_ne_u16_e64 s[0:1], 11, v2
	s_mov_b64 s[2:3], -1
.LBB66_3172:
	s_and_b64 vcc, exec, s[0:1]
	s_cbranch_vccnz .LBB66_3183
.LBB66_3173:
	s_mov_b64 s[0:1], 0
	s_branch .LBB66_2684
.LBB66_3174:
	s_mov_b64 s[0:1], 0
                                        ; implicit-def: $vgpr2
                                        ; implicit-def: $vgpr0_vgpr1
	s_branch .LBB66_2683
.LBB66_3175:
	s_mov_b64 s[2:3], 0
	s_mov_b64 s[0:1], -1
	s_branch .LBB66_2684
.LBB66_3176:
	s_or_saveexec_b64 s[14:15], s[14:15]
                                        ; implicit-def: $sgpr17
	s_xor_b64 exec, exec, s[14:15]
	s_cbranch_execz .LBB66_3008
.LBB66_3177:
	s_mov_b32 s17, 0x46000000
	v_add_f32_e64 v3, |v4|, s17
	v_and_b32_e32 v3, 0xff, v3
	v_cmp_ne_u32_e32 vcc, 0, v3
	s_andn2_b64 s[12:13], s[12:13], exec
	s_and_b64 s[20:21], vcc, exec
	s_mov_b32 s17, 0
	s_or_b64 s[12:13], s[12:13], s[20:21]
	s_or_b64 exec, exec, s[14:15]
	v_mov_b32_e32 v5, s17
	s_and_saveexec_b64 s[14:15], s[12:13]
	s_cbranch_execnz .LBB66_3009
	s_branch .LBB66_3010
.LBB66_3178:
	s_trap 2
	s_or_b64 s[18:19], s[18:19], exec
	s_cbranch_execz .LBB66_3056
	s_branch .LBB66_3057
.LBB66_3179:
	s_or_saveexec_b64 s[12:13], s[12:13]
                                        ; implicit-def: $sgpr14
	s_xor_b64 exec, exec, s[12:13]
	s_cbranch_execz .LBB66_3021
.LBB66_3180:
	s_mov_b32 s14, 0x42800000
	v_add_f32_e64 v3, |v4|, s14
	v_and_b32_e32 v3, 0xff, v3
	v_cmp_ne_u32_e32 vcc, 0, v3
	s_andn2_b64 s[10:11], s[10:11], exec
	s_and_b64 s[20:21], vcc, exec
	s_mov_b32 s14, 0
	s_or_b64 s[10:11], s[10:11], s[20:21]
	s_or_b64 exec, exec, s[12:13]
	v_mov_b32_e32 v5, s14
	s_and_saveexec_b64 s[12:13], s[10:11]
	s_cbranch_execnz .LBB66_3022
	s_branch .LBB66_3023
.LBB66_3181:
	s_or_saveexec_b64 s[12:13], s[12:13]
                                        ; implicit-def: $sgpr14
	s_xor_b64 exec, exec, s[12:13]
	s_cbranch_execz .LBB66_3127
.LBB66_3182:
	s_mov_b32 s14, 0x46000000
	v_add_f32_e64 v3, |v6|, s14
	v_and_b32_e32 v3, 0xff, v3
	v_cmp_ne_u32_e32 vcc, 0, v3
	s_andn2_b64 s[10:11], s[10:11], exec
	s_and_b64 s[16:17], vcc, exec
	s_mov_b32 s14, 0
	s_or_b64 s[10:11], s[10:11], s[16:17]
	s_or_b64 exec, exec, s[12:13]
	v_mov_b32_e32 v4, s14
	s_and_saveexec_b64 s[12:13], s[10:11]
	s_cbranch_execnz .LBB66_3128
	s_branch .LBB66_3129
.LBB66_3183:
	s_mov_b64 s[2:3], 0
	s_or_b64 s[18:19], s[18:19], exec
	s_trap 2
	s_branch .LBB66_3173
.LBB66_3184:
	s_or_saveexec_b64 s[10:11], s[10:11]
                                        ; implicit-def: $sgpr12
	s_xor_b64 exec, exec, s[10:11]
	s_cbranch_execz .LBB66_3139
.LBB66_3185:
	s_mov_b32 s12, 0x42800000
	v_add_f32_e64 v3, |v6|, s12
	v_and_b32_e32 v3, 0xff, v3
	v_cmp_ne_u32_e32 vcc, 0, v3
	s_andn2_b64 s[8:9], s[8:9], exec
	s_and_b64 s[14:15], vcc, exec
	s_mov_b32 s12, 0
	s_or_b64 s[8:9], s[8:9], s[14:15]
	s_or_b64 exec, exec, s[10:11]
	v_mov_b32_e32 v4, s12
	s_and_saveexec_b64 s[10:11], s[8:9]
	s_cbranch_execnz .LBB66_3140
	s_branch .LBB66_3141
	.section	.rodata,"a",@progbits
	.p2align	6, 0x0
	.amdhsa_kernel _ZN2at6native32elementwise_kernel_manual_unrollILi128ELi4EZNS0_15gpu_kernel_implINS0_13BinaryFunctorIfffZZZNS0_12_GLOBAL__N_133hermite_polynomial_he_kernel_cudaERNS_18TensorIteratorBaseEENKUlvE_clEvENKUlvE0_clEvEUlffE_EEEEvS6_RKT_EUlibE_EEviT1_
		.amdhsa_group_segment_fixed_size 0
		.amdhsa_private_segment_fixed_size 0
		.amdhsa_kernarg_size 48
		.amdhsa_user_sgpr_count 6
		.amdhsa_user_sgpr_private_segment_buffer 1
		.amdhsa_user_sgpr_dispatch_ptr 0
		.amdhsa_user_sgpr_queue_ptr 0
		.amdhsa_user_sgpr_kernarg_segment_ptr 1
		.amdhsa_user_sgpr_dispatch_id 0
		.amdhsa_user_sgpr_flat_scratch_init 0
		.amdhsa_user_sgpr_kernarg_preload_length 0
		.amdhsa_user_sgpr_kernarg_preload_offset 0
		.amdhsa_user_sgpr_private_segment_size 0
		.amdhsa_uses_dynamic_stack 0
		.amdhsa_system_sgpr_private_segment_wavefront_offset 0
		.amdhsa_system_sgpr_workgroup_id_x 1
		.amdhsa_system_sgpr_workgroup_id_y 0
		.amdhsa_system_sgpr_workgroup_id_z 0
		.amdhsa_system_sgpr_workgroup_info 0
		.amdhsa_system_vgpr_workitem_id 0
		.amdhsa_next_free_vgpr 17
		.amdhsa_next_free_sgpr 54
		.amdhsa_accum_offset 20
		.amdhsa_reserve_vcc 1
		.amdhsa_reserve_flat_scratch 0
		.amdhsa_float_round_mode_32 0
		.amdhsa_float_round_mode_16_64 0
		.amdhsa_float_denorm_mode_32 3
		.amdhsa_float_denorm_mode_16_64 3
		.amdhsa_dx10_clamp 1
		.amdhsa_ieee_mode 1
		.amdhsa_fp16_overflow 0
		.amdhsa_tg_split 0
		.amdhsa_exception_fp_ieee_invalid_op 0
		.amdhsa_exception_fp_denorm_src 0
		.amdhsa_exception_fp_ieee_div_zero 0
		.amdhsa_exception_fp_ieee_overflow 0
		.amdhsa_exception_fp_ieee_underflow 0
		.amdhsa_exception_fp_ieee_inexact 0
		.amdhsa_exception_int_div_zero 0
	.end_amdhsa_kernel
	.section	.text._ZN2at6native32elementwise_kernel_manual_unrollILi128ELi4EZNS0_15gpu_kernel_implINS0_13BinaryFunctorIfffZZZNS0_12_GLOBAL__N_133hermite_polynomial_he_kernel_cudaERNS_18TensorIteratorBaseEENKUlvE_clEvENKUlvE0_clEvEUlffE_EEEEvS6_RKT_EUlibE_EEviT1_,"axG",@progbits,_ZN2at6native32elementwise_kernel_manual_unrollILi128ELi4EZNS0_15gpu_kernel_implINS0_13BinaryFunctorIfffZZZNS0_12_GLOBAL__N_133hermite_polynomial_he_kernel_cudaERNS_18TensorIteratorBaseEENKUlvE_clEvENKUlvE0_clEvEUlffE_EEEEvS6_RKT_EUlibE_EEviT1_,comdat
.Lfunc_end66:
	.size	_ZN2at6native32elementwise_kernel_manual_unrollILi128ELi4EZNS0_15gpu_kernel_implINS0_13BinaryFunctorIfffZZZNS0_12_GLOBAL__N_133hermite_polynomial_he_kernel_cudaERNS_18TensorIteratorBaseEENKUlvE_clEvENKUlvE0_clEvEUlffE_EEEEvS6_RKT_EUlibE_EEviT1_, .Lfunc_end66-_ZN2at6native32elementwise_kernel_manual_unrollILi128ELi4EZNS0_15gpu_kernel_implINS0_13BinaryFunctorIfffZZZNS0_12_GLOBAL__N_133hermite_polynomial_he_kernel_cudaERNS_18TensorIteratorBaseEENKUlvE_clEvENKUlvE0_clEvEUlffE_EEEEvS6_RKT_EUlibE_EEviT1_
                                        ; -- End function
	.section	.AMDGPU.csdata,"",@progbits
; Kernel info:
; codeLenInByte = 55812
; NumSgprs: 58
; NumVgprs: 17
; NumAgprs: 0
; TotalNumVgprs: 17
; ScratchSize: 0
; MemoryBound: 1
; FloatMode: 240
; IeeeMode: 1
; LDSByteSize: 0 bytes/workgroup (compile time only)
; SGPRBlocks: 7
; VGPRBlocks: 2
; NumSGPRsForWavesPerEU: 58
; NumVGPRsForWavesPerEU: 17
; AccumOffset: 20
; Occupancy: 8
; WaveLimiterHint : 0
; COMPUTE_PGM_RSRC2:SCRATCH_EN: 0
; COMPUTE_PGM_RSRC2:USER_SGPR: 6
; COMPUTE_PGM_RSRC2:TRAP_HANDLER: 0
; COMPUTE_PGM_RSRC2:TGID_X_EN: 1
; COMPUTE_PGM_RSRC2:TGID_Y_EN: 0
; COMPUTE_PGM_RSRC2:TGID_Z_EN: 0
; COMPUTE_PGM_RSRC2:TIDIG_COMP_CNT: 0
; COMPUTE_PGM_RSRC3_GFX90A:ACCUM_OFFSET: 4
; COMPUTE_PGM_RSRC3_GFX90A:TG_SPLIT: 0
	.section	.text._ZN2at6native32elementwise_kernel_manual_unrollILi128ELi4EZNS0_12_GLOBAL__N_142type_specialized_broadcast_kernel_launcherILi0EE5applyINS0_13BinaryFunctorIfffZZZNS2_33hermite_polynomial_he_kernel_cudaERNS_18TensorIteratorBaseEENKUlvE_clEvENKUlvE0_clEvEUlffE_EESt5arrayIPcLm3EESD_IN3c1010ScalarTypeELm3EE16OffsetCalculatorILi3EjLb0EEEEvlT_T0_T1_T2_EUlibE_EEviSN_,"axG",@progbits,_ZN2at6native32elementwise_kernel_manual_unrollILi128ELi4EZNS0_12_GLOBAL__N_142type_specialized_broadcast_kernel_launcherILi0EE5applyINS0_13BinaryFunctorIfffZZZNS2_33hermite_polynomial_he_kernel_cudaERNS_18TensorIteratorBaseEENKUlvE_clEvENKUlvE0_clEvEUlffE_EESt5arrayIPcLm3EESD_IN3c1010ScalarTypeELm3EE16OffsetCalculatorILi3EjLb0EEEEvlT_T0_T1_T2_EUlibE_EEviSN_,comdat
	.globl	_ZN2at6native32elementwise_kernel_manual_unrollILi128ELi4EZNS0_12_GLOBAL__N_142type_specialized_broadcast_kernel_launcherILi0EE5applyINS0_13BinaryFunctorIfffZZZNS2_33hermite_polynomial_he_kernel_cudaERNS_18TensorIteratorBaseEENKUlvE_clEvENKUlvE0_clEvEUlffE_EESt5arrayIPcLm3EESD_IN3c1010ScalarTypeELm3EE16OffsetCalculatorILi3EjLb0EEEEvlT_T0_T1_T2_EUlibE_EEviSN_ ; -- Begin function _ZN2at6native32elementwise_kernel_manual_unrollILi128ELi4EZNS0_12_GLOBAL__N_142type_specialized_broadcast_kernel_launcherILi0EE5applyINS0_13BinaryFunctorIfffZZZNS2_33hermite_polynomial_he_kernel_cudaERNS_18TensorIteratorBaseEENKUlvE_clEvENKUlvE0_clEvEUlffE_EESt5arrayIPcLm3EESD_IN3c1010ScalarTypeELm3EE16OffsetCalculatorILi3EjLb0EEEEvlT_T0_T1_T2_EUlibE_EEviSN_
	.p2align	8
	.type	_ZN2at6native32elementwise_kernel_manual_unrollILi128ELi4EZNS0_12_GLOBAL__N_142type_specialized_broadcast_kernel_launcherILi0EE5applyINS0_13BinaryFunctorIfffZZZNS2_33hermite_polynomial_he_kernel_cudaERNS_18TensorIteratorBaseEENKUlvE_clEvENKUlvE0_clEvEUlffE_EESt5arrayIPcLm3EESD_IN3c1010ScalarTypeELm3EE16OffsetCalculatorILi3EjLb0EEEEvlT_T0_T1_T2_EUlibE_EEviSN_,@function
_ZN2at6native32elementwise_kernel_manual_unrollILi128ELi4EZNS0_12_GLOBAL__N_142type_specialized_broadcast_kernel_launcherILi0EE5applyINS0_13BinaryFunctorIfffZZZNS2_33hermite_polynomial_he_kernel_cudaERNS_18TensorIteratorBaseEENKUlvE_clEvENKUlvE0_clEvEUlffE_EESt5arrayIPcLm3EESD_IN3c1010ScalarTypeELm3EE16OffsetCalculatorILi3EjLb0EEEEvlT_T0_T1_T2_EUlibE_EEviSN_: ; @_ZN2at6native32elementwise_kernel_manual_unrollILi128ELi4EZNS0_12_GLOBAL__N_142type_specialized_broadcast_kernel_launcherILi0EE5applyINS0_13BinaryFunctorIfffZZZNS2_33hermite_polynomial_he_kernel_cudaERNS_18TensorIteratorBaseEENKUlvE_clEvENKUlvE0_clEvEUlffE_EESt5arrayIPcLm3EESD_IN3c1010ScalarTypeELm3EE16OffsetCalculatorILi3EjLb0EEEEvlT_T0_T1_T2_EUlibE_EEviSN_
; %bb.0:
	s_load_dword s46, s[4:5], 0x0
	s_load_dword s33, s[4:5], 0x8
	s_or_b32 s4, s4, 8
	v_lshl_or_b32 v14, s6, 9, v0
	v_or_b32_e32 v24, 0x180, v14
	s_waitcnt lgkmcnt(0)
	v_cmp_le_i32_e32 vcc, s46, v24
	s_add_i32 s44, s33, -1
	s_cmp_gt_u32 s44, 1
	s_cselect_b64 s[6:7], -1, 0
	s_and_saveexec_b64 s[0:1], vcc
	s_xor_b64 s[16:17], exec, s[0:1]
	s_cbranch_execz .LBB67_98
; %bb.1:
	s_load_dwordx4 s[12:15], s[4:5], 0x4
	s_load_dwordx2 s[22:23], s[4:5], 0x14
	s_load_dwordx4 s[8:11], s[4:5], 0xc4
	s_load_dwordx2 s[20:21], s[4:5], 0xd4
	s_load_dwordx2 s[18:19], s[4:5], 0x198
	s_load_dwordx4 s[0:3], s[4:5], 0x188
	s_cmp_lg_u32 s33, 0
	s_cselect_b64 s[26:27], -1, 0
	s_min_u32 s45, s44, 15
	s_cmp_gt_u32 s33, 1
	s_cselect_b64 s[24:25], -1, 0
	v_cmp_gt_i32_e32 vcc, s46, v14
	s_and_saveexec_b64 s[28:29], vcc
	s_cbranch_execnz .LBB67_5
; %bb.2:
	s_or_b64 exec, exec, s[28:29]
	v_cmp_gt_i32_e32 vcc, s46, v14
	s_and_saveexec_b64 s[28:29], vcc
	s_cbranch_execnz .LBB67_28
.LBB67_3:
	s_or_b64 exec, exec, s[28:29]
	v_cmp_gt_i32_e32 vcc, s46, v14
	s_and_saveexec_b64 s[28:29], vcc
	s_cbranch_execnz .LBB67_51
.LBB67_4:
	s_or_b64 exec, exec, s[28:29]
	v_cmp_gt_i32_e32 vcc, s46, v14
	s_and_saveexec_b64 s[28:29], vcc
	s_cbranch_execnz .LBB67_74
	s_branch .LBB67_97
.LBB67_5:
	s_andn2_b64 vcc, exec, s[6:7]
	s_cbranch_vccnz .LBB67_12
; %bb.6:
	s_andn2_b64 vcc, exec, s[26:27]
	v_mov_b32_e32 v4, 0
	v_mov_b32_e32 v2, 0
	;; [unrolled: 1-line block ×3, first 2 shown]
	s_cbranch_vccnz .LBB67_11
; %bb.7:
	s_add_i32 s30, s45, 1
	s_and_b32 s34, s30, 30
	s_add_u32 s30, s4, 0xffffffec
	s_addc_u32 s31, s5, -1
	v_mov_b32_e32 v0, 0
	v_mov_b32_e32 v1, v14
	;; [unrolled: 1-line block ×4, first 2 shown]
.LBB67_8:                               ; =>This Inner Loop Header: Depth=1
	s_mov_b64 s[48:49], s[30:31]
	s_load_dwordx4 s[36:39], s[48:49], 0x18
	s_load_dwordx2 s[50:51], s[48:49], 0x28
	s_load_dwordx2 s[52:53], s[48:49], 0xe8
	s_load_dwordx4 s[40:43], s[48:49], 0xd8
	s_add_u32 s30, s48, 24
	s_waitcnt lgkmcnt(0)
	v_mul_hi_u32 v3, s37, v1
	v_add_u32_e32 v3, v1, v3
	v_lshrrev_b32_e32 v3, s38, v3
	v_mul_lo_u32 v5, v3, s36
	v_mul_hi_u32 v6, s50, v3
	v_sub_u32_e32 v1, v1, v5
	v_add_u32_e32 v5, v3, v6
	v_mul_lo_u32 v6, v1, s40
	v_mul_lo_u32 v7, v1, s41
	;; [unrolled: 1-line block ×3, first 2 shown]
	v_lshrrev_b32_e32 v1, s51, v5
	v_mul_lo_u32 v5, v1, s39
	v_sub_u32_e32 v3, v3, v5
	s_addc_u32 s31, s49, 0
	s_add_i32 s34, s34, -2
	v_mul_lo_u32 v5, v3, s43
	v_mul_lo_u32 v9, v3, s52
	;; [unrolled: 1-line block ×3, first 2 shown]
	s_cmp_lg_u32 s34, 0
	v_add3_u32 v0, v6, v0, v5
	v_add3_u32 v4, v8, v4, v3
	;; [unrolled: 1-line block ×3, first 2 shown]
	s_cbranch_scc1 .LBB67_8
; %bb.9:
	s_bitcmp1_b32 s45, 0
	s_cselect_b64 s[34:35], -1, 0
	s_and_b64 vcc, exec, s[34:35]
	s_cbranch_vccnz .LBB67_11
; %bb.10:
	s_load_dwordx2 s[34:35], s[30:31], 0x18
	s_load_dword s38, s[30:31], 0x20
	s_load_dword s39, s[30:31], 0xe0
	s_load_dwordx2 s[36:37], s[30:31], 0xd8
	s_waitcnt lgkmcnt(0)
	v_mul_hi_u32 v3, s35, v1
	v_add_u32_e32 v3, v1, v3
	v_lshrrev_b32_e32 v3, s38, v3
	v_mul_lo_u32 v3, v3, s34
	v_sub_u32_e32 v5, v1, v3
	v_mad_u64_u32 v[0:1], s[30:31], v5, s36, v[0:1]
	v_mad_u64_u32 v[2:3], s[30:31], v5, s37, v[2:3]
	;; [unrolled: 1-line block ×3, first 2 shown]
.LBB67_11:
	s_cbranch_execz .LBB67_13
	s_branch .LBB67_15
.LBB67_12:
                                        ; implicit-def: $vgpr4
                                        ; implicit-def: $vgpr2
                                        ; implicit-def: $vgpr0
.LBB67_13:
	s_waitcnt lgkmcnt(0)
	v_mul_hi_u32 v0, s13, v14
	v_add_u32_e32 v0, v14, v0
	v_lshrrev_b32_e32 v1, s14, v0
	v_mul_lo_u32 v0, v1, s12
	v_sub_u32_e32 v2, v14, v0
	v_mul_lo_u32 v0, v2, s8
	v_mul_lo_u32 v4, v2, s10
	s_andn2_b64 vcc, exec, s[24:25]
	v_mul_lo_u32 v2, v2, s9
	s_cbranch_vccnz .LBB67_15
; %bb.14:
	v_mul_hi_u32 v3, s22, v1
	v_add_u32_e32 v3, v1, v3
	v_lshrrev_b32_e32 v3, s23, v3
	v_mul_lo_u32 v3, v3, s15
	v_sub_u32_e32 v5, v1, v3
	v_mad_u64_u32 v[0:1], s[30:31], v5, s11, v[0:1]
	v_mad_u64_u32 v[2:3], s[30:31], v5, s20, v[2:3]
	;; [unrolled: 1-line block ×3, first 2 shown]
.LBB67_15:
	s_waitcnt lgkmcnt(0)
	global_load_ushort v1, v4, s[18:19]
	s_mov_b32 s30, 0x2f800000
	s_mov_b32 s31, 0xcf800000
	s_waitcnt vmcnt(0)
	v_lshlrev_b32_e32 v1, 16, v1
	v_trunc_f32_e32 v1, v1
	v_mul_f32_e64 v3, |v1|, s30
	v_floor_f32_e32 v3, v3
	v_fma_f32 v4, v3, s31, |v1|
	v_cvt_u32_f32_e32 v4, v4
	v_cvt_u32_f32_e32 v3, v3
	v_ashrrev_i32_e32 v1, 31, v1
	v_xor_b32_e32 v4, v4, v1
	v_xor_b32_e32 v3, v3, v1
	v_sub_co_u32_e32 v4, vcc, v4, v1
	v_subb_co_u32_e32 v5, vcc, v3, v1, vcc
	v_cmp_lt_i64_e32 vcc, -1, v[4:5]
	v_mov_b32_e32 v3, 0
	s_and_saveexec_b64 s[30:31], vcc
	s_cbranch_execz .LBB67_27
; %bb.16:
	v_cmp_lt_i64_e32 vcc, 0, v[4:5]
	v_mov_b32_e32 v3, 1.0
	s_and_saveexec_b64 s[34:35], vcc
	s_cbranch_execz .LBB67_26
; %bb.17:
	global_load_dword v1, v2, s[2:3]
	v_cmp_ne_u64_e32 vcc, 1, v[4:5]
                                        ; implicit-def: $vgpr3
	s_and_saveexec_b64 s[36:37], vcc
	s_xor_b64 s[36:37], exec, s[36:37]
	s_cbranch_execz .LBB67_23
; %bb.18:
	s_mov_b64 s[38:39], 0x81
	v_cmp_gt_u64_e32 vcc, s[38:39], v[4:5]
	v_mov_b32_e32 v3, 0x7fc00000
	s_and_saveexec_b64 s[38:39], vcc
	s_cbranch_execz .LBB67_22
; %bb.19:
	s_mov_b64 s[42:43], 1
	s_mov_b64 s[40:41], 0
	v_mov_b32_e32 v2, 1.0
	s_waitcnt vmcnt(0)
	v_mov_b32_e32 v3, v1
.LBB67_20:                              ; =>This Inner Loop Header: Depth=1
	s_flbit_i32_b32 s47, s43
	s_min_u32 s47, s47, 32
	s_lshl_b64 s[48:49], s[42:43], s47
	s_min_u32 s48, s48, 1
	s_or_b32 s48, s49, s48
	v_cvt_f32_u32_e32 v6, s48
	s_sub_i32 s47, 32, s47
	s_add_u32 s42, s42, 1
	s_addc_u32 s43, s43, 0
	v_ldexp_f32 v6, v6, s47
	v_cmp_eq_u64_e32 vcc, s[42:43], v[4:5]
	v_mul_f32_e32 v6, v2, v6
	s_or_b64 s[40:41], vcc, s[40:41]
	v_mov_b32_e32 v2, v3
	v_fma_f32 v3, v1, v3, -v6
	s_andn2_b64 exec, exec, s[40:41]
	s_cbranch_execnz .LBB67_20
; %bb.21:
	s_or_b64 exec, exec, s[40:41]
.LBB67_22:
	s_or_b64 exec, exec, s[38:39]
                                        ; implicit-def: $vgpr1
.LBB67_23:
	s_andn2_saveexec_b64 s[36:37], s[36:37]
	s_cbranch_execz .LBB67_25
; %bb.24:
	s_waitcnt vmcnt(0)
	v_mov_b32_e32 v3, v1
.LBB67_25:
	s_or_b64 exec, exec, s[36:37]
.LBB67_26:
	s_or_b64 exec, exec, s[34:35]
.LBB67_27:
	s_or_b64 exec, exec, s[30:31]
	v_add_u32_e32 v14, 0x80, v14
	global_store_dword v0, v3, s[0:1]
	s_or_b64 exec, exec, s[28:29]
	v_cmp_gt_i32_e32 vcc, s46, v14
	s_and_saveexec_b64 s[28:29], vcc
	s_cbranch_execz .LBB67_3
.LBB67_28:
	s_andn2_b64 vcc, exec, s[6:7]
	s_cbranch_vccnz .LBB67_35
; %bb.29:
	s_andn2_b64 vcc, exec, s[26:27]
	v_mov_b32_e32 v4, 0
	v_mov_b32_e32 v2, 0
	;; [unrolled: 1-line block ×3, first 2 shown]
	s_cbranch_vccnz .LBB67_34
; %bb.30:
	s_add_i32 s30, s45, 1
	s_and_b32 s34, s30, 30
	s_add_u32 s30, s4, 0xffffffec
	s_addc_u32 s31, s5, -1
	v_mov_b32_e32 v0, 0
	s_waitcnt vmcnt(1)
	v_mov_b32_e32 v1, v14
	v_mov_b32_e32 v2, 0
	;; [unrolled: 1-line block ×3, first 2 shown]
.LBB67_31:                              ; =>This Inner Loop Header: Depth=1
	s_mov_b64 s[48:49], s[30:31]
	s_load_dwordx4 s[36:39], s[48:49], 0x18
	s_load_dwordx2 s[50:51], s[48:49], 0x28
	s_load_dwordx2 s[52:53], s[48:49], 0xe8
	s_load_dwordx4 s[40:43], s[48:49], 0xd8
	s_add_u32 s30, s48, 24
	s_waitcnt lgkmcnt(0)
	v_mul_hi_u32 v3, s37, v1
	v_add_u32_e32 v3, v1, v3
	v_lshrrev_b32_e32 v3, s38, v3
	v_mul_lo_u32 v5, v3, s36
	v_mul_hi_u32 v6, s50, v3
	v_sub_u32_e32 v1, v1, v5
	v_add_u32_e32 v5, v3, v6
	v_mul_lo_u32 v6, v1, s40
	v_mul_lo_u32 v7, v1, s41
	;; [unrolled: 1-line block ×3, first 2 shown]
	v_lshrrev_b32_e32 v1, s51, v5
	v_mul_lo_u32 v5, v1, s39
	v_sub_u32_e32 v3, v3, v5
	s_addc_u32 s31, s49, 0
	s_add_i32 s34, s34, -2
	v_mul_lo_u32 v5, v3, s43
	v_mul_lo_u32 v9, v3, s52
	;; [unrolled: 1-line block ×3, first 2 shown]
	s_cmp_eq_u32 s34, 0
	v_add3_u32 v0, v6, v0, v5
	v_add3_u32 v4, v8, v4, v3
	;; [unrolled: 1-line block ×3, first 2 shown]
	s_cbranch_scc0 .LBB67_31
; %bb.32:
	s_bitcmp1_b32 s45, 0
	s_cselect_b64 s[34:35], -1, 0
	s_and_b64 vcc, exec, s[34:35]
	s_cbranch_vccnz .LBB67_34
; %bb.33:
	s_load_dwordx2 s[34:35], s[30:31], 0x18
	s_load_dword s38, s[30:31], 0x20
	s_load_dword s39, s[30:31], 0xe0
	s_load_dwordx2 s[36:37], s[30:31], 0xd8
	s_waitcnt lgkmcnt(0)
	v_mul_hi_u32 v3, s35, v1
	v_add_u32_e32 v3, v1, v3
	v_lshrrev_b32_e32 v3, s38, v3
	v_mul_lo_u32 v3, v3, s34
	v_sub_u32_e32 v5, v1, v3
	v_mad_u64_u32 v[0:1], s[30:31], v5, s36, v[0:1]
	v_mad_u64_u32 v[2:3], s[30:31], v5, s37, v[2:3]
	;; [unrolled: 1-line block ×3, first 2 shown]
.LBB67_34:
	s_cbranch_execz .LBB67_36
	s_branch .LBB67_38
.LBB67_35:
                                        ; implicit-def: $vgpr4
                                        ; implicit-def: $vgpr2
                                        ; implicit-def: $vgpr0
.LBB67_36:
	s_waitcnt lgkmcnt(0)
	v_mul_hi_u32 v0, s13, v14
	v_add_u32_e32 v0, v14, v0
	s_waitcnt vmcnt(1)
	v_lshrrev_b32_e32 v1, s14, v0
	v_mul_lo_u32 v0, v1, s12
	v_sub_u32_e32 v2, v14, v0
	v_mul_lo_u32 v0, v2, s8
	v_mul_lo_u32 v4, v2, s10
	s_andn2_b64 vcc, exec, s[24:25]
	v_mul_lo_u32 v2, v2, s9
	s_cbranch_vccnz .LBB67_38
; %bb.37:
	v_mul_hi_u32 v3, s22, v1
	v_add_u32_e32 v3, v1, v3
	v_lshrrev_b32_e32 v3, s23, v3
	v_mul_lo_u32 v3, v3, s15
	v_sub_u32_e32 v5, v1, v3
	v_mad_u64_u32 v[0:1], s[30:31], v5, s11, v[0:1]
	v_mad_u64_u32 v[2:3], s[30:31], v5, s20, v[2:3]
	;; [unrolled: 1-line block ×3, first 2 shown]
.LBB67_38:
	s_waitcnt lgkmcnt(0)
	global_load_ushort v1, v4, s[18:19]
	s_mov_b32 s30, 0x2f800000
	s_mov_b32 s31, 0xcf800000
	s_waitcnt vmcnt(0)
	v_lshlrev_b32_e32 v1, 16, v1
	v_trunc_f32_e32 v1, v1
	v_mul_f32_e64 v3, |v1|, s30
	v_floor_f32_e32 v3, v3
	v_fma_f32 v4, v3, s31, |v1|
	v_cvt_u32_f32_e32 v4, v4
	v_cvt_u32_f32_e32 v3, v3
	v_ashrrev_i32_e32 v1, 31, v1
	v_xor_b32_e32 v4, v4, v1
	v_xor_b32_e32 v3, v3, v1
	v_sub_co_u32_e32 v4, vcc, v4, v1
	v_subb_co_u32_e32 v5, vcc, v3, v1, vcc
	v_cmp_lt_i64_e32 vcc, -1, v[4:5]
	v_mov_b32_e32 v3, 0
	s_and_saveexec_b64 s[30:31], vcc
	s_cbranch_execz .LBB67_50
; %bb.39:
	v_cmp_lt_i64_e32 vcc, 0, v[4:5]
	v_mov_b32_e32 v3, 1.0
	s_and_saveexec_b64 s[34:35], vcc
	s_cbranch_execz .LBB67_49
; %bb.40:
	global_load_dword v1, v2, s[2:3]
	v_cmp_ne_u64_e32 vcc, 1, v[4:5]
                                        ; implicit-def: $vgpr3
	s_and_saveexec_b64 s[36:37], vcc
	s_xor_b64 s[36:37], exec, s[36:37]
	s_cbranch_execz .LBB67_46
; %bb.41:
	s_mov_b64 s[38:39], 0x81
	v_cmp_gt_u64_e32 vcc, s[38:39], v[4:5]
	v_mov_b32_e32 v3, 0x7fc00000
	s_and_saveexec_b64 s[38:39], vcc
	s_cbranch_execz .LBB67_45
; %bb.42:
	s_mov_b64 s[42:43], 1
	s_mov_b64 s[40:41], 0
	v_mov_b32_e32 v2, 1.0
	s_waitcnt vmcnt(0)
	v_mov_b32_e32 v3, v1
.LBB67_43:                              ; =>This Inner Loop Header: Depth=1
	s_flbit_i32_b32 s47, s43
	s_min_u32 s47, s47, 32
	s_lshl_b64 s[48:49], s[42:43], s47
	s_min_u32 s48, s48, 1
	s_or_b32 s48, s49, s48
	v_cvt_f32_u32_e32 v6, s48
	s_sub_i32 s47, 32, s47
	s_add_u32 s42, s42, 1
	s_addc_u32 s43, s43, 0
	v_ldexp_f32 v6, v6, s47
	v_cmp_eq_u64_e32 vcc, s[42:43], v[4:5]
	v_mul_f32_e32 v6, v2, v6
	s_or_b64 s[40:41], vcc, s[40:41]
	v_mov_b32_e32 v2, v3
	v_fma_f32 v3, v1, v3, -v6
	s_andn2_b64 exec, exec, s[40:41]
	s_cbranch_execnz .LBB67_43
; %bb.44:
	s_or_b64 exec, exec, s[40:41]
.LBB67_45:
	s_or_b64 exec, exec, s[38:39]
                                        ; implicit-def: $vgpr1
.LBB67_46:
	s_andn2_saveexec_b64 s[36:37], s[36:37]
	s_cbranch_execz .LBB67_48
; %bb.47:
	s_waitcnt vmcnt(0)
	v_mov_b32_e32 v3, v1
.LBB67_48:
	s_or_b64 exec, exec, s[36:37]
.LBB67_49:
	s_or_b64 exec, exec, s[34:35]
.LBB67_50:
	s_or_b64 exec, exec, s[30:31]
	v_add_u32_e32 v14, 0x80, v14
	global_store_dword v0, v3, s[0:1]
	s_or_b64 exec, exec, s[28:29]
	v_cmp_gt_i32_e32 vcc, s46, v14
	s_and_saveexec_b64 s[28:29], vcc
	s_cbranch_execz .LBB67_4
.LBB67_51:
	s_andn2_b64 vcc, exec, s[6:7]
	s_cbranch_vccnz .LBB67_58
; %bb.52:
	s_andn2_b64 vcc, exec, s[26:27]
	v_mov_b32_e32 v4, 0
	v_mov_b32_e32 v2, 0
	;; [unrolled: 1-line block ×3, first 2 shown]
	s_cbranch_vccnz .LBB67_57
; %bb.53:
	s_add_i32 s30, s45, 1
	s_and_b32 s34, s30, 30
	s_add_u32 s30, s4, 0xffffffec
	s_addc_u32 s31, s5, -1
	v_mov_b32_e32 v0, 0
	s_waitcnt vmcnt(1)
	v_mov_b32_e32 v1, v14
	v_mov_b32_e32 v2, 0
	;; [unrolled: 1-line block ×3, first 2 shown]
.LBB67_54:                              ; =>This Inner Loop Header: Depth=1
	s_mov_b64 s[48:49], s[30:31]
	s_load_dwordx4 s[36:39], s[48:49], 0x18
	s_load_dwordx2 s[50:51], s[48:49], 0x28
	s_load_dwordx2 s[52:53], s[48:49], 0xe8
	s_load_dwordx4 s[40:43], s[48:49], 0xd8
	s_add_u32 s30, s48, 24
	s_waitcnt lgkmcnt(0)
	v_mul_hi_u32 v3, s37, v1
	v_add_u32_e32 v3, v1, v3
	v_lshrrev_b32_e32 v3, s38, v3
	v_mul_lo_u32 v5, v3, s36
	v_mul_hi_u32 v6, s50, v3
	v_sub_u32_e32 v1, v1, v5
	v_add_u32_e32 v5, v3, v6
	v_mul_lo_u32 v6, v1, s40
	v_mul_lo_u32 v7, v1, s41
	;; [unrolled: 1-line block ×3, first 2 shown]
	v_lshrrev_b32_e32 v1, s51, v5
	v_mul_lo_u32 v5, v1, s39
	v_sub_u32_e32 v3, v3, v5
	s_addc_u32 s31, s49, 0
	s_add_i32 s34, s34, -2
	v_mul_lo_u32 v5, v3, s43
	v_mul_lo_u32 v9, v3, s52
	;; [unrolled: 1-line block ×3, first 2 shown]
	s_cmp_eq_u32 s34, 0
	v_add3_u32 v0, v6, v0, v5
	v_add3_u32 v4, v8, v4, v3
	;; [unrolled: 1-line block ×3, first 2 shown]
	s_cbranch_scc0 .LBB67_54
; %bb.55:
	s_bitcmp1_b32 s45, 0
	s_cselect_b64 s[34:35], -1, 0
	s_and_b64 vcc, exec, s[34:35]
	s_cbranch_vccnz .LBB67_57
; %bb.56:
	s_load_dwordx2 s[34:35], s[30:31], 0x18
	s_load_dword s38, s[30:31], 0x20
	s_load_dword s39, s[30:31], 0xe0
	s_load_dwordx2 s[36:37], s[30:31], 0xd8
	s_waitcnt lgkmcnt(0)
	v_mul_hi_u32 v3, s35, v1
	v_add_u32_e32 v3, v1, v3
	v_lshrrev_b32_e32 v3, s38, v3
	v_mul_lo_u32 v3, v3, s34
	v_sub_u32_e32 v5, v1, v3
	v_mad_u64_u32 v[0:1], s[30:31], v5, s36, v[0:1]
	v_mad_u64_u32 v[2:3], s[30:31], v5, s37, v[2:3]
	;; [unrolled: 1-line block ×3, first 2 shown]
.LBB67_57:
	s_cbranch_execz .LBB67_59
	s_branch .LBB67_61
.LBB67_58:
                                        ; implicit-def: $vgpr4
                                        ; implicit-def: $vgpr2
                                        ; implicit-def: $vgpr0
.LBB67_59:
	s_waitcnt lgkmcnt(0)
	v_mul_hi_u32 v0, s13, v14
	v_add_u32_e32 v0, v14, v0
	s_waitcnt vmcnt(1)
	v_lshrrev_b32_e32 v1, s14, v0
	v_mul_lo_u32 v0, v1, s12
	v_sub_u32_e32 v2, v14, v0
	v_mul_lo_u32 v0, v2, s8
	v_mul_lo_u32 v4, v2, s10
	s_andn2_b64 vcc, exec, s[24:25]
	v_mul_lo_u32 v2, v2, s9
	s_cbranch_vccnz .LBB67_61
; %bb.60:
	v_mul_hi_u32 v3, s22, v1
	v_add_u32_e32 v3, v1, v3
	v_lshrrev_b32_e32 v3, s23, v3
	v_mul_lo_u32 v3, v3, s15
	v_sub_u32_e32 v5, v1, v3
	v_mad_u64_u32 v[0:1], s[30:31], v5, s11, v[0:1]
	v_mad_u64_u32 v[2:3], s[30:31], v5, s20, v[2:3]
	;; [unrolled: 1-line block ×3, first 2 shown]
.LBB67_61:
	s_waitcnt lgkmcnt(0)
	global_load_ushort v1, v4, s[18:19]
	s_mov_b32 s30, 0x2f800000
	s_mov_b32 s31, 0xcf800000
	s_waitcnt vmcnt(0)
	v_lshlrev_b32_e32 v1, 16, v1
	v_trunc_f32_e32 v1, v1
	v_mul_f32_e64 v3, |v1|, s30
	v_floor_f32_e32 v3, v3
	v_fma_f32 v4, v3, s31, |v1|
	v_cvt_u32_f32_e32 v4, v4
	v_cvt_u32_f32_e32 v3, v3
	v_ashrrev_i32_e32 v1, 31, v1
	v_xor_b32_e32 v4, v4, v1
	v_xor_b32_e32 v3, v3, v1
	v_sub_co_u32_e32 v4, vcc, v4, v1
	v_subb_co_u32_e32 v5, vcc, v3, v1, vcc
	v_cmp_lt_i64_e32 vcc, -1, v[4:5]
	v_mov_b32_e32 v3, 0
	s_and_saveexec_b64 s[30:31], vcc
	s_cbranch_execz .LBB67_73
; %bb.62:
	v_cmp_lt_i64_e32 vcc, 0, v[4:5]
	v_mov_b32_e32 v3, 1.0
	s_and_saveexec_b64 s[34:35], vcc
	s_cbranch_execz .LBB67_72
; %bb.63:
	global_load_dword v1, v2, s[2:3]
	v_cmp_ne_u64_e32 vcc, 1, v[4:5]
                                        ; implicit-def: $vgpr3
	s_and_saveexec_b64 s[36:37], vcc
	s_xor_b64 s[36:37], exec, s[36:37]
	s_cbranch_execz .LBB67_69
; %bb.64:
	s_mov_b64 s[38:39], 0x81
	v_cmp_gt_u64_e32 vcc, s[38:39], v[4:5]
	v_mov_b32_e32 v3, 0x7fc00000
	s_and_saveexec_b64 s[38:39], vcc
	s_cbranch_execz .LBB67_68
; %bb.65:
	s_mov_b64 s[42:43], 1
	s_mov_b64 s[40:41], 0
	v_mov_b32_e32 v2, 1.0
	s_waitcnt vmcnt(0)
	v_mov_b32_e32 v3, v1
.LBB67_66:                              ; =>This Inner Loop Header: Depth=1
	s_flbit_i32_b32 s47, s43
	s_min_u32 s47, s47, 32
	s_lshl_b64 s[48:49], s[42:43], s47
	s_min_u32 s48, s48, 1
	s_or_b32 s48, s49, s48
	v_cvt_f32_u32_e32 v6, s48
	s_sub_i32 s47, 32, s47
	s_add_u32 s42, s42, 1
	s_addc_u32 s43, s43, 0
	v_ldexp_f32 v6, v6, s47
	v_cmp_eq_u64_e32 vcc, s[42:43], v[4:5]
	v_mul_f32_e32 v6, v2, v6
	s_or_b64 s[40:41], vcc, s[40:41]
	v_mov_b32_e32 v2, v3
	v_fma_f32 v3, v1, v3, -v6
	s_andn2_b64 exec, exec, s[40:41]
	s_cbranch_execnz .LBB67_66
; %bb.67:
	s_or_b64 exec, exec, s[40:41]
.LBB67_68:
	s_or_b64 exec, exec, s[38:39]
                                        ; implicit-def: $vgpr1
.LBB67_69:
	s_andn2_saveexec_b64 s[36:37], s[36:37]
	s_cbranch_execz .LBB67_71
; %bb.70:
	s_waitcnt vmcnt(0)
	v_mov_b32_e32 v3, v1
.LBB67_71:
	s_or_b64 exec, exec, s[36:37]
.LBB67_72:
	s_or_b64 exec, exec, s[34:35]
.LBB67_73:
	s_or_b64 exec, exec, s[30:31]
	v_add_u32_e32 v14, 0x80, v14
	global_store_dword v0, v3, s[0:1]
	s_or_b64 exec, exec, s[28:29]
	v_cmp_gt_i32_e32 vcc, s46, v14
	s_and_saveexec_b64 s[28:29], vcc
	s_cbranch_execz .LBB67_97
.LBB67_74:
	s_andn2_b64 vcc, exec, s[6:7]
	s_cbranch_vccnz .LBB67_81
; %bb.75:
	s_andn2_b64 vcc, exec, s[26:27]
	v_mov_b32_e32 v4, 0
	v_mov_b32_e32 v2, 0
	;; [unrolled: 1-line block ×3, first 2 shown]
	s_cbranch_vccnz .LBB67_80
; %bb.76:
	s_add_i32 s26, s45, 1
	s_and_b32 s30, s26, 30
	s_add_u32 s26, s4, 0xffffffec
	s_addc_u32 s27, s5, -1
	v_mov_b32_e32 v0, 0
	s_waitcnt vmcnt(1)
	v_mov_b32_e32 v1, v14
	v_mov_b32_e32 v2, 0
	;; [unrolled: 1-line block ×3, first 2 shown]
.LBB67_77:                              ; =>This Inner Loop Header: Depth=1
	s_mov_b64 s[34:35], s[26:27]
	s_load_dwordx4 s[36:39], s[34:35], 0x18
	s_load_dwordx2 s[46:47], s[34:35], 0x28
	s_load_dwordx2 s[48:49], s[34:35], 0xe8
	s_load_dwordx4 s[40:43], s[34:35], 0xd8
	s_add_u32 s26, s34, 24
	s_waitcnt lgkmcnt(0)
	v_mul_hi_u32 v3, s37, v1
	v_add_u32_e32 v3, v1, v3
	v_lshrrev_b32_e32 v3, s38, v3
	v_mul_lo_u32 v5, v3, s36
	v_mul_hi_u32 v6, s46, v3
	v_sub_u32_e32 v1, v1, v5
	v_add_u32_e32 v5, v3, v6
	v_mul_lo_u32 v6, v1, s40
	v_mul_lo_u32 v7, v1, s41
	;; [unrolled: 1-line block ×3, first 2 shown]
	v_lshrrev_b32_e32 v1, s47, v5
	v_mul_lo_u32 v5, v1, s39
	v_sub_u32_e32 v3, v3, v5
	s_addc_u32 s27, s35, 0
	s_add_i32 s30, s30, -2
	v_mul_lo_u32 v5, v3, s43
	v_mul_lo_u32 v9, v3, s48
	;; [unrolled: 1-line block ×3, first 2 shown]
	s_cmp_eq_u32 s30, 0
	v_add3_u32 v0, v6, v0, v5
	v_add3_u32 v4, v8, v4, v3
	;; [unrolled: 1-line block ×3, first 2 shown]
	s_cbranch_scc0 .LBB67_77
; %bb.78:
	s_bitcmp1_b32 s45, 0
	s_cselect_b64 s[30:31], -1, 0
	s_and_b64 vcc, exec, s[30:31]
	s_cbranch_vccnz .LBB67_80
; %bb.79:
	s_load_dwordx2 s[30:31], s[26:27], 0x18
	s_load_dword s36, s[26:27], 0x20
	s_load_dword s37, s[26:27], 0xe0
	s_load_dwordx2 s[34:35], s[26:27], 0xd8
	s_waitcnt lgkmcnt(0)
	v_mul_hi_u32 v3, s31, v1
	v_add_u32_e32 v3, v1, v3
	v_lshrrev_b32_e32 v3, s36, v3
	v_mul_lo_u32 v3, v3, s30
	v_sub_u32_e32 v5, v1, v3
	v_mad_u64_u32 v[0:1], s[26:27], v5, s34, v[0:1]
	v_mad_u64_u32 v[2:3], s[26:27], v5, s35, v[2:3]
	;; [unrolled: 1-line block ×3, first 2 shown]
.LBB67_80:
	s_cbranch_execz .LBB67_82
	s_branch .LBB67_84
.LBB67_81:
                                        ; implicit-def: $vgpr4
                                        ; implicit-def: $vgpr2
                                        ; implicit-def: $vgpr0
.LBB67_82:
	s_waitcnt lgkmcnt(0)
	v_mul_hi_u32 v0, s13, v14
	v_add_u32_e32 v0, v14, v0
	s_waitcnt vmcnt(1)
	v_lshrrev_b32_e32 v1, s14, v0
	v_mul_lo_u32 v0, v1, s12
	v_sub_u32_e32 v2, v14, v0
	v_mul_lo_u32 v0, v2, s8
	v_mul_lo_u32 v4, v2, s10
	s_andn2_b64 vcc, exec, s[24:25]
	v_mul_lo_u32 v2, v2, s9
	s_cbranch_vccnz .LBB67_84
; %bb.83:
	v_mul_hi_u32 v3, s22, v1
	v_add_u32_e32 v3, v1, v3
	v_lshrrev_b32_e32 v3, s23, v3
	v_mul_lo_u32 v3, v3, s15
	v_sub_u32_e32 v5, v1, v3
	v_mad_u64_u32 v[0:1], s[8:9], v5, s11, v[0:1]
	v_mad_u64_u32 v[2:3], s[8:9], v5, s20, v[2:3]
	;; [unrolled: 1-line block ×3, first 2 shown]
.LBB67_84:
	s_waitcnt lgkmcnt(0)
	global_load_ushort v1, v4, s[18:19]
	s_mov_b32 s8, 0x2f800000
	s_mov_b32 s9, 0xcf800000
	s_waitcnt vmcnt(0)
	v_lshlrev_b32_e32 v1, 16, v1
	v_trunc_f32_e32 v1, v1
	v_mul_f32_e64 v3, |v1|, s8
	v_floor_f32_e32 v3, v3
	v_fma_f32 v4, v3, s9, |v1|
	v_cvt_u32_f32_e32 v4, v4
	v_cvt_u32_f32_e32 v3, v3
	v_ashrrev_i32_e32 v1, 31, v1
	v_xor_b32_e32 v4, v4, v1
	v_xor_b32_e32 v3, v3, v1
	v_sub_co_u32_e32 v4, vcc, v4, v1
	v_subb_co_u32_e32 v5, vcc, v3, v1, vcc
	v_cmp_lt_i64_e32 vcc, -1, v[4:5]
	v_mov_b32_e32 v3, 0
	s_and_saveexec_b64 s[8:9], vcc
	s_cbranch_execz .LBB67_96
; %bb.85:
	v_cmp_lt_i64_e32 vcc, 0, v[4:5]
	v_mov_b32_e32 v3, 1.0
	s_and_saveexec_b64 s[10:11], vcc
	s_cbranch_execz .LBB67_95
; %bb.86:
	global_load_dword v1, v2, s[2:3]
	v_cmp_ne_u64_e32 vcc, 1, v[4:5]
                                        ; implicit-def: $vgpr3
	s_and_saveexec_b64 s[2:3], vcc
	s_xor_b64 s[2:3], exec, s[2:3]
	s_cbranch_execz .LBB67_92
; %bb.87:
	s_mov_b64 s[12:13], 0x81
	v_cmp_gt_u64_e32 vcc, s[12:13], v[4:5]
	v_mov_b32_e32 v3, 0x7fc00000
	s_and_saveexec_b64 s[12:13], vcc
	s_cbranch_execz .LBB67_91
; %bb.88:
	s_mov_b64 s[18:19], 1
	s_mov_b64 s[14:15], 0
	v_mov_b32_e32 v2, 1.0
	s_waitcnt vmcnt(0)
	v_mov_b32_e32 v3, v1
.LBB67_89:                              ; =>This Inner Loop Header: Depth=1
	s_flbit_i32_b32 s20, s19
	s_min_u32 s22, s20, 32
	s_lshl_b64 s[20:21], s[18:19], s22
	s_min_u32 s20, s20, 1
	s_or_b32 s20, s21, s20
	v_cvt_f32_u32_e32 v6, s20
	s_sub_i32 s22, 32, s22
	s_add_u32 s18, s18, 1
	s_addc_u32 s19, s19, 0
	v_ldexp_f32 v6, v6, s22
	v_cmp_eq_u64_e32 vcc, s[18:19], v[4:5]
	v_mul_f32_e32 v6, v2, v6
	s_or_b64 s[14:15], vcc, s[14:15]
	v_mov_b32_e32 v2, v3
	v_fma_f32 v3, v1, v3, -v6
	s_andn2_b64 exec, exec, s[14:15]
	s_cbranch_execnz .LBB67_89
; %bb.90:
	s_or_b64 exec, exec, s[14:15]
.LBB67_91:
	s_or_b64 exec, exec, s[12:13]
                                        ; implicit-def: $vgpr1
.LBB67_92:
	s_andn2_saveexec_b64 s[2:3], s[2:3]
	s_cbranch_execz .LBB67_94
; %bb.93:
	s_waitcnt vmcnt(0)
	v_mov_b32_e32 v3, v1
.LBB67_94:
	s_or_b64 exec, exec, s[2:3]
.LBB67_95:
	s_or_b64 exec, exec, s[10:11]
.LBB67_96:
	s_or_b64 exec, exec, s[8:9]
	global_store_dword v0, v3, s[0:1]
.LBB67_97:
	s_or_b64 exec, exec, s[28:29]
                                        ; implicit-def: $vgpr24
                                        ; implicit-def: $vgpr14
.LBB67_98:
	s_waitcnt lgkmcnt(0)
	s_andn2_saveexec_b64 s[0:1], s[16:17]
	s_cbranch_execz .LBB67_105
; %bb.99:
	v_cndmask_b32_e64 v0, 0, 1, s[6:7]
	v_cmp_ne_u32_e64 s[0:1], 1, v0
	s_andn2_b64 vcc, exec, s[6:7]
	s_cbranch_vccnz .LBB67_106
; %bb.100:
	s_cmp_lg_u32 s33, 0
	v_mov_b32_e32 v8, 0
	v_mov_b32_e32 v6, 0
	;; [unrolled: 1-line block ×3, first 2 shown]
	s_cbranch_scc0 .LBB67_107
; %bb.101:
	s_min_u32 s6, s44, 15
	s_add_i32 s2, s6, 1
	s_and_b32 s7, s2, 30
	s_add_u32 s2, s4, 0xffffffec
	s_addc_u32 s3, s5, -1
	v_mov_b32_e32 v0, 0
	s_waitcnt vmcnt(1)
	v_mov_b32_e32 v1, v14
	v_mov_b32_e32 v6, 0
	;; [unrolled: 1-line block ×3, first 2 shown]
.LBB67_102:                             ; =>This Inner Loop Header: Depth=1
	s_mov_b64 s[16:17], s[2:3]
	s_load_dwordx4 s[8:11], s[16:17], 0x18
	s_load_dwordx2 s[18:19], s[16:17], 0x28
	s_load_dwordx2 s[20:21], s[16:17], 0xe8
	s_load_dwordx4 s[12:15], s[16:17], 0xd8
	s_add_u32 s2, s16, 24
	s_waitcnt lgkmcnt(0)
	v_mul_hi_u32 v2, s9, v1
	v_add_u32_e32 v2, v1, v2
	v_lshrrev_b32_e32 v2, s10, v2
	v_mul_lo_u32 v3, v2, s8
	v_mul_hi_u32 v4, s18, v2
	v_sub_u32_e32 v1, v1, v3
	v_add_u32_e32 v3, v2, v4
	v_mul_lo_u32 v4, v1, s12
	v_mul_lo_u32 v5, v1, s13
	;; [unrolled: 1-line block ×3, first 2 shown]
	v_lshrrev_b32_e32 v1, s19, v3
	v_mul_lo_u32 v3, v1, s11
	v_sub_u32_e32 v2, v2, v3
	s_addc_u32 s3, s17, 0
	s_add_i32 s7, s7, -2
	v_mul_lo_u32 v3, v2, s15
	v_mul_lo_u32 v9, v2, s20
	;; [unrolled: 1-line block ×3, first 2 shown]
	s_cmp_lg_u32 s7, 0
	v_add3_u32 v0, v4, v0, v3
	v_add3_u32 v8, v7, v8, v2
	;; [unrolled: 1-line block ×3, first 2 shown]
	s_cbranch_scc1 .LBB67_102
; %bb.103:
	s_bitcmp1_b32 s6, 0
	s_cselect_b64 s[6:7], -1, 0
	s_and_b64 vcc, exec, s[6:7]
	s_cbranch_vccnz .LBB67_107
; %bb.104:
	s_load_dwordx2 s[6:7], s[2:3], 0x18
	s_load_dword s10, s[2:3], 0x20
	s_load_dword s11, s[2:3], 0xe0
	s_load_dwordx2 s[8:9], s[2:3], 0xd8
	s_waitcnt lgkmcnt(0)
	v_mul_hi_u32 v2, s7, v1
	v_add_u32_e32 v2, v1, v2
	v_lshrrev_b32_e32 v2, s10, v2
	v_mul_lo_u32 v2, v2, s6
	v_sub_u32_e32 v2, v1, v2
	v_mad_u64_u32 v[0:1], s[2:3], v2, s8, v[0:1]
	v_mad_u64_u32 v[6:7], s[2:3], v2, s9, v[6:7]
	;; [unrolled: 1-line block ×3, first 2 shown]
	s_cbranch_execz .LBB67_108
	s_branch .LBB67_110
.LBB67_105:
	s_endpgm
.LBB67_106:
                                        ; implicit-def: $vgpr8
                                        ; implicit-def: $vgpr6
                                        ; implicit-def: $vgpr0
	s_branch .LBB67_108
.LBB67_107:
	s_cbranch_execnz .LBB67_110
.LBB67_108:
	s_load_dwordx4 s[8:11], s[4:5], 0x4
	s_load_dwordx4 s[12:15], s[4:5], 0xc4
	s_cmp_lt_u32 s33, 2
	s_waitcnt lgkmcnt(0)
	v_mul_hi_u32 v0, s9, v14
	v_add_u32_e32 v0, v14, v0
	s_waitcnt vmcnt(1)
	v_lshrrev_b32_e32 v1, s10, v0
	v_mul_lo_u32 v0, v1, s8
	v_sub_u32_e32 v2, v14, v0
	v_mul_lo_u32 v0, v2, s12
	v_mul_lo_u32 v8, v2, s14
	;; [unrolled: 1-line block ×3, first 2 shown]
	s_cbranch_scc1 .LBB67_110
; %bb.109:
	s_load_dwordx4 s[8:11], s[4:5], 0x10
	s_load_dwordx4 s[12:15], s[4:5], 0xd0
	s_waitcnt lgkmcnt(0)
	v_mul_hi_u32 v2, s9, v1
	v_add_u32_e32 v2, v1, v2
	v_lshrrev_b32_e32 v2, s10, v2
	v_mul_lo_u32 v2, v2, s8
	v_sub_u32_e32 v2, v1, v2
	v_mad_u64_u32 v[0:1], s[2:3], v2, s12, v[0:1]
	v_mad_u64_u32 v[6:7], s[2:3], v2, s13, v[6:7]
	;; [unrolled: 1-line block ×3, first 2 shown]
.LBB67_110:
	s_and_b64 vcc, exec, s[0:1]
	s_waitcnt vmcnt(1)
	v_add_u32_e32 v1, 0x80, v14
	s_cbranch_vccnz .LBB67_116
; %bb.111:
	s_cmp_lg_u32 s33, 0
	v_mov_b32_e32 v12, 0
	v_mov_b32_e32 v10, 0
	;; [unrolled: 1-line block ×3, first 2 shown]
	s_cbranch_scc0 .LBB67_117
; %bb.112:
	s_min_u32 s6, s44, 15
	s_add_i32 s2, s6, 1
	s_and_b32 s7, s2, 30
	s_add_u32 s2, s4, 0xffffffec
	s_addc_u32 s3, s5, -1
	v_mov_b32_e32 v2, 0
	v_mov_b32_e32 v3, v1
	v_mov_b32_e32 v10, 0
	v_mov_b32_e32 v12, 0
.LBB67_113:                             ; =>This Inner Loop Header: Depth=1
	s_mov_b64 s[16:17], s[2:3]
	s_load_dwordx4 s[8:11], s[16:17], 0x18
	s_load_dwordx2 s[18:19], s[16:17], 0x28
	s_load_dwordx2 s[20:21], s[16:17], 0xe8
	s_load_dwordx4 s[12:15], s[16:17], 0xd8
	s_add_u32 s2, s16, 24
	s_waitcnt lgkmcnt(0)
	v_mul_hi_u32 v4, s9, v3
	v_add_u32_e32 v4, v3, v4
	v_lshrrev_b32_e32 v4, s10, v4
	v_mul_lo_u32 v5, v4, s8
	v_mul_hi_u32 v7, s18, v4
	v_sub_u32_e32 v3, v3, v5
	v_add_u32_e32 v5, v4, v7
	v_mul_lo_u32 v7, v3, s12
	v_mul_lo_u32 v9, v3, s13
	;; [unrolled: 1-line block ×3, first 2 shown]
	v_lshrrev_b32_e32 v3, s19, v5
	v_mul_lo_u32 v5, v3, s11
	v_sub_u32_e32 v4, v4, v5
	s_addc_u32 s3, s17, 0
	s_add_i32 s7, s7, -2
	v_mul_lo_u32 v5, v4, s15
	v_mul_lo_u32 v13, v4, s20
	;; [unrolled: 1-line block ×3, first 2 shown]
	s_cmp_lg_u32 s7, 0
	v_add3_u32 v2, v7, v2, v5
	v_add3_u32 v12, v11, v12, v4
	;; [unrolled: 1-line block ×3, first 2 shown]
	s_cbranch_scc1 .LBB67_113
; %bb.114:
	s_bitcmp1_b32 s6, 0
	s_cselect_b64 s[6:7], -1, 0
	s_and_b64 vcc, exec, s[6:7]
	s_cbranch_vccnz .LBB67_117
; %bb.115:
	s_load_dwordx2 s[6:7], s[2:3], 0x18
	s_load_dword s10, s[2:3], 0x20
	s_load_dword s11, s[2:3], 0xe0
	s_load_dwordx2 s[8:9], s[2:3], 0xd8
	s_waitcnt lgkmcnt(0)
	v_mul_hi_u32 v4, s7, v3
	v_add_u32_e32 v4, v3, v4
	v_lshrrev_b32_e32 v4, s10, v4
	v_mul_lo_u32 v4, v4, s6
	v_sub_u32_e32 v4, v3, v4
	v_mad_u64_u32 v[2:3], s[2:3], v4, s8, v[2:3]
	v_mad_u64_u32 v[10:11], s[2:3], v4, s9, v[10:11]
	;; [unrolled: 1-line block ×3, first 2 shown]
	s_cbranch_execz .LBB67_118
	s_branch .LBB67_120
.LBB67_116:
                                        ; implicit-def: $vgpr12
                                        ; implicit-def: $vgpr10
                                        ; implicit-def: $vgpr2
	s_branch .LBB67_118
.LBB67_117:
	s_cbranch_execnz .LBB67_120
.LBB67_118:
	s_load_dwordx4 s[8:11], s[4:5], 0x4
	s_load_dwordx4 s[12:15], s[4:5], 0xc4
	s_cmp_lt_u32 s33, 2
	s_waitcnt lgkmcnt(0)
	v_mul_hi_u32 v2, s9, v1
	v_add_u32_e32 v2, v1, v2
	v_lshrrev_b32_e32 v3, s10, v2
	v_mul_lo_u32 v2, v3, s8
	v_sub_u32_e32 v1, v1, v2
	v_mul_lo_u32 v2, v1, s12
	v_mul_lo_u32 v12, v1, s14
	;; [unrolled: 1-line block ×3, first 2 shown]
	s_cbranch_scc1 .LBB67_120
; %bb.119:
	s_load_dwordx4 s[8:11], s[4:5], 0x10
	s_load_dwordx4 s[12:15], s[4:5], 0xd0
	s_waitcnt lgkmcnt(0)
	v_mul_hi_u32 v1, s9, v3
	v_add_u32_e32 v1, v3, v1
	v_lshrrev_b32_e32 v1, s10, v1
	v_mul_lo_u32 v1, v1, s8
	v_sub_u32_e32 v1, v3, v1
	v_mad_u64_u32 v[2:3], s[2:3], v1, s12, v[2:3]
	v_mad_u64_u32 v[10:11], s[2:3], v1, s13, v[10:11]
	;; [unrolled: 1-line block ×3, first 2 shown]
.LBB67_120:
	s_and_b64 vcc, exec, s[0:1]
	v_add_u32_e32 v1, 0x100, v14
	s_cbranch_vccnz .LBB67_126
; %bb.121:
	s_cmp_lg_u32 s33, 0
	v_mov_b32_e32 v18, 0
	v_mov_b32_e32 v16, 0
	;; [unrolled: 1-line block ×3, first 2 shown]
	s_cbranch_scc0 .LBB67_127
; %bb.122:
	s_min_u32 s6, s44, 15
	s_add_i32 s2, s6, 1
	s_and_b32 s7, s2, 30
	s_add_u32 s2, s4, 0xffffffec
	s_addc_u32 s3, s5, -1
	v_mov_b32_e32 v4, 0
	v_mov_b32_e32 v3, v1
	;; [unrolled: 1-line block ×4, first 2 shown]
.LBB67_123:                             ; =>This Inner Loop Header: Depth=1
	s_mov_b64 s[16:17], s[2:3]
	s_load_dwordx4 s[8:11], s[16:17], 0x18
	s_load_dwordx2 s[18:19], s[16:17], 0x28
	s_load_dwordx2 s[20:21], s[16:17], 0xe8
	s_load_dwordx4 s[12:15], s[16:17], 0xd8
	s_add_u32 s2, s16, 24
	s_waitcnt lgkmcnt(0)
	v_mul_hi_u32 v5, s9, v3
	v_add_u32_e32 v5, v3, v5
	v_lshrrev_b32_e32 v5, s10, v5
	v_mul_lo_u32 v7, v5, s8
	v_mul_hi_u32 v9, s18, v5
	v_sub_u32_e32 v3, v3, v7
	v_add_u32_e32 v7, v5, v9
	v_mul_lo_u32 v9, v3, s12
	v_mul_lo_u32 v11, v3, s13
	;; [unrolled: 1-line block ×3, first 2 shown]
	v_lshrrev_b32_e32 v3, s19, v7
	v_mul_lo_u32 v7, v3, s11
	v_sub_u32_e32 v5, v5, v7
	s_addc_u32 s3, s17, 0
	s_add_i32 s7, s7, -2
	v_mul_lo_u32 v7, v5, s15
	v_mul_lo_u32 v14, v5, s20
	;; [unrolled: 1-line block ×3, first 2 shown]
	s_cmp_lg_u32 s7, 0
	v_add3_u32 v4, v9, v4, v7
	v_add3_u32 v18, v13, v18, v5
	;; [unrolled: 1-line block ×3, first 2 shown]
	s_cbranch_scc1 .LBB67_123
; %bb.124:
	s_bitcmp1_b32 s6, 0
	s_cselect_b64 s[6:7], -1, 0
	s_and_b64 vcc, exec, s[6:7]
	s_cbranch_vccnz .LBB67_127
; %bb.125:
	s_load_dwordx2 s[6:7], s[2:3], 0x18
	s_load_dword s10, s[2:3], 0x20
	s_load_dword s11, s[2:3], 0xe0
	s_load_dwordx2 s[8:9], s[2:3], 0xd8
	s_waitcnt lgkmcnt(0)
	v_mul_hi_u32 v5, s7, v3
	v_add_u32_e32 v5, v3, v5
	v_lshrrev_b32_e32 v5, s10, v5
	v_mul_lo_u32 v5, v5, s6
	v_sub_u32_e32 v3, v3, v5
	v_mad_u64_u32 v[4:5], s[2:3], v3, s8, v[4:5]
	v_mad_u64_u32 v[16:17], s[2:3], v3, s9, v[16:17]
	;; [unrolled: 1-line block ×3, first 2 shown]
	s_cbranch_execz .LBB67_128
	s_branch .LBB67_130
.LBB67_126:
                                        ; implicit-def: $vgpr18
                                        ; implicit-def: $vgpr16
                                        ; implicit-def: $vgpr4
	s_branch .LBB67_128
.LBB67_127:
	s_cbranch_execnz .LBB67_130
.LBB67_128:
	s_load_dwordx4 s[8:11], s[4:5], 0x4
	s_load_dwordx4 s[12:15], s[4:5], 0xc4
	s_cmp_lt_u32 s33, 2
	s_waitcnt lgkmcnt(0)
	v_mul_hi_u32 v3, s9, v1
	v_add_u32_e32 v3, v1, v3
	v_lshrrev_b32_e32 v3, s10, v3
	v_mul_lo_u32 v4, v3, s8
	v_sub_u32_e32 v1, v1, v4
	v_mul_lo_u32 v4, v1, s12
	v_mul_lo_u32 v18, v1, s14
	;; [unrolled: 1-line block ×3, first 2 shown]
	s_cbranch_scc1 .LBB67_130
; %bb.129:
	s_load_dwordx4 s[8:11], s[4:5], 0x10
	s_load_dwordx4 s[12:15], s[4:5], 0xd0
	s_waitcnt lgkmcnt(0)
	v_mul_hi_u32 v1, s9, v3
	v_add_u32_e32 v1, v3, v1
	v_lshrrev_b32_e32 v1, s10, v1
	v_mul_lo_u32 v1, v1, s8
	v_sub_u32_e32 v1, v3, v1
	v_mad_u64_u32 v[4:5], s[2:3], v1, s12, v[4:5]
	v_mad_u64_u32 v[16:17], s[2:3], v1, s13, v[16:17]
	;; [unrolled: 1-line block ×3, first 2 shown]
.LBB67_130:
	s_and_b64 vcc, exec, s[0:1]
	s_cbranch_vccnz .LBB67_136
; %bb.131:
	s_cmp_lg_u32 s33, 0
	v_mov_b32_e32 v22, 0
	v_mov_b32_e32 v20, 0
	;; [unrolled: 1-line block ×3, first 2 shown]
	s_cbranch_scc0 .LBB67_137
; %bb.132:
	s_min_u32 s2, s44, 15
	s_add_i32 s0, s2, 1
	s_and_b32 s3, s0, 30
	s_add_u32 s0, s4, 0xffffffec
	s_addc_u32 s1, s5, -1
	v_mov_b32_e32 v14, 0
	v_mov_b32_e32 v1, v24
	;; [unrolled: 1-line block ×4, first 2 shown]
.LBB67_133:                             ; =>This Inner Loop Header: Depth=1
	s_mov_b64 s[6:7], s[0:1]
	s_load_dwordx4 s[8:11], s[6:7], 0x18
	s_load_dwordx2 s[16:17], s[6:7], 0x28
	s_load_dwordx2 s[18:19], s[6:7], 0xe8
	s_load_dwordx4 s[12:15], s[6:7], 0xd8
	s_add_u32 s0, s6, 24
	s_waitcnt lgkmcnt(0)
	v_mul_hi_u32 v3, s9, v1
	v_add_u32_e32 v3, v1, v3
	v_lshrrev_b32_e32 v3, s10, v3
	v_mul_lo_u32 v5, v3, s8
	v_mul_hi_u32 v7, s16, v3
	v_sub_u32_e32 v1, v1, v5
	v_add_u32_e32 v5, v3, v7
	v_mul_lo_u32 v7, v1, s12
	v_mul_lo_u32 v9, v1, s13
	;; [unrolled: 1-line block ×3, first 2 shown]
	v_lshrrev_b32_e32 v1, s17, v5
	v_mul_lo_u32 v5, v1, s11
	v_sub_u32_e32 v3, v3, v5
	s_addc_u32 s1, s7, 0
	s_add_i32 s3, s3, -2
	v_mul_lo_u32 v5, v3, s15
	v_mul_lo_u32 v13, v3, s18
	;; [unrolled: 1-line block ×3, first 2 shown]
	s_cmp_lg_u32 s3, 0
	v_add3_u32 v14, v7, v14, v5
	v_add3_u32 v22, v11, v22, v3
	;; [unrolled: 1-line block ×3, first 2 shown]
	s_cbranch_scc1 .LBB67_133
; %bb.134:
	s_bitcmp1_b32 s2, 0
	s_cselect_b64 s[2:3], -1, 0
	s_and_b64 vcc, exec, s[2:3]
	s_cbranch_vccnz .LBB67_137
; %bb.135:
	s_load_dwordx2 s[2:3], s[0:1], 0x18
	s_load_dword s8, s[0:1], 0x20
	s_load_dword s9, s[0:1], 0xe0
	s_load_dwordx2 s[6:7], s[0:1], 0xd8
	s_waitcnt lgkmcnt(0)
	v_mul_hi_u32 v3, s3, v1
	v_add_u32_e32 v3, v1, v3
	v_lshrrev_b32_e32 v3, s8, v3
	v_mul_lo_u32 v3, v3, s2
	v_sub_u32_e32 v1, v1, v3
	v_mad_u64_u32 v[14:15], s[0:1], v1, s6, v[14:15]
	v_mad_u64_u32 v[20:21], s[0:1], v1, s7, v[20:21]
	v_mad_u64_u32 v[22:23], s[0:1], v1, s9, v[22:23]
	s_cbranch_execz .LBB67_138
	s_branch .LBB67_140
.LBB67_136:
                                        ; implicit-def: $vgpr22
                                        ; implicit-def: $vgpr20
                                        ; implicit-def: $vgpr14
	s_branch .LBB67_138
.LBB67_137:
	s_cbranch_execnz .LBB67_140
.LBB67_138:
	s_load_dwordx4 s[0:3], s[4:5], 0x4
	s_load_dwordx4 s[8:11], s[4:5], 0xc4
	s_cmp_lt_u32 s33, 2
	s_waitcnt lgkmcnt(0)
	v_mul_hi_u32 v1, s1, v24
	v_add_u32_e32 v1, v24, v1
	v_lshrrev_b32_e32 v1, s2, v1
	v_mul_lo_u32 v3, v1, s0
	v_sub_u32_e32 v3, v24, v3
	v_mul_lo_u32 v14, v3, s8
	v_mul_lo_u32 v22, v3, s10
	;; [unrolled: 1-line block ×3, first 2 shown]
	s_cbranch_scc1 .LBB67_140
; %bb.139:
	s_load_dwordx4 s[0:3], s[4:5], 0x10
	s_load_dwordx4 s[8:11], s[4:5], 0xd0
	s_waitcnt lgkmcnt(0)
	v_mul_hi_u32 v3, s1, v1
	v_add_u32_e32 v3, v1, v3
	v_lshrrev_b32_e32 v3, s2, v3
	v_mul_lo_u32 v3, v3, s0
	v_sub_u32_e32 v1, v1, v3
	v_mad_u64_u32 v[14:15], s[0:1], v1, s8, v[14:15]
	v_mad_u64_u32 v[20:21], s[0:1], v1, s9, v[20:21]
	v_mad_u64_u32 v[22:23], s[0:1], v1, s10, v[22:23]
.LBB67_140:
	s_load_dwordx2 s[6:7], s[4:5], 0x198
	s_mov_b32 s0, 0x2f800000
	s_mov_b32 s1, 0xcf800000
	s_waitcnt lgkmcnt(0)
	global_load_ushort v1, v8, s[6:7]
	s_waitcnt vmcnt(0)
	v_lshlrev_b32_e32 v1, 16, v1
	v_trunc_f32_e32 v1, v1
	v_mul_f32_e64 v3, |v1|, s0
	v_floor_f32_e32 v3, v3
	v_fma_f32 v5, v3, s1, |v1|
	v_cvt_u32_f32_e32 v5, v5
	v_cvt_u32_f32_e32 v3, v3
	s_load_dwordx4 s[0:3], s[4:5], 0x188
	v_ashrrev_i32_e32 v1, 31, v1
	v_xor_b32_e32 v5, v5, v1
	v_xor_b32_e32 v3, v3, v1
	v_sub_co_u32_e32 v8, vcc, v5, v1
	v_subb_co_u32_e32 v9, vcc, v3, v1, vcc
	v_cmp_lt_i64_e32 vcc, -1, v[8:9]
	v_mov_b32_e32 v1, 0
	s_and_saveexec_b64 s[4:5], vcc
	s_cbranch_execz .LBB67_152
; %bb.141:
	v_cmp_lt_i64_e32 vcc, 0, v[8:9]
	v_mov_b32_e32 v1, 1.0
	s_and_saveexec_b64 s[8:9], vcc
	s_cbranch_execz .LBB67_151
; %bb.142:
	s_waitcnt lgkmcnt(0)
	global_load_dword v3, v6, s[2:3]
	v_cmp_ne_u64_e32 vcc, 1, v[8:9]
                                        ; implicit-def: $vgpr1
	s_and_saveexec_b64 s[10:11], vcc
	s_xor_b64 s[10:11], exec, s[10:11]
	s_cbranch_execz .LBB67_148
; %bb.143:
	s_mov_b64 s[12:13], 0x81
	v_cmp_gt_u64_e32 vcc, s[12:13], v[8:9]
	v_mov_b32_e32 v1, 0x7fc00000
	s_and_saveexec_b64 s[12:13], vcc
	s_cbranch_execz .LBB67_147
; %bb.144:
	s_mov_b64 s[16:17], 1
	s_mov_b64 s[14:15], 0
	v_mov_b32_e32 v5, 1.0
	s_waitcnt vmcnt(0)
	v_mov_b32_e32 v1, v3
.LBB67_145:                             ; =>This Inner Loop Header: Depth=1
	s_flbit_i32_b32 s18, s17
	s_min_u32 s20, s18, 32
	s_lshl_b64 s[18:19], s[16:17], s20
	s_min_u32 s18, s18, 1
	s_or_b32 s18, s19, s18
	v_cvt_f32_u32_e32 v6, s18
	s_sub_i32 s20, 32, s20
	s_add_u32 s16, s16, 1
	s_addc_u32 s17, s17, 0
	v_ldexp_f32 v6, v6, s20
	v_cmp_eq_u64_e32 vcc, s[16:17], v[8:9]
	v_mul_f32_e32 v6, v5, v6
	s_or_b64 s[14:15], vcc, s[14:15]
	v_mov_b32_e32 v5, v1
	v_fma_f32 v1, v3, v1, -v6
	s_andn2_b64 exec, exec, s[14:15]
	s_cbranch_execnz .LBB67_145
; %bb.146:
	s_or_b64 exec, exec, s[14:15]
.LBB67_147:
	s_or_b64 exec, exec, s[12:13]
                                        ; implicit-def: $vgpr3
.LBB67_148:
	s_andn2_saveexec_b64 s[10:11], s[10:11]
	s_cbranch_execz .LBB67_150
; %bb.149:
	s_waitcnt vmcnt(0)
	v_mov_b32_e32 v1, v3
.LBB67_150:
	s_or_b64 exec, exec, s[10:11]
.LBB67_151:
	s_or_b64 exec, exec, s[8:9]
.LBB67_152:
	s_or_b64 exec, exec, s[4:5]
	global_load_ushort v3, v12, s[6:7]
	s_mov_b32 s4, 0x2f800000
	s_mov_b32 s5, 0xcf800000
	s_waitcnt vmcnt(0)
	v_lshlrev_b32_e32 v3, 16, v3
	v_trunc_f32_e32 v3, v3
	v_mul_f32_e64 v5, |v3|, s4
	v_floor_f32_e32 v5, v5
	v_fma_f32 v6, v5, s5, |v3|
	v_cvt_u32_f32_e32 v6, v6
	v_cvt_u32_f32_e32 v5, v5
	v_ashrrev_i32_e32 v3, 31, v3
	v_xor_b32_e32 v6, v6, v3
	v_xor_b32_e32 v5, v5, v3
	v_sub_co_u32_e32 v6, vcc, v6, v3
	v_subb_co_u32_e32 v7, vcc, v5, v3, vcc
	v_cmp_lt_i64_e32 vcc, -1, v[6:7]
	v_mov_b32_e32 v3, 0
	s_and_saveexec_b64 s[4:5], vcc
	s_cbranch_execz .LBB67_164
; %bb.153:
	v_cmp_lt_i64_e32 vcc, 0, v[6:7]
	v_mov_b32_e32 v3, 1.0
	s_and_saveexec_b64 s[8:9], vcc
	s_cbranch_execz .LBB67_163
; %bb.154:
	s_waitcnt lgkmcnt(0)
	global_load_dword v5, v10, s[2:3]
	v_cmp_ne_u64_e32 vcc, 1, v[6:7]
                                        ; implicit-def: $vgpr3
	s_and_saveexec_b64 s[10:11], vcc
	s_xor_b64 s[10:11], exec, s[10:11]
	s_cbranch_execz .LBB67_160
; %bb.155:
	s_mov_b64 s[12:13], 0x81
	v_cmp_gt_u64_e32 vcc, s[12:13], v[6:7]
	v_mov_b32_e32 v3, 0x7fc00000
	s_and_saveexec_b64 s[12:13], vcc
	s_cbranch_execz .LBB67_159
; %bb.156:
	s_mov_b64 s[16:17], 1
	s_mov_b64 s[14:15], 0
	v_mov_b32_e32 v8, 1.0
	s_waitcnt vmcnt(0)
	v_mov_b32_e32 v3, v5
.LBB67_157:                             ; =>This Inner Loop Header: Depth=1
	s_flbit_i32_b32 s18, s17
	s_min_u32 s20, s18, 32
	s_lshl_b64 s[18:19], s[16:17], s20
	s_min_u32 s18, s18, 1
	s_or_b32 s18, s19, s18
	v_cvt_f32_u32_e32 v9, s18
	s_sub_i32 s20, 32, s20
	s_add_u32 s16, s16, 1
	s_addc_u32 s17, s17, 0
	v_ldexp_f32 v9, v9, s20
	v_cmp_eq_u64_e32 vcc, s[16:17], v[6:7]
	v_mul_f32_e32 v9, v8, v9
	s_or_b64 s[14:15], vcc, s[14:15]
	v_mov_b32_e32 v8, v3
	v_fma_f32 v3, v5, v3, -v9
	s_andn2_b64 exec, exec, s[14:15]
	s_cbranch_execnz .LBB67_157
; %bb.158:
	s_or_b64 exec, exec, s[14:15]
.LBB67_159:
	s_or_b64 exec, exec, s[12:13]
                                        ; implicit-def: $vgpr5
.LBB67_160:
	s_andn2_saveexec_b64 s[10:11], s[10:11]
	s_cbranch_execz .LBB67_162
; %bb.161:
	s_waitcnt vmcnt(0)
	v_mov_b32_e32 v3, v5
.LBB67_162:
	s_or_b64 exec, exec, s[10:11]
.LBB67_163:
	s_or_b64 exec, exec, s[8:9]
.LBB67_164:
	s_or_b64 exec, exec, s[4:5]
	global_load_ushort v5, v18, s[6:7]
	s_mov_b32 s4, 0x2f800000
	s_mov_b32 s5, 0xcf800000
	s_waitcnt vmcnt(0)
	v_lshlrev_b32_e32 v5, 16, v5
	v_trunc_f32_e32 v5, v5
	v_mul_f32_e64 v6, |v5|, s4
	v_floor_f32_e32 v6, v6
	v_fma_f32 v7, v6, s5, |v5|
	v_cvt_u32_f32_e32 v6, v6
	v_cvt_u32_f32_e32 v7, v7
	v_ashrrev_i32_e32 v5, 31, v5
	v_xor_b32_e32 v8, v6, v5
	v_xor_b32_e32 v6, v7, v5
	v_sub_co_u32_e32 v6, vcc, v6, v5
	v_subb_co_u32_e32 v7, vcc, v8, v5, vcc
	v_cmp_lt_i64_e32 vcc, -1, v[6:7]
	v_mov_b32_e32 v5, 0
	s_and_saveexec_b64 s[4:5], vcc
	s_cbranch_execz .LBB67_176
; %bb.165:
	v_cmp_lt_i64_e32 vcc, 0, v[6:7]
	v_mov_b32_e32 v5, 1.0
	s_and_saveexec_b64 s[8:9], vcc
	s_cbranch_execz .LBB67_175
; %bb.166:
	s_waitcnt lgkmcnt(0)
	global_load_dword v8, v16, s[2:3]
	v_cmp_ne_u64_e32 vcc, 1, v[6:7]
                                        ; implicit-def: $vgpr5
	s_and_saveexec_b64 s[10:11], vcc
	s_xor_b64 s[10:11], exec, s[10:11]
	s_cbranch_execz .LBB67_172
; %bb.167:
	s_mov_b64 s[12:13], 0x81
	v_cmp_gt_u64_e32 vcc, s[12:13], v[6:7]
	v_mov_b32_e32 v5, 0x7fc00000
	s_and_saveexec_b64 s[12:13], vcc
	s_cbranch_execz .LBB67_171
; %bb.168:
	s_mov_b64 s[16:17], 1
	s_mov_b64 s[14:15], 0
	v_mov_b32_e32 v9, 1.0
	s_waitcnt vmcnt(0)
	v_mov_b32_e32 v5, v8
.LBB67_169:                             ; =>This Inner Loop Header: Depth=1
	s_flbit_i32_b32 s18, s17
	s_min_u32 s20, s18, 32
	s_lshl_b64 s[18:19], s[16:17], s20
	s_min_u32 s18, s18, 1
	s_or_b32 s18, s19, s18
	v_cvt_f32_u32_e32 v10, s18
	s_sub_i32 s20, 32, s20
	s_add_u32 s16, s16, 1
	s_addc_u32 s17, s17, 0
	v_ldexp_f32 v10, v10, s20
	v_cmp_eq_u64_e32 vcc, s[16:17], v[6:7]
	v_mul_f32_e32 v10, v9, v10
	s_or_b64 s[14:15], vcc, s[14:15]
	v_mov_b32_e32 v9, v5
	v_fma_f32 v5, v8, v5, -v10
	s_andn2_b64 exec, exec, s[14:15]
	s_cbranch_execnz .LBB67_169
; %bb.170:
	s_or_b64 exec, exec, s[14:15]
.LBB67_171:
	s_or_b64 exec, exec, s[12:13]
                                        ; implicit-def: $vgpr8
.LBB67_172:
	s_andn2_saveexec_b64 s[10:11], s[10:11]
	s_cbranch_execz .LBB67_174
; %bb.173:
	s_waitcnt vmcnt(0)
	v_mov_b32_e32 v5, v8
.LBB67_174:
	s_or_b64 exec, exec, s[10:11]
.LBB67_175:
	s_or_b64 exec, exec, s[8:9]
.LBB67_176:
	s_or_b64 exec, exec, s[4:5]
	global_load_ushort v6, v22, s[6:7]
	s_mov_b32 s4, 0x2f800000
	s_mov_b32 s5, 0xcf800000
	s_waitcnt vmcnt(0)
	v_lshlrev_b32_e32 v6, 16, v6
	v_trunc_f32_e32 v6, v6
	v_mul_f32_e64 v7, |v6|, s4
	v_floor_f32_e32 v7, v7
	v_fma_f32 v8, v7, s5, |v6|
	v_cvt_u32_f32_e32 v8, v8
	v_cvt_u32_f32_e32 v7, v7
	v_ashrrev_i32_e32 v9, 31, v6
	v_xor_b32_e32 v6, v8, v9
	v_xor_b32_e32 v7, v7, v9
	v_sub_co_u32_e32 v6, vcc, v6, v9
	v_subb_co_u32_e32 v7, vcc, v7, v9, vcc
	v_cmp_lt_i64_e32 vcc, -1, v[6:7]
	v_mov_b32_e32 v8, 0
	s_and_saveexec_b64 s[4:5], vcc
	s_cbranch_execz .LBB67_188
; %bb.177:
	v_cmp_lt_i64_e32 vcc, 0, v[6:7]
	v_mov_b32_e32 v8, 1.0
	s_and_saveexec_b64 s[6:7], vcc
	s_cbranch_execz .LBB67_187
; %bb.178:
	s_waitcnt lgkmcnt(0)
	global_load_dword v9, v20, s[2:3]
	v_cmp_ne_u64_e32 vcc, 1, v[6:7]
                                        ; implicit-def: $vgpr8
	s_and_saveexec_b64 s[2:3], vcc
	s_xor_b64 s[2:3], exec, s[2:3]
	s_cbranch_execz .LBB67_184
; %bb.179:
	s_mov_b64 s[8:9], 0x81
	v_cmp_gt_u64_e32 vcc, s[8:9], v[6:7]
	v_mov_b32_e32 v8, 0x7fc00000
	s_and_saveexec_b64 s[8:9], vcc
	s_cbranch_execz .LBB67_183
; %bb.180:
	s_mov_b64 s[12:13], 1
	s_mov_b64 s[10:11], 0
	v_mov_b32_e32 v10, 1.0
	s_waitcnt vmcnt(0)
	v_mov_b32_e32 v8, v9
.LBB67_181:                             ; =>This Inner Loop Header: Depth=1
	s_flbit_i32_b32 s14, s13
	s_min_u32 s16, s14, 32
	s_lshl_b64 s[14:15], s[12:13], s16
	s_min_u32 s14, s14, 1
	s_or_b32 s14, s15, s14
	v_cvt_f32_u32_e32 v11, s14
	s_sub_i32 s16, 32, s16
	s_add_u32 s12, s12, 1
	s_addc_u32 s13, s13, 0
	v_ldexp_f32 v11, v11, s16
	v_cmp_eq_u64_e32 vcc, s[12:13], v[6:7]
	v_mul_f32_e32 v11, v10, v11
	s_or_b64 s[10:11], vcc, s[10:11]
	v_mov_b32_e32 v10, v8
	v_fma_f32 v8, v9, v8, -v11
	s_andn2_b64 exec, exec, s[10:11]
	s_cbranch_execnz .LBB67_181
; %bb.182:
	s_or_b64 exec, exec, s[10:11]
.LBB67_183:
	s_or_b64 exec, exec, s[8:9]
                                        ; implicit-def: $vgpr9
.LBB67_184:
	s_andn2_saveexec_b64 s[2:3], s[2:3]
	s_cbranch_execz .LBB67_186
; %bb.185:
	s_waitcnt vmcnt(0)
	v_mov_b32_e32 v8, v9
.LBB67_186:
	s_or_b64 exec, exec, s[2:3]
.LBB67_187:
	s_or_b64 exec, exec, s[6:7]
.LBB67_188:
	s_or_b64 exec, exec, s[4:5]
	s_waitcnt lgkmcnt(0)
	global_store_dword v0, v1, s[0:1]
	global_store_dword v2, v3, s[0:1]
	;; [unrolled: 1-line block ×4, first 2 shown]
	s_endpgm
	.section	.rodata,"a",@progbits
	.p2align	6, 0x0
	.amdhsa_kernel _ZN2at6native32elementwise_kernel_manual_unrollILi128ELi4EZNS0_12_GLOBAL__N_142type_specialized_broadcast_kernel_launcherILi0EE5applyINS0_13BinaryFunctorIfffZZZNS2_33hermite_polynomial_he_kernel_cudaERNS_18TensorIteratorBaseEENKUlvE_clEvENKUlvE0_clEvEUlffE_EESt5arrayIPcLm3EESD_IN3c1010ScalarTypeELm3EE16OffsetCalculatorILi3EjLb0EEEEvlT_T0_T1_T2_EUlibE_EEviSN_
		.amdhsa_group_segment_fixed_size 0
		.amdhsa_private_segment_fixed_size 0
		.amdhsa_kernarg_size 432
		.amdhsa_user_sgpr_count 6
		.amdhsa_user_sgpr_private_segment_buffer 1
		.amdhsa_user_sgpr_dispatch_ptr 0
		.amdhsa_user_sgpr_queue_ptr 0
		.amdhsa_user_sgpr_kernarg_segment_ptr 1
		.amdhsa_user_sgpr_dispatch_id 0
		.amdhsa_user_sgpr_flat_scratch_init 0
		.amdhsa_user_sgpr_kernarg_preload_length 0
		.amdhsa_user_sgpr_kernarg_preload_offset 0
		.amdhsa_user_sgpr_private_segment_size 0
		.amdhsa_uses_dynamic_stack 0
		.amdhsa_system_sgpr_private_segment_wavefront_offset 0
		.amdhsa_system_sgpr_workgroup_id_x 1
		.amdhsa_system_sgpr_workgroup_id_y 0
		.amdhsa_system_sgpr_workgroup_id_z 0
		.amdhsa_system_sgpr_workgroup_info 0
		.amdhsa_system_vgpr_workitem_id 0
		.amdhsa_next_free_vgpr 25
		.amdhsa_next_free_sgpr 54
		.amdhsa_accum_offset 28
		.amdhsa_reserve_vcc 1
		.amdhsa_reserve_flat_scratch 0
		.amdhsa_float_round_mode_32 0
		.amdhsa_float_round_mode_16_64 0
		.amdhsa_float_denorm_mode_32 3
		.amdhsa_float_denorm_mode_16_64 3
		.amdhsa_dx10_clamp 1
		.amdhsa_ieee_mode 1
		.amdhsa_fp16_overflow 0
		.amdhsa_tg_split 0
		.amdhsa_exception_fp_ieee_invalid_op 0
		.amdhsa_exception_fp_denorm_src 0
		.amdhsa_exception_fp_ieee_div_zero 0
		.amdhsa_exception_fp_ieee_overflow 0
		.amdhsa_exception_fp_ieee_underflow 0
		.amdhsa_exception_fp_ieee_inexact 0
		.amdhsa_exception_int_div_zero 0
	.end_amdhsa_kernel
	.section	.text._ZN2at6native32elementwise_kernel_manual_unrollILi128ELi4EZNS0_12_GLOBAL__N_142type_specialized_broadcast_kernel_launcherILi0EE5applyINS0_13BinaryFunctorIfffZZZNS2_33hermite_polynomial_he_kernel_cudaERNS_18TensorIteratorBaseEENKUlvE_clEvENKUlvE0_clEvEUlffE_EESt5arrayIPcLm3EESD_IN3c1010ScalarTypeELm3EE16OffsetCalculatorILi3EjLb0EEEEvlT_T0_T1_T2_EUlibE_EEviSN_,"axG",@progbits,_ZN2at6native32elementwise_kernel_manual_unrollILi128ELi4EZNS0_12_GLOBAL__N_142type_specialized_broadcast_kernel_launcherILi0EE5applyINS0_13BinaryFunctorIfffZZZNS2_33hermite_polynomial_he_kernel_cudaERNS_18TensorIteratorBaseEENKUlvE_clEvENKUlvE0_clEvEUlffE_EESt5arrayIPcLm3EESD_IN3c1010ScalarTypeELm3EE16OffsetCalculatorILi3EjLb0EEEEvlT_T0_T1_T2_EUlibE_EEviSN_,comdat
.Lfunc_end67:
	.size	_ZN2at6native32elementwise_kernel_manual_unrollILi128ELi4EZNS0_12_GLOBAL__N_142type_specialized_broadcast_kernel_launcherILi0EE5applyINS0_13BinaryFunctorIfffZZZNS2_33hermite_polynomial_he_kernel_cudaERNS_18TensorIteratorBaseEENKUlvE_clEvENKUlvE0_clEvEUlffE_EESt5arrayIPcLm3EESD_IN3c1010ScalarTypeELm3EE16OffsetCalculatorILi3EjLb0EEEEvlT_T0_T1_T2_EUlibE_EEviSN_, .Lfunc_end67-_ZN2at6native32elementwise_kernel_manual_unrollILi128ELi4EZNS0_12_GLOBAL__N_142type_specialized_broadcast_kernel_launcherILi0EE5applyINS0_13BinaryFunctorIfffZZZNS2_33hermite_polynomial_he_kernel_cudaERNS_18TensorIteratorBaseEENKUlvE_clEvENKUlvE0_clEvEUlffE_EESt5arrayIPcLm3EESD_IN3c1010ScalarTypeELm3EE16OffsetCalculatorILi3EjLb0EEEEvlT_T0_T1_T2_EUlibE_EEviSN_
                                        ; -- End function
	.section	.AMDGPU.csdata,"",@progbits
; Kernel info:
; codeLenInByte = 6916
; NumSgprs: 58
; NumVgprs: 25
; NumAgprs: 0
; TotalNumVgprs: 25
; ScratchSize: 0
; MemoryBound: 0
; FloatMode: 240
; IeeeMode: 1
; LDSByteSize: 0 bytes/workgroup (compile time only)
; SGPRBlocks: 7
; VGPRBlocks: 3
; NumSGPRsForWavesPerEU: 58
; NumVGPRsForWavesPerEU: 25
; AccumOffset: 28
; Occupancy: 8
; WaveLimiterHint : 1
; COMPUTE_PGM_RSRC2:SCRATCH_EN: 0
; COMPUTE_PGM_RSRC2:USER_SGPR: 6
; COMPUTE_PGM_RSRC2:TRAP_HANDLER: 0
; COMPUTE_PGM_RSRC2:TGID_X_EN: 1
; COMPUTE_PGM_RSRC2:TGID_Y_EN: 0
; COMPUTE_PGM_RSRC2:TGID_Z_EN: 0
; COMPUTE_PGM_RSRC2:TIDIG_COMP_CNT: 0
; COMPUTE_PGM_RSRC3_GFX90A:ACCUM_OFFSET: 6
; COMPUTE_PGM_RSRC3_GFX90A:TG_SPLIT: 0
	.section	.text._ZN2at6native32elementwise_kernel_manual_unrollILi128ELi4EZNS0_12_GLOBAL__N_142type_specialized_broadcast_kernel_launcherILi1EE5applyINS0_13BinaryFunctorIfffZZZNS2_33hermite_polynomial_he_kernel_cudaERNS_18TensorIteratorBaseEENKUlvE_clEvENKUlvE0_clEvEUlffE_EESt5arrayIPcLm3EESD_IN3c1010ScalarTypeELm3EE16OffsetCalculatorILi3EjLb0EEEEvlT_T0_T1_T2_EUlibE_EEviSN_,"axG",@progbits,_ZN2at6native32elementwise_kernel_manual_unrollILi128ELi4EZNS0_12_GLOBAL__N_142type_specialized_broadcast_kernel_launcherILi1EE5applyINS0_13BinaryFunctorIfffZZZNS2_33hermite_polynomial_he_kernel_cudaERNS_18TensorIteratorBaseEENKUlvE_clEvENKUlvE0_clEvEUlffE_EESt5arrayIPcLm3EESD_IN3c1010ScalarTypeELm3EE16OffsetCalculatorILi3EjLb0EEEEvlT_T0_T1_T2_EUlibE_EEviSN_,comdat
	.globl	_ZN2at6native32elementwise_kernel_manual_unrollILi128ELi4EZNS0_12_GLOBAL__N_142type_specialized_broadcast_kernel_launcherILi1EE5applyINS0_13BinaryFunctorIfffZZZNS2_33hermite_polynomial_he_kernel_cudaERNS_18TensorIteratorBaseEENKUlvE_clEvENKUlvE0_clEvEUlffE_EESt5arrayIPcLm3EESD_IN3c1010ScalarTypeELm3EE16OffsetCalculatorILi3EjLb0EEEEvlT_T0_T1_T2_EUlibE_EEviSN_ ; -- Begin function _ZN2at6native32elementwise_kernel_manual_unrollILi128ELi4EZNS0_12_GLOBAL__N_142type_specialized_broadcast_kernel_launcherILi1EE5applyINS0_13BinaryFunctorIfffZZZNS2_33hermite_polynomial_he_kernel_cudaERNS_18TensorIteratorBaseEENKUlvE_clEvENKUlvE0_clEvEUlffE_EESt5arrayIPcLm3EESD_IN3c1010ScalarTypeELm3EE16OffsetCalculatorILi3EjLb0EEEEvlT_T0_T1_T2_EUlibE_EEviSN_
	.p2align	8
	.type	_ZN2at6native32elementwise_kernel_manual_unrollILi128ELi4EZNS0_12_GLOBAL__N_142type_specialized_broadcast_kernel_launcherILi1EE5applyINS0_13BinaryFunctorIfffZZZNS2_33hermite_polynomial_he_kernel_cudaERNS_18TensorIteratorBaseEENKUlvE_clEvENKUlvE0_clEvEUlffE_EESt5arrayIPcLm3EESD_IN3c1010ScalarTypeELm3EE16OffsetCalculatorILi3EjLb0EEEEvlT_T0_T1_T2_EUlibE_EEviSN_,@function
_ZN2at6native32elementwise_kernel_manual_unrollILi128ELi4EZNS0_12_GLOBAL__N_142type_specialized_broadcast_kernel_launcherILi1EE5applyINS0_13BinaryFunctorIfffZZZNS2_33hermite_polynomial_he_kernel_cudaERNS_18TensorIteratorBaseEENKUlvE_clEvENKUlvE0_clEvEUlffE_EESt5arrayIPcLm3EESD_IN3c1010ScalarTypeELm3EE16OffsetCalculatorILi3EjLb0EEEEvlT_T0_T1_T2_EUlibE_EEviSN_: ; @_ZN2at6native32elementwise_kernel_manual_unrollILi128ELi4EZNS0_12_GLOBAL__N_142type_specialized_broadcast_kernel_launcherILi1EE5applyINS0_13BinaryFunctorIfffZZZNS2_33hermite_polynomial_he_kernel_cudaERNS_18TensorIteratorBaseEENKUlvE_clEvENKUlvE0_clEvEUlffE_EESt5arrayIPcLm3EESD_IN3c1010ScalarTypeELm3EE16OffsetCalculatorILi3EjLb0EEEEvlT_T0_T1_T2_EUlibE_EEviSN_
; %bb.0:
	s_load_dword s46, s[4:5], 0x0
	s_load_dword s33, s[4:5], 0x8
	s_or_b32 s4, s4, 8
	v_lshl_or_b32 v14, s6, 9, v0
	v_or_b32_e32 v24, 0x180, v14
	s_waitcnt lgkmcnt(0)
	v_cmp_le_i32_e32 vcc, s46, v24
	s_add_i32 s44, s33, -1
	s_cmp_gt_u32 s44, 1
	s_cselect_b64 s[6:7], -1, 0
	s_and_saveexec_b64 s[0:1], vcc
	s_xor_b64 s[16:17], exec, s[0:1]
	s_cbranch_execz .LBB68_98
; %bb.1:
	s_load_dwordx4 s[12:15], s[4:5], 0x4
	s_load_dwordx2 s[22:23], s[4:5], 0x14
	s_load_dwordx4 s[8:11], s[4:5], 0xc4
	s_load_dwordx2 s[20:21], s[4:5], 0xd4
	s_load_dwordx2 s[18:19], s[4:5], 0x198
	s_load_dwordx4 s[0:3], s[4:5], 0x188
	s_cmp_lg_u32 s33, 0
	s_cselect_b64 s[26:27], -1, 0
	s_min_u32 s45, s44, 15
	s_cmp_gt_u32 s33, 1
	s_cselect_b64 s[24:25], -1, 0
	v_cmp_gt_i32_e32 vcc, s46, v14
	s_and_saveexec_b64 s[28:29], vcc
	s_cbranch_execnz .LBB68_5
; %bb.2:
	s_or_b64 exec, exec, s[28:29]
	v_cmp_gt_i32_e32 vcc, s46, v14
	s_and_saveexec_b64 s[28:29], vcc
	s_cbranch_execnz .LBB68_28
.LBB68_3:
	s_or_b64 exec, exec, s[28:29]
	v_cmp_gt_i32_e32 vcc, s46, v14
	s_and_saveexec_b64 s[28:29], vcc
	s_cbranch_execnz .LBB68_51
.LBB68_4:
	s_or_b64 exec, exec, s[28:29]
	v_cmp_gt_i32_e32 vcc, s46, v14
	s_and_saveexec_b64 s[28:29], vcc
	s_cbranch_execnz .LBB68_74
	s_branch .LBB68_97
.LBB68_5:
	s_andn2_b64 vcc, exec, s[6:7]
	s_cbranch_vccnz .LBB68_12
; %bb.6:
	s_andn2_b64 vcc, exec, s[26:27]
	v_mov_b32_e32 v4, 0
	v_mov_b32_e32 v2, 0
	;; [unrolled: 1-line block ×3, first 2 shown]
	s_cbranch_vccnz .LBB68_11
; %bb.7:
	s_add_i32 s30, s45, 1
	s_and_b32 s34, s30, 30
	s_add_u32 s30, s4, 0xffffffec
	s_addc_u32 s31, s5, -1
	v_mov_b32_e32 v0, 0
	v_mov_b32_e32 v1, v14
	v_mov_b32_e32 v2, 0
	v_mov_b32_e32 v4, 0
.LBB68_8:                               ; =>This Inner Loop Header: Depth=1
	s_mov_b64 s[48:49], s[30:31]
	s_load_dwordx4 s[36:39], s[48:49], 0x18
	s_load_dwordx2 s[50:51], s[48:49], 0x28
	s_load_dwordx2 s[52:53], s[48:49], 0xe8
	s_load_dwordx4 s[40:43], s[48:49], 0xd8
	s_add_u32 s30, s48, 24
	s_waitcnt lgkmcnt(0)
	v_mul_hi_u32 v3, s37, v1
	v_add_u32_e32 v3, v1, v3
	v_lshrrev_b32_e32 v3, s38, v3
	v_mul_lo_u32 v5, v3, s36
	v_mul_hi_u32 v6, s50, v3
	v_sub_u32_e32 v1, v1, v5
	v_add_u32_e32 v5, v3, v6
	v_mul_lo_u32 v6, v1, s40
	v_mul_lo_u32 v7, v1, s41
	;; [unrolled: 1-line block ×3, first 2 shown]
	v_lshrrev_b32_e32 v1, s51, v5
	v_mul_lo_u32 v5, v1, s39
	v_sub_u32_e32 v3, v3, v5
	s_addc_u32 s31, s49, 0
	s_add_i32 s34, s34, -2
	v_mul_lo_u32 v5, v3, s43
	v_mul_lo_u32 v9, v3, s52
	;; [unrolled: 1-line block ×3, first 2 shown]
	s_cmp_lg_u32 s34, 0
	v_add3_u32 v0, v6, v0, v5
	v_add3_u32 v4, v8, v4, v3
	;; [unrolled: 1-line block ×3, first 2 shown]
	s_cbranch_scc1 .LBB68_8
; %bb.9:
	s_bitcmp1_b32 s45, 0
	s_cselect_b64 s[34:35], -1, 0
	s_and_b64 vcc, exec, s[34:35]
	s_cbranch_vccnz .LBB68_11
; %bb.10:
	s_load_dwordx2 s[34:35], s[30:31], 0x18
	s_load_dword s38, s[30:31], 0x20
	s_load_dword s39, s[30:31], 0xe0
	s_load_dwordx2 s[36:37], s[30:31], 0xd8
	s_waitcnt lgkmcnt(0)
	v_mul_hi_u32 v3, s35, v1
	v_add_u32_e32 v3, v1, v3
	v_lshrrev_b32_e32 v3, s38, v3
	v_mul_lo_u32 v3, v3, s34
	v_sub_u32_e32 v5, v1, v3
	v_mad_u64_u32 v[0:1], s[30:31], v5, s36, v[0:1]
	v_mad_u64_u32 v[2:3], s[30:31], v5, s37, v[2:3]
	;; [unrolled: 1-line block ×3, first 2 shown]
.LBB68_11:
	s_cbranch_execz .LBB68_13
	s_branch .LBB68_15
.LBB68_12:
                                        ; implicit-def: $vgpr4
                                        ; implicit-def: $vgpr2
                                        ; implicit-def: $vgpr0
.LBB68_13:
	s_waitcnt lgkmcnt(0)
	v_mul_hi_u32 v0, s13, v14
	v_add_u32_e32 v0, v14, v0
	v_lshrrev_b32_e32 v1, s14, v0
	v_mul_lo_u32 v0, v1, s12
	v_sub_u32_e32 v2, v14, v0
	v_mul_lo_u32 v0, v2, s8
	v_mul_lo_u32 v4, v2, s10
	s_andn2_b64 vcc, exec, s[24:25]
	v_mul_lo_u32 v2, v2, s9
	s_cbranch_vccnz .LBB68_15
; %bb.14:
	v_mul_hi_u32 v3, s22, v1
	v_add_u32_e32 v3, v1, v3
	v_lshrrev_b32_e32 v3, s23, v3
	v_mul_lo_u32 v3, v3, s15
	v_sub_u32_e32 v5, v1, v3
	v_mad_u64_u32 v[0:1], s[30:31], v5, s11, v[0:1]
	v_mad_u64_u32 v[2:3], s[30:31], v5, s20, v[2:3]
	;; [unrolled: 1-line block ×3, first 2 shown]
.LBB68_15:
	s_waitcnt lgkmcnt(0)
	global_load_dword v1, v4, s[18:19]
	s_mov_b32 s30, 0x2f800000
	s_mov_b32 s31, 0xcf800000
	s_waitcnt vmcnt(0)
	v_trunc_f32_e32 v1, v1
	v_mul_f32_e64 v3, |v1|, s30
	v_floor_f32_e32 v3, v3
	v_fma_f32 v4, v3, s31, |v1|
	v_cvt_u32_f32_e32 v4, v4
	v_cvt_u32_f32_e32 v3, v3
	v_ashrrev_i32_e32 v1, 31, v1
	v_xor_b32_e32 v4, v4, v1
	v_xor_b32_e32 v3, v3, v1
	v_sub_co_u32_e32 v4, vcc, v4, v1
	v_subb_co_u32_e32 v5, vcc, v3, v1, vcc
	v_cmp_lt_i64_e32 vcc, -1, v[4:5]
	v_mov_b32_e32 v3, 0
	s_and_saveexec_b64 s[30:31], vcc
	s_cbranch_execz .LBB68_27
; %bb.16:
	v_cmp_lt_i64_e32 vcc, 0, v[4:5]
	v_mov_b32_e32 v3, 1.0
	s_and_saveexec_b64 s[34:35], vcc
	s_cbranch_execz .LBB68_26
; %bb.17:
	global_load_ushort v1, v2, s[2:3]
	v_cmp_ne_u64_e32 vcc, 1, v[4:5]
                                        ; implicit-def: $vgpr3
	s_waitcnt vmcnt(0)
	v_lshlrev_b32_e32 v1, 16, v1
	s_and_saveexec_b64 s[36:37], vcc
	s_xor_b64 s[36:37], exec, s[36:37]
	s_cbranch_execz .LBB68_23
; %bb.18:
	s_mov_b64 s[38:39], 0x81
	v_cmp_gt_u64_e32 vcc, s[38:39], v[4:5]
	v_mov_b32_e32 v3, 0x7fc00000
	s_and_saveexec_b64 s[38:39], vcc
	s_cbranch_execz .LBB68_22
; %bb.19:
	s_mov_b64 s[42:43], 1
	s_mov_b64 s[40:41], 0
	v_mov_b32_e32 v2, 1.0
	v_mov_b32_e32 v3, v1
.LBB68_20:                              ; =>This Inner Loop Header: Depth=1
	s_flbit_i32_b32 s47, s43
	s_min_u32 s47, s47, 32
	s_lshl_b64 s[48:49], s[42:43], s47
	s_min_u32 s48, s48, 1
	s_or_b32 s48, s49, s48
	v_cvt_f32_u32_e32 v6, s48
	s_sub_i32 s47, 32, s47
	s_add_u32 s42, s42, 1
	s_addc_u32 s43, s43, 0
	v_ldexp_f32 v6, v6, s47
	v_cmp_eq_u64_e32 vcc, s[42:43], v[4:5]
	v_mul_f32_e32 v6, v2, v6
	s_or_b64 s[40:41], vcc, s[40:41]
	v_mov_b32_e32 v2, v3
	v_fma_f32 v3, v3, v1, -v6
	s_andn2_b64 exec, exec, s[40:41]
	s_cbranch_execnz .LBB68_20
; %bb.21:
	s_or_b64 exec, exec, s[40:41]
.LBB68_22:
	s_or_b64 exec, exec, s[38:39]
                                        ; implicit-def: $vgpr1
.LBB68_23:
	s_andn2_saveexec_b64 s[36:37], s[36:37]
; %bb.24:
	v_mov_b32_e32 v3, v1
; %bb.25:
	s_or_b64 exec, exec, s[36:37]
.LBB68_26:
	s_or_b64 exec, exec, s[34:35]
.LBB68_27:
	s_or_b64 exec, exec, s[30:31]
	v_add_u32_e32 v14, 0x80, v14
	global_store_dword v0, v3, s[0:1]
	s_or_b64 exec, exec, s[28:29]
	v_cmp_gt_i32_e32 vcc, s46, v14
	s_and_saveexec_b64 s[28:29], vcc
	s_cbranch_execz .LBB68_3
.LBB68_28:
	s_andn2_b64 vcc, exec, s[6:7]
	s_cbranch_vccnz .LBB68_35
; %bb.29:
	s_andn2_b64 vcc, exec, s[26:27]
	v_mov_b32_e32 v4, 0
	v_mov_b32_e32 v2, 0
	;; [unrolled: 1-line block ×3, first 2 shown]
	s_cbranch_vccnz .LBB68_34
; %bb.30:
	s_add_i32 s30, s45, 1
	s_and_b32 s34, s30, 30
	s_add_u32 s30, s4, 0xffffffec
	s_addc_u32 s31, s5, -1
	v_mov_b32_e32 v0, 0
	v_mov_b32_e32 v1, v14
	;; [unrolled: 1-line block ×4, first 2 shown]
.LBB68_31:                              ; =>This Inner Loop Header: Depth=1
	s_mov_b64 s[48:49], s[30:31]
	s_load_dwordx4 s[36:39], s[48:49], 0x18
	s_load_dwordx2 s[50:51], s[48:49], 0x28
	s_load_dwordx2 s[52:53], s[48:49], 0xe8
	s_load_dwordx4 s[40:43], s[48:49], 0xd8
	s_add_u32 s30, s48, 24
	s_waitcnt lgkmcnt(0)
	v_mul_hi_u32 v3, s37, v1
	v_add_u32_e32 v3, v1, v3
	v_lshrrev_b32_e32 v3, s38, v3
	v_mul_lo_u32 v5, v3, s36
	v_mul_hi_u32 v6, s50, v3
	v_sub_u32_e32 v1, v1, v5
	v_add_u32_e32 v5, v3, v6
	v_mul_lo_u32 v6, v1, s40
	v_mul_lo_u32 v7, v1, s41
	;; [unrolled: 1-line block ×3, first 2 shown]
	v_lshrrev_b32_e32 v1, s51, v5
	v_mul_lo_u32 v5, v1, s39
	v_sub_u32_e32 v3, v3, v5
	s_addc_u32 s31, s49, 0
	s_add_i32 s34, s34, -2
	v_mul_lo_u32 v5, v3, s43
	v_mul_lo_u32 v9, v3, s52
	;; [unrolled: 1-line block ×3, first 2 shown]
	s_cmp_eq_u32 s34, 0
	v_add3_u32 v0, v6, v0, v5
	v_add3_u32 v4, v8, v4, v3
	;; [unrolled: 1-line block ×3, first 2 shown]
	s_cbranch_scc0 .LBB68_31
; %bb.32:
	s_bitcmp1_b32 s45, 0
	s_cselect_b64 s[34:35], -1, 0
	s_and_b64 vcc, exec, s[34:35]
	s_cbranch_vccnz .LBB68_34
; %bb.33:
	s_load_dwordx2 s[34:35], s[30:31], 0x18
	s_load_dword s38, s[30:31], 0x20
	s_load_dword s39, s[30:31], 0xe0
	s_load_dwordx2 s[36:37], s[30:31], 0xd8
	s_waitcnt lgkmcnt(0)
	v_mul_hi_u32 v3, s35, v1
	v_add_u32_e32 v3, v1, v3
	v_lshrrev_b32_e32 v3, s38, v3
	v_mul_lo_u32 v3, v3, s34
	v_sub_u32_e32 v5, v1, v3
	v_mad_u64_u32 v[0:1], s[30:31], v5, s36, v[0:1]
	v_mad_u64_u32 v[2:3], s[30:31], v5, s37, v[2:3]
	;; [unrolled: 1-line block ×3, first 2 shown]
.LBB68_34:
	s_cbranch_execz .LBB68_36
	s_branch .LBB68_38
.LBB68_35:
                                        ; implicit-def: $vgpr4
                                        ; implicit-def: $vgpr2
                                        ; implicit-def: $vgpr0
.LBB68_36:
	s_waitcnt lgkmcnt(0)
	v_mul_hi_u32 v0, s13, v14
	v_add_u32_e32 v0, v14, v0
	v_lshrrev_b32_e32 v1, s14, v0
	v_mul_lo_u32 v0, v1, s12
	v_sub_u32_e32 v2, v14, v0
	v_mul_lo_u32 v0, v2, s8
	v_mul_lo_u32 v4, v2, s10
	s_andn2_b64 vcc, exec, s[24:25]
	v_mul_lo_u32 v2, v2, s9
	s_cbranch_vccnz .LBB68_38
; %bb.37:
	v_mul_hi_u32 v3, s22, v1
	v_add_u32_e32 v3, v1, v3
	v_lshrrev_b32_e32 v3, s23, v3
	v_mul_lo_u32 v3, v3, s15
	v_sub_u32_e32 v5, v1, v3
	v_mad_u64_u32 v[0:1], s[30:31], v5, s11, v[0:1]
	v_mad_u64_u32 v[2:3], s[30:31], v5, s20, v[2:3]
	;; [unrolled: 1-line block ×3, first 2 shown]
.LBB68_38:
	s_waitcnt lgkmcnt(0)
	global_load_dword v1, v4, s[18:19]
	s_mov_b32 s30, 0x2f800000
	s_mov_b32 s31, 0xcf800000
	s_waitcnt vmcnt(0)
	v_trunc_f32_e32 v1, v1
	v_mul_f32_e64 v3, |v1|, s30
	v_floor_f32_e32 v3, v3
	v_fma_f32 v4, v3, s31, |v1|
	v_cvt_u32_f32_e32 v4, v4
	v_cvt_u32_f32_e32 v3, v3
	v_ashrrev_i32_e32 v1, 31, v1
	v_xor_b32_e32 v4, v4, v1
	v_xor_b32_e32 v3, v3, v1
	v_sub_co_u32_e32 v4, vcc, v4, v1
	v_subb_co_u32_e32 v5, vcc, v3, v1, vcc
	v_cmp_lt_i64_e32 vcc, -1, v[4:5]
	v_mov_b32_e32 v3, 0
	s_and_saveexec_b64 s[30:31], vcc
	s_cbranch_execz .LBB68_50
; %bb.39:
	v_cmp_lt_i64_e32 vcc, 0, v[4:5]
	v_mov_b32_e32 v3, 1.0
	s_and_saveexec_b64 s[34:35], vcc
	s_cbranch_execz .LBB68_49
; %bb.40:
	global_load_ushort v1, v2, s[2:3]
	v_cmp_ne_u64_e32 vcc, 1, v[4:5]
                                        ; implicit-def: $vgpr3
	s_waitcnt vmcnt(0)
	v_lshlrev_b32_e32 v1, 16, v1
	s_and_saveexec_b64 s[36:37], vcc
	s_xor_b64 s[36:37], exec, s[36:37]
	s_cbranch_execz .LBB68_46
; %bb.41:
	s_mov_b64 s[38:39], 0x81
	v_cmp_gt_u64_e32 vcc, s[38:39], v[4:5]
	v_mov_b32_e32 v3, 0x7fc00000
	s_and_saveexec_b64 s[38:39], vcc
	s_cbranch_execz .LBB68_45
; %bb.42:
	s_mov_b64 s[42:43], 1
	s_mov_b64 s[40:41], 0
	v_mov_b32_e32 v2, 1.0
	v_mov_b32_e32 v3, v1
.LBB68_43:                              ; =>This Inner Loop Header: Depth=1
	s_flbit_i32_b32 s47, s43
	s_min_u32 s47, s47, 32
	s_lshl_b64 s[48:49], s[42:43], s47
	s_min_u32 s48, s48, 1
	s_or_b32 s48, s49, s48
	v_cvt_f32_u32_e32 v6, s48
	s_sub_i32 s47, 32, s47
	s_add_u32 s42, s42, 1
	s_addc_u32 s43, s43, 0
	v_ldexp_f32 v6, v6, s47
	v_cmp_eq_u64_e32 vcc, s[42:43], v[4:5]
	v_mul_f32_e32 v6, v2, v6
	s_or_b64 s[40:41], vcc, s[40:41]
	v_mov_b32_e32 v2, v3
	v_fma_f32 v3, v3, v1, -v6
	s_andn2_b64 exec, exec, s[40:41]
	s_cbranch_execnz .LBB68_43
; %bb.44:
	s_or_b64 exec, exec, s[40:41]
.LBB68_45:
	s_or_b64 exec, exec, s[38:39]
                                        ; implicit-def: $vgpr1
.LBB68_46:
	s_andn2_saveexec_b64 s[36:37], s[36:37]
; %bb.47:
	v_mov_b32_e32 v3, v1
; %bb.48:
	s_or_b64 exec, exec, s[36:37]
.LBB68_49:
	s_or_b64 exec, exec, s[34:35]
.LBB68_50:
	s_or_b64 exec, exec, s[30:31]
	v_add_u32_e32 v14, 0x80, v14
	global_store_dword v0, v3, s[0:1]
	s_or_b64 exec, exec, s[28:29]
	v_cmp_gt_i32_e32 vcc, s46, v14
	s_and_saveexec_b64 s[28:29], vcc
	s_cbranch_execz .LBB68_4
.LBB68_51:
	s_andn2_b64 vcc, exec, s[6:7]
	s_cbranch_vccnz .LBB68_58
; %bb.52:
	s_andn2_b64 vcc, exec, s[26:27]
	v_mov_b32_e32 v4, 0
	v_mov_b32_e32 v2, 0
	;; [unrolled: 1-line block ×3, first 2 shown]
	s_cbranch_vccnz .LBB68_57
; %bb.53:
	s_add_i32 s30, s45, 1
	s_and_b32 s34, s30, 30
	s_add_u32 s30, s4, 0xffffffec
	s_addc_u32 s31, s5, -1
	v_mov_b32_e32 v0, 0
	v_mov_b32_e32 v1, v14
	;; [unrolled: 1-line block ×4, first 2 shown]
.LBB68_54:                              ; =>This Inner Loop Header: Depth=1
	s_mov_b64 s[48:49], s[30:31]
	s_load_dwordx4 s[36:39], s[48:49], 0x18
	s_load_dwordx2 s[50:51], s[48:49], 0x28
	s_load_dwordx2 s[52:53], s[48:49], 0xe8
	s_load_dwordx4 s[40:43], s[48:49], 0xd8
	s_add_u32 s30, s48, 24
	s_waitcnt lgkmcnt(0)
	v_mul_hi_u32 v3, s37, v1
	v_add_u32_e32 v3, v1, v3
	v_lshrrev_b32_e32 v3, s38, v3
	v_mul_lo_u32 v5, v3, s36
	v_mul_hi_u32 v6, s50, v3
	v_sub_u32_e32 v1, v1, v5
	v_add_u32_e32 v5, v3, v6
	v_mul_lo_u32 v6, v1, s40
	v_mul_lo_u32 v7, v1, s41
	v_mul_lo_u32 v8, v1, s42
	v_lshrrev_b32_e32 v1, s51, v5
	v_mul_lo_u32 v5, v1, s39
	v_sub_u32_e32 v3, v3, v5
	s_addc_u32 s31, s49, 0
	s_add_i32 s34, s34, -2
	v_mul_lo_u32 v5, v3, s43
	v_mul_lo_u32 v9, v3, s52
	;; [unrolled: 1-line block ×3, first 2 shown]
	s_cmp_eq_u32 s34, 0
	v_add3_u32 v0, v6, v0, v5
	v_add3_u32 v4, v8, v4, v3
	;; [unrolled: 1-line block ×3, first 2 shown]
	s_cbranch_scc0 .LBB68_54
; %bb.55:
	s_bitcmp1_b32 s45, 0
	s_cselect_b64 s[34:35], -1, 0
	s_and_b64 vcc, exec, s[34:35]
	s_cbranch_vccnz .LBB68_57
; %bb.56:
	s_load_dwordx2 s[34:35], s[30:31], 0x18
	s_load_dword s38, s[30:31], 0x20
	s_load_dword s39, s[30:31], 0xe0
	s_load_dwordx2 s[36:37], s[30:31], 0xd8
	s_waitcnt lgkmcnt(0)
	v_mul_hi_u32 v3, s35, v1
	v_add_u32_e32 v3, v1, v3
	v_lshrrev_b32_e32 v3, s38, v3
	v_mul_lo_u32 v3, v3, s34
	v_sub_u32_e32 v5, v1, v3
	v_mad_u64_u32 v[0:1], s[30:31], v5, s36, v[0:1]
	v_mad_u64_u32 v[2:3], s[30:31], v5, s37, v[2:3]
	;; [unrolled: 1-line block ×3, first 2 shown]
.LBB68_57:
	s_cbranch_execz .LBB68_59
	s_branch .LBB68_61
.LBB68_58:
                                        ; implicit-def: $vgpr4
                                        ; implicit-def: $vgpr2
                                        ; implicit-def: $vgpr0
.LBB68_59:
	s_waitcnt lgkmcnt(0)
	v_mul_hi_u32 v0, s13, v14
	v_add_u32_e32 v0, v14, v0
	v_lshrrev_b32_e32 v1, s14, v0
	v_mul_lo_u32 v0, v1, s12
	v_sub_u32_e32 v2, v14, v0
	v_mul_lo_u32 v0, v2, s8
	v_mul_lo_u32 v4, v2, s10
	s_andn2_b64 vcc, exec, s[24:25]
	v_mul_lo_u32 v2, v2, s9
	s_cbranch_vccnz .LBB68_61
; %bb.60:
	v_mul_hi_u32 v3, s22, v1
	v_add_u32_e32 v3, v1, v3
	v_lshrrev_b32_e32 v3, s23, v3
	v_mul_lo_u32 v3, v3, s15
	v_sub_u32_e32 v5, v1, v3
	v_mad_u64_u32 v[0:1], s[30:31], v5, s11, v[0:1]
	v_mad_u64_u32 v[2:3], s[30:31], v5, s20, v[2:3]
	;; [unrolled: 1-line block ×3, first 2 shown]
.LBB68_61:
	s_waitcnt lgkmcnt(0)
	global_load_dword v1, v4, s[18:19]
	s_mov_b32 s30, 0x2f800000
	s_mov_b32 s31, 0xcf800000
	s_waitcnt vmcnt(0)
	v_trunc_f32_e32 v1, v1
	v_mul_f32_e64 v3, |v1|, s30
	v_floor_f32_e32 v3, v3
	v_fma_f32 v4, v3, s31, |v1|
	v_cvt_u32_f32_e32 v4, v4
	v_cvt_u32_f32_e32 v3, v3
	v_ashrrev_i32_e32 v1, 31, v1
	v_xor_b32_e32 v4, v4, v1
	v_xor_b32_e32 v3, v3, v1
	v_sub_co_u32_e32 v4, vcc, v4, v1
	v_subb_co_u32_e32 v5, vcc, v3, v1, vcc
	v_cmp_lt_i64_e32 vcc, -1, v[4:5]
	v_mov_b32_e32 v3, 0
	s_and_saveexec_b64 s[30:31], vcc
	s_cbranch_execz .LBB68_73
; %bb.62:
	v_cmp_lt_i64_e32 vcc, 0, v[4:5]
	v_mov_b32_e32 v3, 1.0
	s_and_saveexec_b64 s[34:35], vcc
	s_cbranch_execz .LBB68_72
; %bb.63:
	global_load_ushort v1, v2, s[2:3]
	v_cmp_ne_u64_e32 vcc, 1, v[4:5]
                                        ; implicit-def: $vgpr3
	s_waitcnt vmcnt(0)
	v_lshlrev_b32_e32 v1, 16, v1
	s_and_saveexec_b64 s[36:37], vcc
	s_xor_b64 s[36:37], exec, s[36:37]
	s_cbranch_execz .LBB68_69
; %bb.64:
	s_mov_b64 s[38:39], 0x81
	v_cmp_gt_u64_e32 vcc, s[38:39], v[4:5]
	v_mov_b32_e32 v3, 0x7fc00000
	s_and_saveexec_b64 s[38:39], vcc
	s_cbranch_execz .LBB68_68
; %bb.65:
	s_mov_b64 s[42:43], 1
	s_mov_b64 s[40:41], 0
	v_mov_b32_e32 v2, 1.0
	v_mov_b32_e32 v3, v1
.LBB68_66:                              ; =>This Inner Loop Header: Depth=1
	s_flbit_i32_b32 s47, s43
	s_min_u32 s47, s47, 32
	s_lshl_b64 s[48:49], s[42:43], s47
	s_min_u32 s48, s48, 1
	s_or_b32 s48, s49, s48
	v_cvt_f32_u32_e32 v6, s48
	s_sub_i32 s47, 32, s47
	s_add_u32 s42, s42, 1
	s_addc_u32 s43, s43, 0
	v_ldexp_f32 v6, v6, s47
	v_cmp_eq_u64_e32 vcc, s[42:43], v[4:5]
	v_mul_f32_e32 v6, v2, v6
	s_or_b64 s[40:41], vcc, s[40:41]
	v_mov_b32_e32 v2, v3
	v_fma_f32 v3, v3, v1, -v6
	s_andn2_b64 exec, exec, s[40:41]
	s_cbranch_execnz .LBB68_66
; %bb.67:
	s_or_b64 exec, exec, s[40:41]
.LBB68_68:
	s_or_b64 exec, exec, s[38:39]
                                        ; implicit-def: $vgpr1
.LBB68_69:
	s_andn2_saveexec_b64 s[36:37], s[36:37]
; %bb.70:
	v_mov_b32_e32 v3, v1
; %bb.71:
	s_or_b64 exec, exec, s[36:37]
.LBB68_72:
	s_or_b64 exec, exec, s[34:35]
.LBB68_73:
	s_or_b64 exec, exec, s[30:31]
	v_add_u32_e32 v14, 0x80, v14
	global_store_dword v0, v3, s[0:1]
	s_or_b64 exec, exec, s[28:29]
	v_cmp_gt_i32_e32 vcc, s46, v14
	s_and_saveexec_b64 s[28:29], vcc
	s_cbranch_execz .LBB68_97
.LBB68_74:
	s_andn2_b64 vcc, exec, s[6:7]
	s_cbranch_vccnz .LBB68_81
; %bb.75:
	s_andn2_b64 vcc, exec, s[26:27]
	v_mov_b32_e32 v4, 0
	v_mov_b32_e32 v2, 0
	;; [unrolled: 1-line block ×3, first 2 shown]
	s_cbranch_vccnz .LBB68_80
; %bb.76:
	s_add_i32 s26, s45, 1
	s_and_b32 s30, s26, 30
	s_add_u32 s26, s4, 0xffffffec
	s_addc_u32 s27, s5, -1
	v_mov_b32_e32 v0, 0
	v_mov_b32_e32 v1, v14
	;; [unrolled: 1-line block ×4, first 2 shown]
.LBB68_77:                              ; =>This Inner Loop Header: Depth=1
	s_mov_b64 s[34:35], s[26:27]
	s_load_dwordx4 s[36:39], s[34:35], 0x18
	s_load_dwordx2 s[46:47], s[34:35], 0x28
	s_load_dwordx2 s[48:49], s[34:35], 0xe8
	s_load_dwordx4 s[40:43], s[34:35], 0xd8
	s_add_u32 s26, s34, 24
	s_waitcnt lgkmcnt(0)
	v_mul_hi_u32 v3, s37, v1
	v_add_u32_e32 v3, v1, v3
	v_lshrrev_b32_e32 v3, s38, v3
	v_mul_lo_u32 v5, v3, s36
	v_mul_hi_u32 v6, s46, v3
	v_sub_u32_e32 v1, v1, v5
	v_add_u32_e32 v5, v3, v6
	v_mul_lo_u32 v6, v1, s40
	v_mul_lo_u32 v7, v1, s41
	;; [unrolled: 1-line block ×3, first 2 shown]
	v_lshrrev_b32_e32 v1, s47, v5
	v_mul_lo_u32 v5, v1, s39
	v_sub_u32_e32 v3, v3, v5
	s_addc_u32 s27, s35, 0
	s_add_i32 s30, s30, -2
	v_mul_lo_u32 v5, v3, s43
	v_mul_lo_u32 v9, v3, s48
	;; [unrolled: 1-line block ×3, first 2 shown]
	s_cmp_eq_u32 s30, 0
	v_add3_u32 v0, v6, v0, v5
	v_add3_u32 v4, v8, v4, v3
	;; [unrolled: 1-line block ×3, first 2 shown]
	s_cbranch_scc0 .LBB68_77
; %bb.78:
	s_bitcmp1_b32 s45, 0
	s_cselect_b64 s[30:31], -1, 0
	s_and_b64 vcc, exec, s[30:31]
	s_cbranch_vccnz .LBB68_80
; %bb.79:
	s_load_dwordx2 s[30:31], s[26:27], 0x18
	s_load_dword s36, s[26:27], 0x20
	s_load_dword s37, s[26:27], 0xe0
	s_load_dwordx2 s[34:35], s[26:27], 0xd8
	s_waitcnt lgkmcnt(0)
	v_mul_hi_u32 v3, s31, v1
	v_add_u32_e32 v3, v1, v3
	v_lshrrev_b32_e32 v3, s36, v3
	v_mul_lo_u32 v3, v3, s30
	v_sub_u32_e32 v5, v1, v3
	v_mad_u64_u32 v[0:1], s[26:27], v5, s34, v[0:1]
	v_mad_u64_u32 v[2:3], s[26:27], v5, s35, v[2:3]
	v_mad_u64_u32 v[4:5], s[26:27], v5, s37, v[4:5]
.LBB68_80:
	s_cbranch_execz .LBB68_82
	s_branch .LBB68_84
.LBB68_81:
                                        ; implicit-def: $vgpr4
                                        ; implicit-def: $vgpr2
                                        ; implicit-def: $vgpr0
.LBB68_82:
	s_waitcnt lgkmcnt(0)
	v_mul_hi_u32 v0, s13, v14
	v_add_u32_e32 v0, v14, v0
	v_lshrrev_b32_e32 v1, s14, v0
	v_mul_lo_u32 v0, v1, s12
	v_sub_u32_e32 v2, v14, v0
	v_mul_lo_u32 v0, v2, s8
	v_mul_lo_u32 v4, v2, s10
	s_andn2_b64 vcc, exec, s[24:25]
	v_mul_lo_u32 v2, v2, s9
	s_cbranch_vccnz .LBB68_84
; %bb.83:
	v_mul_hi_u32 v3, s22, v1
	v_add_u32_e32 v3, v1, v3
	v_lshrrev_b32_e32 v3, s23, v3
	v_mul_lo_u32 v3, v3, s15
	v_sub_u32_e32 v5, v1, v3
	v_mad_u64_u32 v[0:1], s[8:9], v5, s11, v[0:1]
	v_mad_u64_u32 v[2:3], s[8:9], v5, s20, v[2:3]
	;; [unrolled: 1-line block ×3, first 2 shown]
.LBB68_84:
	s_waitcnt lgkmcnt(0)
	global_load_dword v1, v4, s[18:19]
	s_mov_b32 s8, 0x2f800000
	s_mov_b32 s9, 0xcf800000
	s_waitcnt vmcnt(0)
	v_trunc_f32_e32 v1, v1
	v_mul_f32_e64 v3, |v1|, s8
	v_floor_f32_e32 v3, v3
	v_fma_f32 v4, v3, s9, |v1|
	v_cvt_u32_f32_e32 v4, v4
	v_cvt_u32_f32_e32 v3, v3
	v_ashrrev_i32_e32 v1, 31, v1
	v_xor_b32_e32 v4, v4, v1
	v_xor_b32_e32 v3, v3, v1
	v_sub_co_u32_e32 v4, vcc, v4, v1
	v_subb_co_u32_e32 v5, vcc, v3, v1, vcc
	v_cmp_lt_i64_e32 vcc, -1, v[4:5]
	v_mov_b32_e32 v3, 0
	s_and_saveexec_b64 s[8:9], vcc
	s_cbranch_execz .LBB68_96
; %bb.85:
	v_cmp_lt_i64_e32 vcc, 0, v[4:5]
	v_mov_b32_e32 v3, 1.0
	s_and_saveexec_b64 s[10:11], vcc
	s_cbranch_execz .LBB68_95
; %bb.86:
	global_load_ushort v1, v2, s[2:3]
	v_cmp_ne_u64_e32 vcc, 1, v[4:5]
                                        ; implicit-def: $vgpr3
	s_waitcnt vmcnt(0)
	v_lshlrev_b32_e32 v1, 16, v1
	s_and_saveexec_b64 s[2:3], vcc
	s_xor_b64 s[2:3], exec, s[2:3]
	s_cbranch_execz .LBB68_92
; %bb.87:
	s_mov_b64 s[12:13], 0x81
	v_cmp_gt_u64_e32 vcc, s[12:13], v[4:5]
	v_mov_b32_e32 v3, 0x7fc00000
	s_and_saveexec_b64 s[12:13], vcc
	s_cbranch_execz .LBB68_91
; %bb.88:
	s_mov_b64 s[18:19], 1
	s_mov_b64 s[14:15], 0
	v_mov_b32_e32 v2, 1.0
	v_mov_b32_e32 v3, v1
.LBB68_89:                              ; =>This Inner Loop Header: Depth=1
	s_flbit_i32_b32 s20, s19
	s_min_u32 s22, s20, 32
	s_lshl_b64 s[20:21], s[18:19], s22
	s_min_u32 s20, s20, 1
	s_or_b32 s20, s21, s20
	v_cvt_f32_u32_e32 v6, s20
	s_sub_i32 s22, 32, s22
	s_add_u32 s18, s18, 1
	s_addc_u32 s19, s19, 0
	v_ldexp_f32 v6, v6, s22
	v_cmp_eq_u64_e32 vcc, s[18:19], v[4:5]
	v_mul_f32_e32 v6, v2, v6
	s_or_b64 s[14:15], vcc, s[14:15]
	v_mov_b32_e32 v2, v3
	v_fma_f32 v3, v3, v1, -v6
	s_andn2_b64 exec, exec, s[14:15]
	s_cbranch_execnz .LBB68_89
; %bb.90:
	s_or_b64 exec, exec, s[14:15]
.LBB68_91:
	s_or_b64 exec, exec, s[12:13]
                                        ; implicit-def: $vgpr1
.LBB68_92:
	s_andn2_saveexec_b64 s[2:3], s[2:3]
; %bb.93:
	v_mov_b32_e32 v3, v1
; %bb.94:
	s_or_b64 exec, exec, s[2:3]
.LBB68_95:
	s_or_b64 exec, exec, s[10:11]
.LBB68_96:
	s_or_b64 exec, exec, s[8:9]
	global_store_dword v0, v3, s[0:1]
.LBB68_97:
	s_or_b64 exec, exec, s[28:29]
                                        ; implicit-def: $vgpr24
                                        ; implicit-def: $vgpr14
.LBB68_98:
	s_waitcnt lgkmcnt(0)
	s_andn2_saveexec_b64 s[0:1], s[16:17]
	s_cbranch_execz .LBB68_105
; %bb.99:
	v_cndmask_b32_e64 v0, 0, 1, s[6:7]
	v_cmp_ne_u32_e64 s[0:1], 1, v0
	s_andn2_b64 vcc, exec, s[6:7]
	s_cbranch_vccnz .LBB68_106
; %bb.100:
	s_cmp_lg_u32 s33, 0
	v_mov_b32_e32 v8, 0
	v_mov_b32_e32 v6, 0
	v_mov_b32_e32 v0, 0
	s_cbranch_scc0 .LBB68_107
; %bb.101:
	s_min_u32 s6, s44, 15
	s_add_i32 s2, s6, 1
	s_and_b32 s7, s2, 30
	s_add_u32 s2, s4, 0xffffffec
	s_addc_u32 s3, s5, -1
	v_mov_b32_e32 v0, 0
	v_mov_b32_e32 v1, v14
	;; [unrolled: 1-line block ×4, first 2 shown]
.LBB68_102:                             ; =>This Inner Loop Header: Depth=1
	s_mov_b64 s[16:17], s[2:3]
	s_load_dwordx4 s[8:11], s[16:17], 0x18
	s_load_dwordx2 s[18:19], s[16:17], 0x28
	s_load_dwordx2 s[20:21], s[16:17], 0xe8
	s_load_dwordx4 s[12:15], s[16:17], 0xd8
	s_add_u32 s2, s16, 24
	s_waitcnt lgkmcnt(0)
	v_mul_hi_u32 v2, s9, v1
	v_add_u32_e32 v2, v1, v2
	v_lshrrev_b32_e32 v2, s10, v2
	v_mul_lo_u32 v3, v2, s8
	v_mul_hi_u32 v4, s18, v2
	v_sub_u32_e32 v1, v1, v3
	v_add_u32_e32 v3, v2, v4
	v_mul_lo_u32 v4, v1, s12
	v_mul_lo_u32 v5, v1, s13
	;; [unrolled: 1-line block ×3, first 2 shown]
	v_lshrrev_b32_e32 v1, s19, v3
	v_mul_lo_u32 v3, v1, s11
	v_sub_u32_e32 v2, v2, v3
	s_addc_u32 s3, s17, 0
	s_add_i32 s7, s7, -2
	v_mul_lo_u32 v3, v2, s15
	v_mul_lo_u32 v9, v2, s20
	;; [unrolled: 1-line block ×3, first 2 shown]
	s_cmp_lg_u32 s7, 0
	v_add3_u32 v0, v4, v0, v3
	v_add3_u32 v8, v7, v8, v2
	;; [unrolled: 1-line block ×3, first 2 shown]
	s_cbranch_scc1 .LBB68_102
; %bb.103:
	s_bitcmp1_b32 s6, 0
	s_cselect_b64 s[6:7], -1, 0
	s_and_b64 vcc, exec, s[6:7]
	s_cbranch_vccnz .LBB68_107
; %bb.104:
	s_load_dwordx2 s[6:7], s[2:3], 0x18
	s_load_dword s10, s[2:3], 0x20
	s_load_dword s11, s[2:3], 0xe0
	s_load_dwordx2 s[8:9], s[2:3], 0xd8
	s_waitcnt lgkmcnt(0)
	v_mul_hi_u32 v2, s7, v1
	v_add_u32_e32 v2, v1, v2
	v_lshrrev_b32_e32 v2, s10, v2
	v_mul_lo_u32 v2, v2, s6
	v_sub_u32_e32 v2, v1, v2
	v_mad_u64_u32 v[0:1], s[2:3], v2, s8, v[0:1]
	v_mad_u64_u32 v[6:7], s[2:3], v2, s9, v[6:7]
	;; [unrolled: 1-line block ×3, first 2 shown]
	s_cbranch_execz .LBB68_108
	s_branch .LBB68_110
.LBB68_105:
	s_endpgm
.LBB68_106:
                                        ; implicit-def: $vgpr8
                                        ; implicit-def: $vgpr6
                                        ; implicit-def: $vgpr0
	s_branch .LBB68_108
.LBB68_107:
	s_cbranch_execnz .LBB68_110
.LBB68_108:
	s_load_dwordx4 s[8:11], s[4:5], 0x4
	s_load_dwordx4 s[12:15], s[4:5], 0xc4
	s_cmp_lt_u32 s33, 2
	s_waitcnt lgkmcnt(0)
	v_mul_hi_u32 v0, s9, v14
	v_add_u32_e32 v0, v14, v0
	v_lshrrev_b32_e32 v1, s10, v0
	v_mul_lo_u32 v0, v1, s8
	v_sub_u32_e32 v2, v14, v0
	v_mul_lo_u32 v0, v2, s12
	v_mul_lo_u32 v8, v2, s14
	v_mul_lo_u32 v6, v2, s13
	s_cbranch_scc1 .LBB68_110
; %bb.109:
	s_load_dwordx4 s[8:11], s[4:5], 0x10
	s_load_dwordx4 s[12:15], s[4:5], 0xd0
	s_waitcnt lgkmcnt(0)
	v_mul_hi_u32 v2, s9, v1
	v_add_u32_e32 v2, v1, v2
	v_lshrrev_b32_e32 v2, s10, v2
	v_mul_lo_u32 v2, v2, s8
	v_sub_u32_e32 v2, v1, v2
	v_mad_u64_u32 v[0:1], s[2:3], v2, s12, v[0:1]
	v_mad_u64_u32 v[6:7], s[2:3], v2, s13, v[6:7]
	;; [unrolled: 1-line block ×3, first 2 shown]
.LBB68_110:
	s_and_b64 vcc, exec, s[0:1]
	v_add_u32_e32 v1, 0x80, v14
	s_cbranch_vccnz .LBB68_116
; %bb.111:
	s_cmp_lg_u32 s33, 0
	v_mov_b32_e32 v12, 0
	v_mov_b32_e32 v10, 0
	;; [unrolled: 1-line block ×3, first 2 shown]
	s_cbranch_scc0 .LBB68_117
; %bb.112:
	s_min_u32 s6, s44, 15
	s_add_i32 s2, s6, 1
	s_and_b32 s7, s2, 30
	s_add_u32 s2, s4, 0xffffffec
	s_addc_u32 s3, s5, -1
	v_mov_b32_e32 v2, 0
	v_mov_b32_e32 v3, v1
	;; [unrolled: 1-line block ×4, first 2 shown]
.LBB68_113:                             ; =>This Inner Loop Header: Depth=1
	s_mov_b64 s[16:17], s[2:3]
	s_load_dwordx4 s[8:11], s[16:17], 0x18
	s_load_dwordx2 s[18:19], s[16:17], 0x28
	s_load_dwordx2 s[20:21], s[16:17], 0xe8
	s_load_dwordx4 s[12:15], s[16:17], 0xd8
	s_add_u32 s2, s16, 24
	s_waitcnt lgkmcnt(0)
	v_mul_hi_u32 v4, s9, v3
	v_add_u32_e32 v4, v3, v4
	v_lshrrev_b32_e32 v4, s10, v4
	v_mul_lo_u32 v5, v4, s8
	v_mul_hi_u32 v7, s18, v4
	v_sub_u32_e32 v3, v3, v5
	v_add_u32_e32 v5, v4, v7
	v_mul_lo_u32 v7, v3, s12
	v_mul_lo_u32 v9, v3, s13
	;; [unrolled: 1-line block ×3, first 2 shown]
	v_lshrrev_b32_e32 v3, s19, v5
	v_mul_lo_u32 v5, v3, s11
	v_sub_u32_e32 v4, v4, v5
	s_addc_u32 s3, s17, 0
	s_add_i32 s7, s7, -2
	v_mul_lo_u32 v5, v4, s15
	v_mul_lo_u32 v13, v4, s20
	;; [unrolled: 1-line block ×3, first 2 shown]
	s_cmp_lg_u32 s7, 0
	v_add3_u32 v2, v7, v2, v5
	v_add3_u32 v12, v11, v12, v4
	;; [unrolled: 1-line block ×3, first 2 shown]
	s_cbranch_scc1 .LBB68_113
; %bb.114:
	s_bitcmp1_b32 s6, 0
	s_cselect_b64 s[6:7], -1, 0
	s_and_b64 vcc, exec, s[6:7]
	s_cbranch_vccnz .LBB68_117
; %bb.115:
	s_load_dwordx2 s[6:7], s[2:3], 0x18
	s_load_dword s10, s[2:3], 0x20
	s_load_dword s11, s[2:3], 0xe0
	s_load_dwordx2 s[8:9], s[2:3], 0xd8
	s_waitcnt lgkmcnt(0)
	v_mul_hi_u32 v4, s7, v3
	v_add_u32_e32 v4, v3, v4
	v_lshrrev_b32_e32 v4, s10, v4
	v_mul_lo_u32 v4, v4, s6
	v_sub_u32_e32 v4, v3, v4
	v_mad_u64_u32 v[2:3], s[2:3], v4, s8, v[2:3]
	v_mad_u64_u32 v[10:11], s[2:3], v4, s9, v[10:11]
	;; [unrolled: 1-line block ×3, first 2 shown]
	s_cbranch_execz .LBB68_118
	s_branch .LBB68_120
.LBB68_116:
                                        ; implicit-def: $vgpr12
                                        ; implicit-def: $vgpr10
                                        ; implicit-def: $vgpr2
	s_branch .LBB68_118
.LBB68_117:
	s_cbranch_execnz .LBB68_120
.LBB68_118:
	s_load_dwordx4 s[8:11], s[4:5], 0x4
	s_load_dwordx4 s[12:15], s[4:5], 0xc4
	s_cmp_lt_u32 s33, 2
	s_waitcnt lgkmcnt(0)
	v_mul_hi_u32 v2, s9, v1
	v_add_u32_e32 v2, v1, v2
	v_lshrrev_b32_e32 v3, s10, v2
	v_mul_lo_u32 v2, v3, s8
	v_sub_u32_e32 v1, v1, v2
	v_mul_lo_u32 v2, v1, s12
	v_mul_lo_u32 v12, v1, s14
	;; [unrolled: 1-line block ×3, first 2 shown]
	s_cbranch_scc1 .LBB68_120
; %bb.119:
	s_load_dwordx4 s[8:11], s[4:5], 0x10
	s_load_dwordx4 s[12:15], s[4:5], 0xd0
	s_waitcnt lgkmcnt(0)
	v_mul_hi_u32 v1, s9, v3
	v_add_u32_e32 v1, v3, v1
	v_lshrrev_b32_e32 v1, s10, v1
	v_mul_lo_u32 v1, v1, s8
	v_sub_u32_e32 v1, v3, v1
	v_mad_u64_u32 v[2:3], s[2:3], v1, s12, v[2:3]
	v_mad_u64_u32 v[10:11], s[2:3], v1, s13, v[10:11]
	;; [unrolled: 1-line block ×3, first 2 shown]
.LBB68_120:
	s_and_b64 vcc, exec, s[0:1]
	v_add_u32_e32 v1, 0x100, v14
	s_cbranch_vccnz .LBB68_126
; %bb.121:
	s_cmp_lg_u32 s33, 0
	v_mov_b32_e32 v18, 0
	v_mov_b32_e32 v16, 0
	;; [unrolled: 1-line block ×3, first 2 shown]
	s_cbranch_scc0 .LBB68_127
; %bb.122:
	s_min_u32 s6, s44, 15
	s_add_i32 s2, s6, 1
	s_and_b32 s7, s2, 30
	s_add_u32 s2, s4, 0xffffffec
	s_addc_u32 s3, s5, -1
	v_mov_b32_e32 v4, 0
	v_mov_b32_e32 v3, v1
	;; [unrolled: 1-line block ×4, first 2 shown]
.LBB68_123:                             ; =>This Inner Loop Header: Depth=1
	s_mov_b64 s[16:17], s[2:3]
	s_load_dwordx4 s[8:11], s[16:17], 0x18
	s_load_dwordx2 s[18:19], s[16:17], 0x28
	s_load_dwordx2 s[20:21], s[16:17], 0xe8
	s_load_dwordx4 s[12:15], s[16:17], 0xd8
	s_add_u32 s2, s16, 24
	s_waitcnt lgkmcnt(0)
	v_mul_hi_u32 v5, s9, v3
	v_add_u32_e32 v5, v3, v5
	v_lshrrev_b32_e32 v5, s10, v5
	v_mul_lo_u32 v7, v5, s8
	v_mul_hi_u32 v9, s18, v5
	v_sub_u32_e32 v3, v3, v7
	v_add_u32_e32 v7, v5, v9
	v_mul_lo_u32 v9, v3, s12
	v_mul_lo_u32 v11, v3, s13
	;; [unrolled: 1-line block ×3, first 2 shown]
	v_lshrrev_b32_e32 v3, s19, v7
	v_mul_lo_u32 v7, v3, s11
	v_sub_u32_e32 v5, v5, v7
	s_addc_u32 s3, s17, 0
	s_add_i32 s7, s7, -2
	v_mul_lo_u32 v7, v5, s15
	v_mul_lo_u32 v14, v5, s20
	;; [unrolled: 1-line block ×3, first 2 shown]
	s_cmp_lg_u32 s7, 0
	v_add3_u32 v4, v9, v4, v7
	v_add3_u32 v18, v13, v18, v5
	;; [unrolled: 1-line block ×3, first 2 shown]
	s_cbranch_scc1 .LBB68_123
; %bb.124:
	s_bitcmp1_b32 s6, 0
	s_cselect_b64 s[6:7], -1, 0
	s_and_b64 vcc, exec, s[6:7]
	s_cbranch_vccnz .LBB68_127
; %bb.125:
	s_load_dwordx2 s[6:7], s[2:3], 0x18
	s_load_dword s10, s[2:3], 0x20
	s_load_dword s11, s[2:3], 0xe0
	s_load_dwordx2 s[8:9], s[2:3], 0xd8
	s_waitcnt lgkmcnt(0)
	v_mul_hi_u32 v5, s7, v3
	v_add_u32_e32 v5, v3, v5
	v_lshrrev_b32_e32 v5, s10, v5
	v_mul_lo_u32 v5, v5, s6
	v_sub_u32_e32 v3, v3, v5
	v_mad_u64_u32 v[4:5], s[2:3], v3, s8, v[4:5]
	v_mad_u64_u32 v[16:17], s[2:3], v3, s9, v[16:17]
	;; [unrolled: 1-line block ×3, first 2 shown]
	s_cbranch_execz .LBB68_128
	s_branch .LBB68_130
.LBB68_126:
                                        ; implicit-def: $vgpr18
                                        ; implicit-def: $vgpr16
                                        ; implicit-def: $vgpr4
	s_branch .LBB68_128
.LBB68_127:
	s_cbranch_execnz .LBB68_130
.LBB68_128:
	s_load_dwordx4 s[8:11], s[4:5], 0x4
	s_load_dwordx4 s[12:15], s[4:5], 0xc4
	s_cmp_lt_u32 s33, 2
	s_waitcnt lgkmcnt(0)
	v_mul_hi_u32 v3, s9, v1
	v_add_u32_e32 v3, v1, v3
	v_lshrrev_b32_e32 v3, s10, v3
	v_mul_lo_u32 v4, v3, s8
	v_sub_u32_e32 v1, v1, v4
	v_mul_lo_u32 v4, v1, s12
	v_mul_lo_u32 v18, v1, s14
	;; [unrolled: 1-line block ×3, first 2 shown]
	s_cbranch_scc1 .LBB68_130
; %bb.129:
	s_load_dwordx4 s[8:11], s[4:5], 0x10
	s_load_dwordx4 s[12:15], s[4:5], 0xd0
	s_waitcnt lgkmcnt(0)
	v_mul_hi_u32 v1, s9, v3
	v_add_u32_e32 v1, v3, v1
	v_lshrrev_b32_e32 v1, s10, v1
	v_mul_lo_u32 v1, v1, s8
	v_sub_u32_e32 v1, v3, v1
	v_mad_u64_u32 v[4:5], s[2:3], v1, s12, v[4:5]
	v_mad_u64_u32 v[16:17], s[2:3], v1, s13, v[16:17]
	;; [unrolled: 1-line block ×3, first 2 shown]
.LBB68_130:
	s_and_b64 vcc, exec, s[0:1]
	s_cbranch_vccnz .LBB68_136
; %bb.131:
	s_cmp_lg_u32 s33, 0
	v_mov_b32_e32 v22, 0
	v_mov_b32_e32 v20, 0
	;; [unrolled: 1-line block ×3, first 2 shown]
	s_cbranch_scc0 .LBB68_137
; %bb.132:
	s_min_u32 s2, s44, 15
	s_add_i32 s0, s2, 1
	s_and_b32 s3, s0, 30
	s_add_u32 s0, s4, 0xffffffec
	s_addc_u32 s1, s5, -1
	v_mov_b32_e32 v14, 0
	v_mov_b32_e32 v1, v24
	;; [unrolled: 1-line block ×4, first 2 shown]
.LBB68_133:                             ; =>This Inner Loop Header: Depth=1
	s_mov_b64 s[6:7], s[0:1]
	s_load_dwordx4 s[8:11], s[6:7], 0x18
	s_load_dwordx2 s[16:17], s[6:7], 0x28
	s_load_dwordx2 s[18:19], s[6:7], 0xe8
	s_load_dwordx4 s[12:15], s[6:7], 0xd8
	s_add_u32 s0, s6, 24
	s_waitcnt lgkmcnt(0)
	v_mul_hi_u32 v3, s9, v1
	v_add_u32_e32 v3, v1, v3
	v_lshrrev_b32_e32 v3, s10, v3
	v_mul_lo_u32 v5, v3, s8
	v_mul_hi_u32 v7, s16, v3
	v_sub_u32_e32 v1, v1, v5
	v_add_u32_e32 v5, v3, v7
	v_mul_lo_u32 v7, v1, s12
	v_mul_lo_u32 v9, v1, s13
	;; [unrolled: 1-line block ×3, first 2 shown]
	v_lshrrev_b32_e32 v1, s17, v5
	v_mul_lo_u32 v5, v1, s11
	v_sub_u32_e32 v3, v3, v5
	s_addc_u32 s1, s7, 0
	s_add_i32 s3, s3, -2
	v_mul_lo_u32 v5, v3, s15
	v_mul_lo_u32 v13, v3, s18
	;; [unrolled: 1-line block ×3, first 2 shown]
	s_cmp_lg_u32 s3, 0
	v_add3_u32 v14, v7, v14, v5
	v_add3_u32 v22, v11, v22, v3
	v_add3_u32 v20, v9, v20, v13
	s_cbranch_scc1 .LBB68_133
; %bb.134:
	s_bitcmp1_b32 s2, 0
	s_cselect_b64 s[2:3], -1, 0
	s_and_b64 vcc, exec, s[2:3]
	s_cbranch_vccnz .LBB68_137
; %bb.135:
	s_load_dwordx2 s[2:3], s[0:1], 0x18
	s_load_dword s8, s[0:1], 0x20
	s_load_dword s9, s[0:1], 0xe0
	s_load_dwordx2 s[6:7], s[0:1], 0xd8
	s_waitcnt lgkmcnt(0)
	v_mul_hi_u32 v3, s3, v1
	v_add_u32_e32 v3, v1, v3
	v_lshrrev_b32_e32 v3, s8, v3
	v_mul_lo_u32 v3, v3, s2
	v_sub_u32_e32 v1, v1, v3
	v_mad_u64_u32 v[14:15], s[0:1], v1, s6, v[14:15]
	v_mad_u64_u32 v[20:21], s[0:1], v1, s7, v[20:21]
	;; [unrolled: 1-line block ×3, first 2 shown]
	s_cbranch_execz .LBB68_138
	s_branch .LBB68_140
.LBB68_136:
                                        ; implicit-def: $vgpr22
                                        ; implicit-def: $vgpr20
                                        ; implicit-def: $vgpr14
	s_branch .LBB68_138
.LBB68_137:
	s_cbranch_execnz .LBB68_140
.LBB68_138:
	s_load_dwordx4 s[0:3], s[4:5], 0x4
	s_load_dwordx4 s[8:11], s[4:5], 0xc4
	s_cmp_lt_u32 s33, 2
	s_waitcnt lgkmcnt(0)
	v_mul_hi_u32 v1, s1, v24
	v_add_u32_e32 v1, v24, v1
	v_lshrrev_b32_e32 v1, s2, v1
	v_mul_lo_u32 v3, v1, s0
	v_sub_u32_e32 v3, v24, v3
	v_mul_lo_u32 v14, v3, s8
	v_mul_lo_u32 v22, v3, s10
	;; [unrolled: 1-line block ×3, first 2 shown]
	s_cbranch_scc1 .LBB68_140
; %bb.139:
	s_load_dwordx4 s[0:3], s[4:5], 0x10
	s_load_dwordx4 s[8:11], s[4:5], 0xd0
	s_waitcnt lgkmcnt(0)
	v_mul_hi_u32 v3, s1, v1
	v_add_u32_e32 v3, v1, v3
	v_lshrrev_b32_e32 v3, s2, v3
	v_mul_lo_u32 v3, v3, s0
	v_sub_u32_e32 v1, v1, v3
	v_mad_u64_u32 v[14:15], s[0:1], v1, s8, v[14:15]
	v_mad_u64_u32 v[20:21], s[0:1], v1, s9, v[20:21]
	v_mad_u64_u32 v[22:23], s[0:1], v1, s10, v[22:23]
.LBB68_140:
	s_load_dwordx2 s[6:7], s[4:5], 0x198
	s_mov_b32 s0, 0x2f800000
	s_mov_b32 s1, 0xcf800000
	s_waitcnt lgkmcnt(0)
	global_load_dword v1, v8, s[6:7]
	s_waitcnt vmcnt(0)
	v_trunc_f32_e32 v1, v1
	v_mul_f32_e64 v3, |v1|, s0
	v_floor_f32_e32 v3, v3
	v_fma_f32 v5, v3, s1, |v1|
	v_cvt_u32_f32_e32 v5, v5
	v_cvt_u32_f32_e32 v3, v3
	s_load_dwordx4 s[0:3], s[4:5], 0x188
	v_ashrrev_i32_e32 v1, 31, v1
	v_xor_b32_e32 v5, v5, v1
	v_xor_b32_e32 v3, v3, v1
	v_sub_co_u32_e32 v8, vcc, v5, v1
	v_subb_co_u32_e32 v9, vcc, v3, v1, vcc
	v_cmp_lt_i64_e32 vcc, -1, v[8:9]
	v_mov_b32_e32 v1, 0
	s_and_saveexec_b64 s[4:5], vcc
	s_cbranch_execz .LBB68_152
; %bb.141:
	v_cmp_lt_i64_e32 vcc, 0, v[8:9]
	v_mov_b32_e32 v1, 1.0
	s_and_saveexec_b64 s[8:9], vcc
	s_cbranch_execz .LBB68_151
; %bb.142:
	s_waitcnt lgkmcnt(0)
	global_load_ushort v1, v6, s[2:3]
	v_cmp_ne_u64_e32 vcc, 1, v[8:9]
	s_waitcnt vmcnt(0)
	v_lshlrev_b32_e32 v3, 16, v1
                                        ; implicit-def: $vgpr1
	s_and_saveexec_b64 s[10:11], vcc
	s_xor_b64 s[10:11], exec, s[10:11]
	s_cbranch_execz .LBB68_148
; %bb.143:
	s_mov_b64 s[12:13], 0x81
	v_cmp_gt_u64_e32 vcc, s[12:13], v[8:9]
	v_mov_b32_e32 v1, 0x7fc00000
	s_and_saveexec_b64 s[12:13], vcc
	s_cbranch_execz .LBB68_147
; %bb.144:
	s_mov_b64 s[16:17], 1
	s_mov_b64 s[14:15], 0
	v_mov_b32_e32 v5, 1.0
	v_mov_b32_e32 v1, v3
.LBB68_145:                             ; =>This Inner Loop Header: Depth=1
	s_flbit_i32_b32 s18, s17
	s_min_u32 s20, s18, 32
	s_lshl_b64 s[18:19], s[16:17], s20
	s_min_u32 s18, s18, 1
	s_or_b32 s18, s19, s18
	v_cvt_f32_u32_e32 v6, s18
	s_sub_i32 s20, 32, s20
	s_add_u32 s16, s16, 1
	s_addc_u32 s17, s17, 0
	v_ldexp_f32 v6, v6, s20
	v_cmp_eq_u64_e32 vcc, s[16:17], v[8:9]
	v_mul_f32_e32 v6, v5, v6
	s_or_b64 s[14:15], vcc, s[14:15]
	v_mov_b32_e32 v5, v1
	v_fma_f32 v1, v1, v3, -v6
	s_andn2_b64 exec, exec, s[14:15]
	s_cbranch_execnz .LBB68_145
; %bb.146:
	s_or_b64 exec, exec, s[14:15]
.LBB68_147:
	s_or_b64 exec, exec, s[12:13]
                                        ; implicit-def: $vgpr3
.LBB68_148:
	s_andn2_saveexec_b64 s[10:11], s[10:11]
; %bb.149:
	v_mov_b32_e32 v1, v3
; %bb.150:
	s_or_b64 exec, exec, s[10:11]
.LBB68_151:
	s_or_b64 exec, exec, s[8:9]
.LBB68_152:
	s_or_b64 exec, exec, s[4:5]
	global_load_dword v3, v12, s[6:7]
	s_mov_b32 s4, 0x2f800000
	s_mov_b32 s5, 0xcf800000
	s_waitcnt vmcnt(0)
	v_trunc_f32_e32 v3, v3
	v_mul_f32_e64 v5, |v3|, s4
	v_floor_f32_e32 v5, v5
	v_fma_f32 v6, v5, s5, |v3|
	v_cvt_u32_f32_e32 v6, v6
	v_cvt_u32_f32_e32 v5, v5
	v_ashrrev_i32_e32 v3, 31, v3
	v_xor_b32_e32 v6, v6, v3
	v_xor_b32_e32 v5, v5, v3
	v_sub_co_u32_e32 v6, vcc, v6, v3
	v_subb_co_u32_e32 v7, vcc, v5, v3, vcc
	v_cmp_lt_i64_e32 vcc, -1, v[6:7]
	v_mov_b32_e32 v3, 0
	s_and_saveexec_b64 s[4:5], vcc
	s_cbranch_execz .LBB68_164
; %bb.153:
	v_cmp_lt_i64_e32 vcc, 0, v[6:7]
	v_mov_b32_e32 v3, 1.0
	s_and_saveexec_b64 s[8:9], vcc
	s_cbranch_execz .LBB68_163
; %bb.154:
	s_waitcnt lgkmcnt(0)
	global_load_ushort v3, v10, s[2:3]
	v_cmp_ne_u64_e32 vcc, 1, v[6:7]
	s_waitcnt vmcnt(0)
	v_lshlrev_b32_e32 v5, 16, v3
                                        ; implicit-def: $vgpr3
	s_and_saveexec_b64 s[10:11], vcc
	s_xor_b64 s[10:11], exec, s[10:11]
	s_cbranch_execz .LBB68_160
; %bb.155:
	s_mov_b64 s[12:13], 0x81
	v_cmp_gt_u64_e32 vcc, s[12:13], v[6:7]
	v_mov_b32_e32 v3, 0x7fc00000
	s_and_saveexec_b64 s[12:13], vcc
	s_cbranch_execz .LBB68_159
; %bb.156:
	s_mov_b64 s[16:17], 1
	s_mov_b64 s[14:15], 0
	v_mov_b32_e32 v8, 1.0
	v_mov_b32_e32 v3, v5
.LBB68_157:                             ; =>This Inner Loop Header: Depth=1
	s_flbit_i32_b32 s18, s17
	s_min_u32 s20, s18, 32
	s_lshl_b64 s[18:19], s[16:17], s20
	s_min_u32 s18, s18, 1
	s_or_b32 s18, s19, s18
	v_cvt_f32_u32_e32 v9, s18
	s_sub_i32 s20, 32, s20
	s_add_u32 s16, s16, 1
	s_addc_u32 s17, s17, 0
	v_ldexp_f32 v9, v9, s20
	v_cmp_eq_u64_e32 vcc, s[16:17], v[6:7]
	v_mul_f32_e32 v9, v8, v9
	s_or_b64 s[14:15], vcc, s[14:15]
	v_mov_b32_e32 v8, v3
	v_fma_f32 v3, v3, v5, -v9
	s_andn2_b64 exec, exec, s[14:15]
	s_cbranch_execnz .LBB68_157
; %bb.158:
	s_or_b64 exec, exec, s[14:15]
.LBB68_159:
	s_or_b64 exec, exec, s[12:13]
                                        ; implicit-def: $vgpr5
.LBB68_160:
	s_andn2_saveexec_b64 s[10:11], s[10:11]
; %bb.161:
	v_mov_b32_e32 v3, v5
; %bb.162:
	s_or_b64 exec, exec, s[10:11]
.LBB68_163:
	s_or_b64 exec, exec, s[8:9]
.LBB68_164:
	s_or_b64 exec, exec, s[4:5]
	global_load_dword v5, v18, s[6:7]
	s_mov_b32 s4, 0x2f800000
	s_mov_b32 s5, 0xcf800000
	s_waitcnt vmcnt(0)
	v_trunc_f32_e32 v5, v5
	v_mul_f32_e64 v6, |v5|, s4
	v_floor_f32_e32 v6, v6
	v_fma_f32 v7, v6, s5, |v5|
	v_cvt_u32_f32_e32 v6, v6
	v_cvt_u32_f32_e32 v7, v7
	v_ashrrev_i32_e32 v5, 31, v5
	v_xor_b32_e32 v8, v6, v5
	v_xor_b32_e32 v6, v7, v5
	v_sub_co_u32_e32 v6, vcc, v6, v5
	v_subb_co_u32_e32 v7, vcc, v8, v5, vcc
	v_cmp_lt_i64_e32 vcc, -1, v[6:7]
	v_mov_b32_e32 v5, 0
	s_and_saveexec_b64 s[4:5], vcc
	s_cbranch_execz .LBB68_176
; %bb.165:
	v_cmp_lt_i64_e32 vcc, 0, v[6:7]
	v_mov_b32_e32 v5, 1.0
	s_and_saveexec_b64 s[8:9], vcc
	s_cbranch_execz .LBB68_175
; %bb.166:
	s_waitcnt lgkmcnt(0)
	global_load_ushort v5, v16, s[2:3]
	v_cmp_ne_u64_e32 vcc, 1, v[6:7]
	s_waitcnt vmcnt(0)
	v_lshlrev_b32_e32 v8, 16, v5
                                        ; implicit-def: $vgpr5
	s_and_saveexec_b64 s[10:11], vcc
	s_xor_b64 s[10:11], exec, s[10:11]
	s_cbranch_execz .LBB68_172
; %bb.167:
	s_mov_b64 s[12:13], 0x81
	v_cmp_gt_u64_e32 vcc, s[12:13], v[6:7]
	v_mov_b32_e32 v5, 0x7fc00000
	s_and_saveexec_b64 s[12:13], vcc
	s_cbranch_execz .LBB68_171
; %bb.168:
	s_mov_b64 s[16:17], 1
	s_mov_b64 s[14:15], 0
	v_mov_b32_e32 v9, 1.0
	v_mov_b32_e32 v5, v8
.LBB68_169:                             ; =>This Inner Loop Header: Depth=1
	s_flbit_i32_b32 s18, s17
	s_min_u32 s20, s18, 32
	s_lshl_b64 s[18:19], s[16:17], s20
	s_min_u32 s18, s18, 1
	s_or_b32 s18, s19, s18
	v_cvt_f32_u32_e32 v10, s18
	s_sub_i32 s20, 32, s20
	s_add_u32 s16, s16, 1
	s_addc_u32 s17, s17, 0
	v_ldexp_f32 v10, v10, s20
	v_cmp_eq_u64_e32 vcc, s[16:17], v[6:7]
	v_mul_f32_e32 v10, v9, v10
	s_or_b64 s[14:15], vcc, s[14:15]
	v_mov_b32_e32 v9, v5
	v_fma_f32 v5, v5, v8, -v10
	s_andn2_b64 exec, exec, s[14:15]
	s_cbranch_execnz .LBB68_169
; %bb.170:
	s_or_b64 exec, exec, s[14:15]
.LBB68_171:
	s_or_b64 exec, exec, s[12:13]
                                        ; implicit-def: $vgpr8
.LBB68_172:
	s_andn2_saveexec_b64 s[10:11], s[10:11]
; %bb.173:
	v_mov_b32_e32 v5, v8
; %bb.174:
	s_or_b64 exec, exec, s[10:11]
.LBB68_175:
	s_or_b64 exec, exec, s[8:9]
.LBB68_176:
	s_or_b64 exec, exec, s[4:5]
	global_load_dword v6, v22, s[6:7]
	s_mov_b32 s4, 0x2f800000
	s_mov_b32 s5, 0xcf800000
	s_waitcnt vmcnt(0)
	v_trunc_f32_e32 v6, v6
	v_mul_f32_e64 v7, |v6|, s4
	v_floor_f32_e32 v7, v7
	v_fma_f32 v8, v7, s5, |v6|
	v_cvt_u32_f32_e32 v8, v8
	v_cvt_u32_f32_e32 v7, v7
	v_ashrrev_i32_e32 v9, 31, v6
	v_xor_b32_e32 v6, v8, v9
	v_xor_b32_e32 v7, v7, v9
	v_sub_co_u32_e32 v6, vcc, v6, v9
	v_subb_co_u32_e32 v7, vcc, v7, v9, vcc
	v_cmp_lt_i64_e32 vcc, -1, v[6:7]
	v_mov_b32_e32 v8, 0
	s_and_saveexec_b64 s[4:5], vcc
	s_cbranch_execz .LBB68_188
; %bb.177:
	v_cmp_lt_i64_e32 vcc, 0, v[6:7]
	v_mov_b32_e32 v8, 1.0
	s_and_saveexec_b64 s[6:7], vcc
	s_cbranch_execz .LBB68_187
; %bb.178:
	s_waitcnt lgkmcnt(0)
	global_load_ushort v8, v20, s[2:3]
	v_cmp_ne_u64_e32 vcc, 1, v[6:7]
	s_waitcnt vmcnt(0)
	v_lshlrev_b32_e32 v9, 16, v8
                                        ; implicit-def: $vgpr8
	s_and_saveexec_b64 s[2:3], vcc
	s_xor_b64 s[2:3], exec, s[2:3]
	s_cbranch_execz .LBB68_184
; %bb.179:
	s_mov_b64 s[8:9], 0x81
	v_cmp_gt_u64_e32 vcc, s[8:9], v[6:7]
	v_mov_b32_e32 v8, 0x7fc00000
	s_and_saveexec_b64 s[8:9], vcc
	s_cbranch_execz .LBB68_183
; %bb.180:
	s_mov_b64 s[12:13], 1
	s_mov_b64 s[10:11], 0
	v_mov_b32_e32 v10, 1.0
	v_mov_b32_e32 v8, v9
.LBB68_181:                             ; =>This Inner Loop Header: Depth=1
	s_flbit_i32_b32 s14, s13
	s_min_u32 s16, s14, 32
	s_lshl_b64 s[14:15], s[12:13], s16
	s_min_u32 s14, s14, 1
	s_or_b32 s14, s15, s14
	v_cvt_f32_u32_e32 v11, s14
	s_sub_i32 s16, 32, s16
	s_add_u32 s12, s12, 1
	s_addc_u32 s13, s13, 0
	v_ldexp_f32 v11, v11, s16
	v_cmp_eq_u64_e32 vcc, s[12:13], v[6:7]
	v_mul_f32_e32 v11, v10, v11
	s_or_b64 s[10:11], vcc, s[10:11]
	v_mov_b32_e32 v10, v8
	v_fma_f32 v8, v8, v9, -v11
	s_andn2_b64 exec, exec, s[10:11]
	s_cbranch_execnz .LBB68_181
; %bb.182:
	s_or_b64 exec, exec, s[10:11]
.LBB68_183:
	s_or_b64 exec, exec, s[8:9]
                                        ; implicit-def: $vgpr9
.LBB68_184:
	s_andn2_saveexec_b64 s[2:3], s[2:3]
; %bb.185:
	v_mov_b32_e32 v8, v9
; %bb.186:
	s_or_b64 exec, exec, s[2:3]
.LBB68_187:
	s_or_b64 exec, exec, s[6:7]
.LBB68_188:
	s_or_b64 exec, exec, s[4:5]
	s_waitcnt lgkmcnt(0)
	global_store_dword v0, v1, s[0:1]
	global_store_dword v2, v3, s[0:1]
	;; [unrolled: 1-line block ×4, first 2 shown]
	s_endpgm
	.section	.rodata,"a",@progbits
	.p2align	6, 0x0
	.amdhsa_kernel _ZN2at6native32elementwise_kernel_manual_unrollILi128ELi4EZNS0_12_GLOBAL__N_142type_specialized_broadcast_kernel_launcherILi1EE5applyINS0_13BinaryFunctorIfffZZZNS2_33hermite_polynomial_he_kernel_cudaERNS_18TensorIteratorBaseEENKUlvE_clEvENKUlvE0_clEvEUlffE_EESt5arrayIPcLm3EESD_IN3c1010ScalarTypeELm3EE16OffsetCalculatorILi3EjLb0EEEEvlT_T0_T1_T2_EUlibE_EEviSN_
		.amdhsa_group_segment_fixed_size 0
		.amdhsa_private_segment_fixed_size 0
		.amdhsa_kernarg_size 432
		.amdhsa_user_sgpr_count 6
		.amdhsa_user_sgpr_private_segment_buffer 1
		.amdhsa_user_sgpr_dispatch_ptr 0
		.amdhsa_user_sgpr_queue_ptr 0
		.amdhsa_user_sgpr_kernarg_segment_ptr 1
		.amdhsa_user_sgpr_dispatch_id 0
		.amdhsa_user_sgpr_flat_scratch_init 0
		.amdhsa_user_sgpr_kernarg_preload_length 0
		.amdhsa_user_sgpr_kernarg_preload_offset 0
		.amdhsa_user_sgpr_private_segment_size 0
		.amdhsa_uses_dynamic_stack 0
		.amdhsa_system_sgpr_private_segment_wavefront_offset 0
		.amdhsa_system_sgpr_workgroup_id_x 1
		.amdhsa_system_sgpr_workgroup_id_y 0
		.amdhsa_system_sgpr_workgroup_id_z 0
		.amdhsa_system_sgpr_workgroup_info 0
		.amdhsa_system_vgpr_workitem_id 0
		.amdhsa_next_free_vgpr 25
		.amdhsa_next_free_sgpr 54
		.amdhsa_accum_offset 28
		.amdhsa_reserve_vcc 1
		.amdhsa_reserve_flat_scratch 0
		.amdhsa_float_round_mode_32 0
		.amdhsa_float_round_mode_16_64 0
		.amdhsa_float_denorm_mode_32 3
		.amdhsa_float_denorm_mode_16_64 3
		.amdhsa_dx10_clamp 1
		.amdhsa_ieee_mode 1
		.amdhsa_fp16_overflow 0
		.amdhsa_tg_split 0
		.amdhsa_exception_fp_ieee_invalid_op 0
		.amdhsa_exception_fp_denorm_src 0
		.amdhsa_exception_fp_ieee_div_zero 0
		.amdhsa_exception_fp_ieee_overflow 0
		.amdhsa_exception_fp_ieee_underflow 0
		.amdhsa_exception_fp_ieee_inexact 0
		.amdhsa_exception_int_div_zero 0
	.end_amdhsa_kernel
	.section	.text._ZN2at6native32elementwise_kernel_manual_unrollILi128ELi4EZNS0_12_GLOBAL__N_142type_specialized_broadcast_kernel_launcherILi1EE5applyINS0_13BinaryFunctorIfffZZZNS2_33hermite_polynomial_he_kernel_cudaERNS_18TensorIteratorBaseEENKUlvE_clEvENKUlvE0_clEvEUlffE_EESt5arrayIPcLm3EESD_IN3c1010ScalarTypeELm3EE16OffsetCalculatorILi3EjLb0EEEEvlT_T0_T1_T2_EUlibE_EEviSN_,"axG",@progbits,_ZN2at6native32elementwise_kernel_manual_unrollILi128ELi4EZNS0_12_GLOBAL__N_142type_specialized_broadcast_kernel_launcherILi1EE5applyINS0_13BinaryFunctorIfffZZZNS2_33hermite_polynomial_he_kernel_cudaERNS_18TensorIteratorBaseEENKUlvE_clEvENKUlvE0_clEvEUlffE_EESt5arrayIPcLm3EESD_IN3c1010ScalarTypeELm3EE16OffsetCalculatorILi3EjLb0EEEEvlT_T0_T1_T2_EUlibE_EEviSN_,comdat
.Lfunc_end68:
	.size	_ZN2at6native32elementwise_kernel_manual_unrollILi128ELi4EZNS0_12_GLOBAL__N_142type_specialized_broadcast_kernel_launcherILi1EE5applyINS0_13BinaryFunctorIfffZZZNS2_33hermite_polynomial_he_kernel_cudaERNS_18TensorIteratorBaseEENKUlvE_clEvENKUlvE0_clEvEUlffE_EESt5arrayIPcLm3EESD_IN3c1010ScalarTypeELm3EE16OffsetCalculatorILi3EjLb0EEEEvlT_T0_T1_T2_EUlibE_EEviSN_, .Lfunc_end68-_ZN2at6native32elementwise_kernel_manual_unrollILi128ELi4EZNS0_12_GLOBAL__N_142type_specialized_broadcast_kernel_launcherILi1EE5applyINS0_13BinaryFunctorIfffZZZNS2_33hermite_polynomial_he_kernel_cudaERNS_18TensorIteratorBaseEENKUlvE_clEvENKUlvE0_clEvEUlffE_EESt5arrayIPcLm3EESD_IN3c1010ScalarTypeELm3EE16OffsetCalculatorILi3EjLb0EEEEvlT_T0_T1_T2_EUlibE_EEviSN_
                                        ; -- End function
	.section	.AMDGPU.csdata,"",@progbits
; Kernel info:
; codeLenInByte = 6816
; NumSgprs: 58
; NumVgprs: 25
; NumAgprs: 0
; TotalNumVgprs: 25
; ScratchSize: 0
; MemoryBound: 0
; FloatMode: 240
; IeeeMode: 1
; LDSByteSize: 0 bytes/workgroup (compile time only)
; SGPRBlocks: 7
; VGPRBlocks: 3
; NumSGPRsForWavesPerEU: 58
; NumVGPRsForWavesPerEU: 25
; AccumOffset: 28
; Occupancy: 8
; WaveLimiterHint : 1
; COMPUTE_PGM_RSRC2:SCRATCH_EN: 0
; COMPUTE_PGM_RSRC2:USER_SGPR: 6
; COMPUTE_PGM_RSRC2:TRAP_HANDLER: 0
; COMPUTE_PGM_RSRC2:TGID_X_EN: 1
; COMPUTE_PGM_RSRC2:TGID_Y_EN: 0
; COMPUTE_PGM_RSRC2:TGID_Z_EN: 0
; COMPUTE_PGM_RSRC2:TIDIG_COMP_CNT: 0
; COMPUTE_PGM_RSRC3_GFX90A:ACCUM_OFFSET: 6
; COMPUTE_PGM_RSRC3_GFX90A:TG_SPLIT: 0
	.section	.text._ZN2at6native32elementwise_kernel_manual_unrollILi128ELi4EZNS0_12_GLOBAL__N_142type_specialized_broadcast_kernel_launcherILi2EE5applyINS0_13BinaryFunctorIfffZZZNS2_33hermite_polynomial_he_kernel_cudaERNS_18TensorIteratorBaseEENKUlvE_clEvENKUlvE0_clEvEUlffE_EESt5arrayIPcLm3EESD_IN3c1010ScalarTypeELm3EE16OffsetCalculatorILi3EjLb0EEEEvlT_T0_T1_T2_EUlibE_EEviSN_,"axG",@progbits,_ZN2at6native32elementwise_kernel_manual_unrollILi128ELi4EZNS0_12_GLOBAL__N_142type_specialized_broadcast_kernel_launcherILi2EE5applyINS0_13BinaryFunctorIfffZZZNS2_33hermite_polynomial_he_kernel_cudaERNS_18TensorIteratorBaseEENKUlvE_clEvENKUlvE0_clEvEUlffE_EESt5arrayIPcLm3EESD_IN3c1010ScalarTypeELm3EE16OffsetCalculatorILi3EjLb0EEEEvlT_T0_T1_T2_EUlibE_EEviSN_,comdat
	.globl	_ZN2at6native32elementwise_kernel_manual_unrollILi128ELi4EZNS0_12_GLOBAL__N_142type_specialized_broadcast_kernel_launcherILi2EE5applyINS0_13BinaryFunctorIfffZZZNS2_33hermite_polynomial_he_kernel_cudaERNS_18TensorIteratorBaseEENKUlvE_clEvENKUlvE0_clEvEUlffE_EESt5arrayIPcLm3EESD_IN3c1010ScalarTypeELm3EE16OffsetCalculatorILi3EjLb0EEEEvlT_T0_T1_T2_EUlibE_EEviSN_ ; -- Begin function _ZN2at6native32elementwise_kernel_manual_unrollILi128ELi4EZNS0_12_GLOBAL__N_142type_specialized_broadcast_kernel_launcherILi2EE5applyINS0_13BinaryFunctorIfffZZZNS2_33hermite_polynomial_he_kernel_cudaERNS_18TensorIteratorBaseEENKUlvE_clEvENKUlvE0_clEvEUlffE_EESt5arrayIPcLm3EESD_IN3c1010ScalarTypeELm3EE16OffsetCalculatorILi3EjLb0EEEEvlT_T0_T1_T2_EUlibE_EEviSN_
	.p2align	8
	.type	_ZN2at6native32elementwise_kernel_manual_unrollILi128ELi4EZNS0_12_GLOBAL__N_142type_specialized_broadcast_kernel_launcherILi2EE5applyINS0_13BinaryFunctorIfffZZZNS2_33hermite_polynomial_he_kernel_cudaERNS_18TensorIteratorBaseEENKUlvE_clEvENKUlvE0_clEvEUlffE_EESt5arrayIPcLm3EESD_IN3c1010ScalarTypeELm3EE16OffsetCalculatorILi3EjLb0EEEEvlT_T0_T1_T2_EUlibE_EEviSN_,@function
_ZN2at6native32elementwise_kernel_manual_unrollILi128ELi4EZNS0_12_GLOBAL__N_142type_specialized_broadcast_kernel_launcherILi2EE5applyINS0_13BinaryFunctorIfffZZZNS2_33hermite_polynomial_he_kernel_cudaERNS_18TensorIteratorBaseEENKUlvE_clEvENKUlvE0_clEvEUlffE_EESt5arrayIPcLm3EESD_IN3c1010ScalarTypeELm3EE16OffsetCalculatorILi3EjLb0EEEEvlT_T0_T1_T2_EUlibE_EEviSN_: ; @_ZN2at6native32elementwise_kernel_manual_unrollILi128ELi4EZNS0_12_GLOBAL__N_142type_specialized_broadcast_kernel_launcherILi2EE5applyINS0_13BinaryFunctorIfffZZZNS2_33hermite_polynomial_he_kernel_cudaERNS_18TensorIteratorBaseEENKUlvE_clEvENKUlvE0_clEvEUlffE_EESt5arrayIPcLm3EESD_IN3c1010ScalarTypeELm3EE16OffsetCalculatorILi3EjLb0EEEEvlT_T0_T1_T2_EUlibE_EEviSN_
; %bb.0:
	s_load_dword s46, s[4:5], 0x0
	s_load_dword s33, s[4:5], 0x8
	s_or_b32 s4, s4, 8
	v_lshl_or_b32 v14, s6, 9, v0
	v_or_b32_e32 v24, 0x180, v14
	s_waitcnt lgkmcnt(0)
	v_cmp_le_i32_e32 vcc, s46, v24
	s_add_i32 s44, s33, -1
	s_cmp_gt_u32 s44, 1
	s_cselect_b64 s[6:7], -1, 0
	s_mov_b64 s[8:9], 0
                                        ; implicit-def: $vgpr6_vgpr7
                                        ; implicit-def: $vgpr5
	s_and_saveexec_b64 s[0:1], vcc
	s_xor_b64 s[16:17], exec, s[0:1]
	s_cbranch_execnz .LBB69_4
; %bb.1:
	s_andn2_saveexec_b64 s[10:11], s[16:17]
	s_cbranch_execnz .LBB69_101
.LBB69_2:
	s_or_b64 exec, exec, s[10:11]
	s_and_saveexec_b64 s[0:1], s[8:9]
	s_cbranch_execnz .LBB69_190
.LBB69_3:
	s_endpgm
.LBB69_4:
	s_load_dwordx4 s[12:15], s[4:5], 0x4
	s_load_dwordx2 s[22:23], s[4:5], 0x14
	s_load_dwordx4 s[8:11], s[4:5], 0xc4
	s_load_dwordx2 s[20:21], s[4:5], 0xd4
	s_load_dwordx2 s[18:19], s[4:5], 0x198
	s_load_dwordx4 s[0:3], s[4:5], 0x188
	s_cmp_lg_u32 s33, 0
	s_cselect_b64 s[26:27], -1, 0
	s_min_u32 s45, s44, 15
	s_cmp_gt_u32 s33, 1
	s_cselect_b64 s[24:25], -1, 0
	v_cmp_gt_i32_e32 vcc, s46, v14
	s_and_saveexec_b64 s[28:29], vcc
	s_cbranch_execnz .LBB69_7
; %bb.5:
	s_or_b64 exec, exec, s[28:29]
	v_cmp_gt_i32_e32 vcc, s46, v14
	s_and_saveexec_b64 s[28:29], vcc
	s_cbranch_execnz .LBB69_30
.LBB69_6:
	s_or_b64 exec, exec, s[28:29]
	v_cmp_gt_i32_e32 vcc, s46, v14
	s_and_saveexec_b64 s[28:29], vcc
	s_cbranch_execnz .LBB69_53
	s_branch .LBB69_76
.LBB69_7:
	s_andn2_b64 vcc, exec, s[6:7]
	s_cbranch_vccnz .LBB69_14
; %bb.8:
	s_andn2_b64 vcc, exec, s[26:27]
	v_mov_b32_e32 v4, 0
	v_mov_b32_e32 v2, 0
	;; [unrolled: 1-line block ×3, first 2 shown]
	s_cbranch_vccnz .LBB69_13
; %bb.9:
	s_add_i32 s30, s45, 1
	s_and_b32 s34, s30, 30
	s_add_u32 s30, s4, 0xffffffec
	s_addc_u32 s31, s5, -1
	v_mov_b32_e32 v0, 0
	v_mov_b32_e32 v1, v14
	;; [unrolled: 1-line block ×4, first 2 shown]
.LBB69_10:                              ; =>This Inner Loop Header: Depth=1
	s_mov_b64 s[48:49], s[30:31]
	s_load_dwordx4 s[36:39], s[48:49], 0x18
	s_load_dwordx2 s[50:51], s[48:49], 0x28
	s_load_dwordx2 s[52:53], s[48:49], 0xe8
	s_load_dwordx4 s[40:43], s[48:49], 0xd8
	s_add_u32 s30, s48, 24
	s_waitcnt lgkmcnt(0)
	v_mul_hi_u32 v3, s37, v1
	v_add_u32_e32 v3, v1, v3
	v_lshrrev_b32_e32 v3, s38, v3
	v_mul_lo_u32 v5, v3, s36
	v_mul_hi_u32 v6, s50, v3
	v_sub_u32_e32 v1, v1, v5
	v_add_u32_e32 v5, v3, v6
	v_mul_lo_u32 v6, v1, s40
	v_mul_lo_u32 v7, v1, s41
	;; [unrolled: 1-line block ×3, first 2 shown]
	v_lshrrev_b32_e32 v1, s51, v5
	v_mul_lo_u32 v5, v1, s39
	v_sub_u32_e32 v3, v3, v5
	s_addc_u32 s31, s49, 0
	s_add_i32 s34, s34, -2
	v_mul_lo_u32 v5, v3, s43
	v_mul_lo_u32 v9, v3, s52
	;; [unrolled: 1-line block ×3, first 2 shown]
	s_cmp_lg_u32 s34, 0
	v_add3_u32 v0, v6, v0, v5
	v_add3_u32 v4, v8, v4, v3
	;; [unrolled: 1-line block ×3, first 2 shown]
	s_cbranch_scc1 .LBB69_10
; %bb.11:
	s_bitcmp1_b32 s45, 0
	s_cselect_b64 s[34:35], -1, 0
	s_and_b64 vcc, exec, s[34:35]
	s_cbranch_vccnz .LBB69_13
; %bb.12:
	s_load_dwordx2 s[34:35], s[30:31], 0x18
	s_load_dword s38, s[30:31], 0x20
	s_load_dword s39, s[30:31], 0xe0
	s_load_dwordx2 s[36:37], s[30:31], 0xd8
	s_waitcnt lgkmcnt(0)
	v_mul_hi_u32 v3, s35, v1
	v_add_u32_e32 v3, v1, v3
	v_lshrrev_b32_e32 v3, s38, v3
	v_mul_lo_u32 v3, v3, s34
	v_sub_u32_e32 v5, v1, v3
	v_mad_u64_u32 v[0:1], s[30:31], v5, s36, v[0:1]
	v_mad_u64_u32 v[2:3], s[30:31], v5, s37, v[2:3]
	;; [unrolled: 1-line block ×3, first 2 shown]
.LBB69_13:
	s_cbranch_execz .LBB69_15
	s_branch .LBB69_17
.LBB69_14:
                                        ; implicit-def: $vgpr4
                                        ; implicit-def: $vgpr2
                                        ; implicit-def: $vgpr0
.LBB69_15:
	s_waitcnt lgkmcnt(0)
	v_mul_hi_u32 v0, s13, v14
	v_add_u32_e32 v0, v14, v0
	v_lshrrev_b32_e32 v1, s14, v0
	v_mul_lo_u32 v0, v1, s12
	v_sub_u32_e32 v2, v14, v0
	v_mul_lo_u32 v0, v2, s8
	v_mul_lo_u32 v4, v2, s10
	s_andn2_b64 vcc, exec, s[24:25]
	v_mul_lo_u32 v2, v2, s9
	s_cbranch_vccnz .LBB69_17
; %bb.16:
	v_mul_hi_u32 v3, s22, v1
	v_add_u32_e32 v3, v1, v3
	v_lshrrev_b32_e32 v3, s23, v3
	v_mul_lo_u32 v3, v3, s15
	v_sub_u32_e32 v5, v1, v3
	v_mad_u64_u32 v[0:1], s[30:31], v5, s11, v[0:1]
	v_mad_u64_u32 v[2:3], s[30:31], v5, s20, v[2:3]
	;; [unrolled: 1-line block ×3, first 2 shown]
.LBB69_17:
	s_waitcnt lgkmcnt(0)
	global_load_dword v1, v4, s[18:19]
	s_mov_b32 s30, 0x2f800000
	s_mov_b32 s31, 0xcf800000
	s_waitcnt vmcnt(0)
	v_trunc_f32_e32 v1, v1
	v_mul_f32_e64 v3, |v1|, s30
	v_floor_f32_e32 v3, v3
	v_fma_f32 v4, v3, s31, |v1|
	v_cvt_u32_f32_e32 v4, v4
	v_cvt_u32_f32_e32 v3, v3
	v_ashrrev_i32_e32 v1, 31, v1
	v_xor_b32_e32 v4, v4, v1
	v_xor_b32_e32 v3, v3, v1
	v_sub_co_u32_e32 v4, vcc, v4, v1
	v_subb_co_u32_e32 v5, vcc, v3, v1, vcc
	v_cmp_lt_i64_e32 vcc, -1, v[4:5]
	v_mov_b32_e32 v1, 0
	s_and_saveexec_b64 s[30:31], vcc
	s_cbranch_execz .LBB69_29
; %bb.18:
	v_cmp_lt_i64_e32 vcc, 0, v[4:5]
	v_mov_b32_e32 v1, 1.0
	s_and_saveexec_b64 s[34:35], vcc
	s_cbranch_execz .LBB69_28
; %bb.19:
	global_load_ushort v1, v2, s[2:3]
	v_cmp_ne_u64_e32 vcc, 1, v[4:5]
	s_waitcnt vmcnt(0)
	v_lshlrev_b32_e32 v2, 16, v1
                                        ; implicit-def: $vgpr1
	s_and_saveexec_b64 s[36:37], vcc
	s_xor_b64 s[36:37], exec, s[36:37]
	s_cbranch_execz .LBB69_25
; %bb.20:
	s_mov_b64 s[38:39], 0x81
	v_cmp_gt_u64_e32 vcc, s[38:39], v[4:5]
	v_mov_b32_e32 v1, 0x7fc00000
	s_and_saveexec_b64 s[38:39], vcc
	s_cbranch_execz .LBB69_24
; %bb.21:
	s_mov_b64 s[42:43], 1
	s_mov_b64 s[40:41], 0
	v_mov_b32_e32 v3, 1.0
	v_mov_b32_e32 v1, v2
.LBB69_22:                              ; =>This Inner Loop Header: Depth=1
	s_flbit_i32_b32 s47, s43
	s_min_u32 s47, s47, 32
	s_lshl_b64 s[48:49], s[42:43], s47
	s_min_u32 s48, s48, 1
	s_or_b32 s48, s49, s48
	v_cvt_f32_u32_e32 v6, s48
	s_sub_i32 s47, 32, s47
	s_add_u32 s42, s42, 1
	s_addc_u32 s43, s43, 0
	v_ldexp_f32 v6, v6, s47
	v_cmp_eq_u64_e32 vcc, s[42:43], v[4:5]
	v_mul_f32_e32 v6, v3, v6
	s_or_b64 s[40:41], vcc, s[40:41]
	v_mov_b32_e32 v3, v1
	v_fma_f32 v1, v1, v2, -v6
	s_andn2_b64 exec, exec, s[40:41]
	s_cbranch_execnz .LBB69_22
; %bb.23:
	s_or_b64 exec, exec, s[40:41]
.LBB69_24:
	s_or_b64 exec, exec, s[38:39]
                                        ; implicit-def: $vgpr2
.LBB69_25:
	s_andn2_saveexec_b64 s[36:37], s[36:37]
; %bb.26:
	v_mov_b32_e32 v1, v2
; %bb.27:
	s_or_b64 exec, exec, s[36:37]
.LBB69_28:
	s_or_b64 exec, exec, s[34:35]
.LBB69_29:
	s_or_b64 exec, exec, s[30:31]
	v_bfe_u32 v2, v1, 16, 1
	s_movk_i32 s30, 0x7fff
	v_add3_u32 v2, v1, v2, s30
	v_lshrrev_b32_e32 v2, 16, v2
	v_mov_b32_e32 v3, 0x7fc0
	v_cmp_o_f32_e32 vcc, v1, v1
	v_cndmask_b32_e32 v1, v3, v2, vcc
	v_add_u32_e32 v14, 0x80, v14
	global_store_short v0, v1, s[0:1]
	s_or_b64 exec, exec, s[28:29]
	v_cmp_gt_i32_e32 vcc, s46, v14
	s_and_saveexec_b64 s[28:29], vcc
	s_cbranch_execz .LBB69_6
.LBB69_30:
	s_andn2_b64 vcc, exec, s[6:7]
	s_cbranch_vccnz .LBB69_37
; %bb.31:
	s_andn2_b64 vcc, exec, s[26:27]
	v_mov_b32_e32 v4, 0
	v_mov_b32_e32 v2, 0
	v_mov_b32_e32 v0, 0
	s_cbranch_vccnz .LBB69_36
; %bb.32:
	s_add_i32 s30, s45, 1
	s_and_b32 s34, s30, 30
	s_add_u32 s30, s4, 0xffffffec
	s_addc_u32 s31, s5, -1
	v_mov_b32_e32 v0, 0
	v_mov_b32_e32 v1, v14
	;; [unrolled: 1-line block ×4, first 2 shown]
.LBB69_33:                              ; =>This Inner Loop Header: Depth=1
	s_mov_b64 s[48:49], s[30:31]
	s_load_dwordx4 s[36:39], s[48:49], 0x18
	s_load_dwordx2 s[50:51], s[48:49], 0x28
	s_load_dwordx2 s[52:53], s[48:49], 0xe8
	s_load_dwordx4 s[40:43], s[48:49], 0xd8
	s_add_u32 s30, s48, 24
	s_waitcnt lgkmcnt(0)
	v_mul_hi_u32 v3, s37, v1
	v_add_u32_e32 v3, v1, v3
	v_lshrrev_b32_e32 v3, s38, v3
	v_mul_lo_u32 v5, v3, s36
	v_mul_hi_u32 v6, s50, v3
	v_sub_u32_e32 v1, v1, v5
	v_add_u32_e32 v5, v3, v6
	v_mul_lo_u32 v6, v1, s40
	v_mul_lo_u32 v7, v1, s41
	;; [unrolled: 1-line block ×3, first 2 shown]
	v_lshrrev_b32_e32 v1, s51, v5
	v_mul_lo_u32 v5, v1, s39
	v_sub_u32_e32 v3, v3, v5
	s_addc_u32 s31, s49, 0
	s_add_i32 s34, s34, -2
	v_mul_lo_u32 v5, v3, s43
	v_mul_lo_u32 v9, v3, s52
	;; [unrolled: 1-line block ×3, first 2 shown]
	s_cmp_eq_u32 s34, 0
	v_add3_u32 v0, v6, v0, v5
	v_add3_u32 v4, v8, v4, v3
	;; [unrolled: 1-line block ×3, first 2 shown]
	s_cbranch_scc0 .LBB69_33
; %bb.34:
	s_bitcmp1_b32 s45, 0
	s_cselect_b64 s[34:35], -1, 0
	s_and_b64 vcc, exec, s[34:35]
	s_cbranch_vccnz .LBB69_36
; %bb.35:
	s_load_dwordx2 s[34:35], s[30:31], 0x18
	s_load_dword s38, s[30:31], 0x20
	s_load_dword s39, s[30:31], 0xe0
	s_load_dwordx2 s[36:37], s[30:31], 0xd8
	s_waitcnt lgkmcnt(0)
	v_mul_hi_u32 v3, s35, v1
	v_add_u32_e32 v3, v1, v3
	v_lshrrev_b32_e32 v3, s38, v3
	v_mul_lo_u32 v3, v3, s34
	v_sub_u32_e32 v5, v1, v3
	v_mad_u64_u32 v[0:1], s[30:31], v5, s36, v[0:1]
	v_mad_u64_u32 v[2:3], s[30:31], v5, s37, v[2:3]
	;; [unrolled: 1-line block ×3, first 2 shown]
.LBB69_36:
	s_cbranch_execz .LBB69_38
	s_branch .LBB69_40
.LBB69_37:
                                        ; implicit-def: $vgpr4
                                        ; implicit-def: $vgpr2
                                        ; implicit-def: $vgpr0
.LBB69_38:
	s_waitcnt lgkmcnt(0)
	v_mul_hi_u32 v0, s13, v14
	v_add_u32_e32 v0, v14, v0
	v_lshrrev_b32_e32 v1, s14, v0
	v_mul_lo_u32 v0, v1, s12
	v_sub_u32_e32 v2, v14, v0
	v_mul_lo_u32 v0, v2, s8
	v_mul_lo_u32 v4, v2, s10
	s_andn2_b64 vcc, exec, s[24:25]
	v_mul_lo_u32 v2, v2, s9
	s_cbranch_vccnz .LBB69_40
; %bb.39:
	v_mul_hi_u32 v3, s22, v1
	v_add_u32_e32 v3, v1, v3
	v_lshrrev_b32_e32 v3, s23, v3
	v_mul_lo_u32 v3, v3, s15
	v_sub_u32_e32 v5, v1, v3
	v_mad_u64_u32 v[0:1], s[30:31], v5, s11, v[0:1]
	v_mad_u64_u32 v[2:3], s[30:31], v5, s20, v[2:3]
	;; [unrolled: 1-line block ×3, first 2 shown]
.LBB69_40:
	s_waitcnt lgkmcnt(0)
	global_load_dword v1, v4, s[18:19]
	s_mov_b32 s30, 0x2f800000
	s_mov_b32 s31, 0xcf800000
	s_waitcnt vmcnt(0)
	v_trunc_f32_e32 v1, v1
	v_mul_f32_e64 v3, |v1|, s30
	v_floor_f32_e32 v3, v3
	v_fma_f32 v4, v3, s31, |v1|
	v_cvt_u32_f32_e32 v4, v4
	v_cvt_u32_f32_e32 v3, v3
	v_ashrrev_i32_e32 v1, 31, v1
	v_xor_b32_e32 v4, v4, v1
	v_xor_b32_e32 v3, v3, v1
	v_sub_co_u32_e32 v4, vcc, v4, v1
	v_subb_co_u32_e32 v5, vcc, v3, v1, vcc
	v_cmp_lt_i64_e32 vcc, -1, v[4:5]
	v_mov_b32_e32 v1, 0
	s_and_saveexec_b64 s[30:31], vcc
	s_cbranch_execz .LBB69_52
; %bb.41:
	v_cmp_lt_i64_e32 vcc, 0, v[4:5]
	v_mov_b32_e32 v1, 1.0
	s_and_saveexec_b64 s[34:35], vcc
	s_cbranch_execz .LBB69_51
; %bb.42:
	global_load_ushort v1, v2, s[2:3]
	v_cmp_ne_u64_e32 vcc, 1, v[4:5]
	s_waitcnt vmcnt(0)
	v_lshlrev_b32_e32 v2, 16, v1
                                        ; implicit-def: $vgpr1
	s_and_saveexec_b64 s[36:37], vcc
	s_xor_b64 s[36:37], exec, s[36:37]
	s_cbranch_execz .LBB69_48
; %bb.43:
	s_mov_b64 s[38:39], 0x81
	v_cmp_gt_u64_e32 vcc, s[38:39], v[4:5]
	v_mov_b32_e32 v1, 0x7fc00000
	s_and_saveexec_b64 s[38:39], vcc
	s_cbranch_execz .LBB69_47
; %bb.44:
	s_mov_b64 s[42:43], 1
	s_mov_b64 s[40:41], 0
	v_mov_b32_e32 v3, 1.0
	v_mov_b32_e32 v1, v2
.LBB69_45:                              ; =>This Inner Loop Header: Depth=1
	s_flbit_i32_b32 s47, s43
	s_min_u32 s47, s47, 32
	s_lshl_b64 s[48:49], s[42:43], s47
	s_min_u32 s48, s48, 1
	s_or_b32 s48, s49, s48
	v_cvt_f32_u32_e32 v6, s48
	s_sub_i32 s47, 32, s47
	s_add_u32 s42, s42, 1
	s_addc_u32 s43, s43, 0
	v_ldexp_f32 v6, v6, s47
	v_cmp_eq_u64_e32 vcc, s[42:43], v[4:5]
	v_mul_f32_e32 v6, v3, v6
	s_or_b64 s[40:41], vcc, s[40:41]
	v_mov_b32_e32 v3, v1
	v_fma_f32 v1, v1, v2, -v6
	s_andn2_b64 exec, exec, s[40:41]
	s_cbranch_execnz .LBB69_45
; %bb.46:
	s_or_b64 exec, exec, s[40:41]
.LBB69_47:
	s_or_b64 exec, exec, s[38:39]
                                        ; implicit-def: $vgpr2
.LBB69_48:
	s_andn2_saveexec_b64 s[36:37], s[36:37]
; %bb.49:
	v_mov_b32_e32 v1, v2
; %bb.50:
	s_or_b64 exec, exec, s[36:37]
.LBB69_51:
	s_or_b64 exec, exec, s[34:35]
.LBB69_52:
	s_or_b64 exec, exec, s[30:31]
	v_bfe_u32 v2, v1, 16, 1
	s_movk_i32 s30, 0x7fff
	v_add3_u32 v2, v1, v2, s30
	v_lshrrev_b32_e32 v2, 16, v2
	v_mov_b32_e32 v3, 0x7fc0
	v_cmp_o_f32_e32 vcc, v1, v1
	v_cndmask_b32_e32 v1, v3, v2, vcc
	v_add_u32_e32 v14, 0x80, v14
	global_store_short v0, v1, s[0:1]
	s_or_b64 exec, exec, s[28:29]
	v_cmp_gt_i32_e32 vcc, s46, v14
	s_and_saveexec_b64 s[28:29], vcc
	s_cbranch_execz .LBB69_76
.LBB69_53:
	s_andn2_b64 vcc, exec, s[6:7]
	s_cbranch_vccnz .LBB69_60
; %bb.54:
	s_andn2_b64 vcc, exec, s[26:27]
	v_mov_b32_e32 v4, 0
	v_mov_b32_e32 v2, 0
	;; [unrolled: 1-line block ×3, first 2 shown]
	s_cbranch_vccnz .LBB69_59
; %bb.55:
	s_add_i32 s30, s45, 1
	s_and_b32 s34, s30, 30
	s_add_u32 s30, s4, 0xffffffec
	s_addc_u32 s31, s5, -1
	v_mov_b32_e32 v0, 0
	v_mov_b32_e32 v1, v14
	;; [unrolled: 1-line block ×4, first 2 shown]
.LBB69_56:                              ; =>This Inner Loop Header: Depth=1
	s_mov_b64 s[48:49], s[30:31]
	s_load_dwordx4 s[36:39], s[48:49], 0x18
	s_load_dwordx2 s[50:51], s[48:49], 0x28
	s_load_dwordx2 s[52:53], s[48:49], 0xe8
	s_load_dwordx4 s[40:43], s[48:49], 0xd8
	s_add_u32 s30, s48, 24
	s_waitcnt lgkmcnt(0)
	v_mul_hi_u32 v3, s37, v1
	v_add_u32_e32 v3, v1, v3
	v_lshrrev_b32_e32 v3, s38, v3
	v_mul_lo_u32 v5, v3, s36
	v_mul_hi_u32 v6, s50, v3
	v_sub_u32_e32 v1, v1, v5
	v_add_u32_e32 v5, v3, v6
	v_mul_lo_u32 v6, v1, s40
	v_mul_lo_u32 v7, v1, s41
	;; [unrolled: 1-line block ×3, first 2 shown]
	v_lshrrev_b32_e32 v1, s51, v5
	v_mul_lo_u32 v5, v1, s39
	v_sub_u32_e32 v3, v3, v5
	s_addc_u32 s31, s49, 0
	s_add_i32 s34, s34, -2
	v_mul_lo_u32 v5, v3, s43
	v_mul_lo_u32 v9, v3, s52
	;; [unrolled: 1-line block ×3, first 2 shown]
	s_cmp_eq_u32 s34, 0
	v_add3_u32 v0, v6, v0, v5
	v_add3_u32 v4, v8, v4, v3
	;; [unrolled: 1-line block ×3, first 2 shown]
	s_cbranch_scc0 .LBB69_56
; %bb.57:
	s_bitcmp1_b32 s45, 0
	s_cselect_b64 s[34:35], -1, 0
	s_and_b64 vcc, exec, s[34:35]
	s_cbranch_vccnz .LBB69_59
; %bb.58:
	s_load_dwordx2 s[34:35], s[30:31], 0x18
	s_load_dword s38, s[30:31], 0x20
	s_load_dword s39, s[30:31], 0xe0
	s_load_dwordx2 s[36:37], s[30:31], 0xd8
	s_waitcnt lgkmcnt(0)
	v_mul_hi_u32 v3, s35, v1
	v_add_u32_e32 v3, v1, v3
	v_lshrrev_b32_e32 v3, s38, v3
	v_mul_lo_u32 v3, v3, s34
	v_sub_u32_e32 v5, v1, v3
	v_mad_u64_u32 v[0:1], s[30:31], v5, s36, v[0:1]
	v_mad_u64_u32 v[2:3], s[30:31], v5, s37, v[2:3]
	;; [unrolled: 1-line block ×3, first 2 shown]
.LBB69_59:
	s_cbranch_execz .LBB69_61
	s_branch .LBB69_63
.LBB69_60:
                                        ; implicit-def: $vgpr4
                                        ; implicit-def: $vgpr2
                                        ; implicit-def: $vgpr0
.LBB69_61:
	s_waitcnt lgkmcnt(0)
	v_mul_hi_u32 v0, s13, v14
	v_add_u32_e32 v0, v14, v0
	v_lshrrev_b32_e32 v1, s14, v0
	v_mul_lo_u32 v0, v1, s12
	v_sub_u32_e32 v2, v14, v0
	v_mul_lo_u32 v0, v2, s8
	v_mul_lo_u32 v4, v2, s10
	s_andn2_b64 vcc, exec, s[24:25]
	v_mul_lo_u32 v2, v2, s9
	s_cbranch_vccnz .LBB69_63
; %bb.62:
	v_mul_hi_u32 v3, s22, v1
	v_add_u32_e32 v3, v1, v3
	v_lshrrev_b32_e32 v3, s23, v3
	v_mul_lo_u32 v3, v3, s15
	v_sub_u32_e32 v5, v1, v3
	v_mad_u64_u32 v[0:1], s[30:31], v5, s11, v[0:1]
	v_mad_u64_u32 v[2:3], s[30:31], v5, s20, v[2:3]
	;; [unrolled: 1-line block ×3, first 2 shown]
.LBB69_63:
	s_waitcnt lgkmcnt(0)
	global_load_dword v1, v4, s[18:19]
	s_mov_b32 s30, 0x2f800000
	s_mov_b32 s31, 0xcf800000
	s_waitcnt vmcnt(0)
	v_trunc_f32_e32 v1, v1
	v_mul_f32_e64 v3, |v1|, s30
	v_floor_f32_e32 v3, v3
	v_fma_f32 v4, v3, s31, |v1|
	v_cvt_u32_f32_e32 v4, v4
	v_cvt_u32_f32_e32 v3, v3
	v_ashrrev_i32_e32 v1, 31, v1
	v_xor_b32_e32 v4, v4, v1
	v_xor_b32_e32 v3, v3, v1
	v_sub_co_u32_e32 v4, vcc, v4, v1
	v_subb_co_u32_e32 v5, vcc, v3, v1, vcc
	v_cmp_lt_i64_e32 vcc, -1, v[4:5]
	v_mov_b32_e32 v1, 0
	s_and_saveexec_b64 s[30:31], vcc
	s_cbranch_execz .LBB69_75
; %bb.64:
	v_cmp_lt_i64_e32 vcc, 0, v[4:5]
	v_mov_b32_e32 v1, 1.0
	s_and_saveexec_b64 s[34:35], vcc
	s_cbranch_execz .LBB69_74
; %bb.65:
	global_load_ushort v1, v2, s[2:3]
	v_cmp_ne_u64_e32 vcc, 1, v[4:5]
	s_waitcnt vmcnt(0)
	v_lshlrev_b32_e32 v2, 16, v1
                                        ; implicit-def: $vgpr1
	s_and_saveexec_b64 s[36:37], vcc
	s_xor_b64 s[36:37], exec, s[36:37]
	s_cbranch_execz .LBB69_71
; %bb.66:
	s_mov_b64 s[38:39], 0x81
	v_cmp_gt_u64_e32 vcc, s[38:39], v[4:5]
	v_mov_b32_e32 v1, 0x7fc00000
	s_and_saveexec_b64 s[38:39], vcc
	s_cbranch_execz .LBB69_70
; %bb.67:
	s_mov_b64 s[42:43], 1
	s_mov_b64 s[40:41], 0
	v_mov_b32_e32 v3, 1.0
	v_mov_b32_e32 v1, v2
.LBB69_68:                              ; =>This Inner Loop Header: Depth=1
	s_flbit_i32_b32 s47, s43
	s_min_u32 s47, s47, 32
	s_lshl_b64 s[48:49], s[42:43], s47
	s_min_u32 s48, s48, 1
	s_or_b32 s48, s49, s48
	v_cvt_f32_u32_e32 v6, s48
	s_sub_i32 s47, 32, s47
	s_add_u32 s42, s42, 1
	s_addc_u32 s43, s43, 0
	v_ldexp_f32 v6, v6, s47
	v_cmp_eq_u64_e32 vcc, s[42:43], v[4:5]
	v_mul_f32_e32 v6, v3, v6
	s_or_b64 s[40:41], vcc, s[40:41]
	v_mov_b32_e32 v3, v1
	v_fma_f32 v1, v1, v2, -v6
	s_andn2_b64 exec, exec, s[40:41]
	s_cbranch_execnz .LBB69_68
; %bb.69:
	s_or_b64 exec, exec, s[40:41]
.LBB69_70:
	s_or_b64 exec, exec, s[38:39]
                                        ; implicit-def: $vgpr2
.LBB69_71:
	s_andn2_saveexec_b64 s[36:37], s[36:37]
; %bb.72:
	v_mov_b32_e32 v1, v2
; %bb.73:
	s_or_b64 exec, exec, s[36:37]
.LBB69_74:
	s_or_b64 exec, exec, s[34:35]
.LBB69_75:
	s_or_b64 exec, exec, s[30:31]
	v_bfe_u32 v2, v1, 16, 1
	s_movk_i32 s30, 0x7fff
	v_add3_u32 v2, v1, v2, s30
	v_lshrrev_b32_e32 v2, 16, v2
	v_mov_b32_e32 v3, 0x7fc0
	v_cmp_o_f32_e32 vcc, v1, v1
	v_cndmask_b32_e32 v1, v3, v2, vcc
	v_add_u32_e32 v14, 0x80, v14
	global_store_short v0, v1, s[0:1]
.LBB69_76:
	s_or_b64 exec, exec, s[28:29]
	v_cmp_gt_i32_e32 vcc, s46, v14
	s_mov_b64 s[30:31], 0
                                        ; implicit-def: $vgpr6_vgpr7
                                        ; implicit-def: $vgpr5
	s_and_saveexec_b64 s[28:29], vcc
	s_cbranch_execz .LBB69_100
; %bb.77:
	s_andn2_b64 vcc, exec, s[6:7]
	s_cbranch_vccnz .LBB69_84
; %bb.78:
	s_andn2_b64 vcc, exec, s[26:27]
	v_mov_b32_e32 v4, 0
	v_mov_b32_e32 v0, 0
	;; [unrolled: 1-line block ×3, first 2 shown]
	s_cbranch_vccnz .LBB69_83
; %bb.79:
	s_add_i32 s26, s45, 1
	s_and_b32 s30, s26, 30
	s_add_u32 s26, s4, 0xffffffec
	s_addc_u32 s27, s5, -1
	v_mov_b32_e32 v2, 0
	v_mov_b32_e32 v1, v14
	;; [unrolled: 1-line block ×4, first 2 shown]
.LBB69_80:                              ; =>This Inner Loop Header: Depth=1
	s_mov_b64 s[34:35], s[26:27]
	s_load_dwordx4 s[36:39], s[34:35], 0x18
	s_load_dwordx2 s[46:47], s[34:35], 0x28
	s_load_dwordx2 s[48:49], s[34:35], 0xe8
	s_load_dwordx4 s[40:43], s[34:35], 0xd8
	s_add_u32 s26, s34, 24
	s_waitcnt lgkmcnt(0)
	v_mul_hi_u32 v3, s37, v1
	v_add_u32_e32 v3, v1, v3
	v_lshrrev_b32_e32 v3, s38, v3
	v_mul_lo_u32 v5, v3, s36
	v_mul_hi_u32 v6, s46, v3
	v_sub_u32_e32 v1, v1, v5
	v_add_u32_e32 v5, v3, v6
	v_mul_lo_u32 v6, v1, s40
	v_mul_lo_u32 v7, v1, s41
	;; [unrolled: 1-line block ×3, first 2 shown]
	v_lshrrev_b32_e32 v1, s47, v5
	v_mul_lo_u32 v5, v1, s39
	v_sub_u32_e32 v3, v3, v5
	s_addc_u32 s27, s35, 0
	s_add_i32 s30, s30, -2
	v_mul_lo_u32 v5, v3, s43
	v_mul_lo_u32 v9, v3, s48
	;; [unrolled: 1-line block ×3, first 2 shown]
	s_cmp_eq_u32 s30, 0
	v_add3_u32 v2, v6, v2, v5
	v_add3_u32 v4, v8, v4, v3
	;; [unrolled: 1-line block ×3, first 2 shown]
	s_cbranch_scc0 .LBB69_80
; %bb.81:
	s_bitcmp1_b32 s45, 0
	s_cselect_b64 s[30:31], -1, 0
	s_and_b64 vcc, exec, s[30:31]
	s_cbranch_vccnz .LBB69_83
; %bb.82:
	s_load_dwordx2 s[30:31], s[26:27], 0x18
	s_load_dword s36, s[26:27], 0x20
	s_load_dword s37, s[26:27], 0xe0
	s_load_dwordx2 s[34:35], s[26:27], 0xd8
	s_waitcnt lgkmcnt(0)
	v_mul_hi_u32 v3, s31, v1
	v_add_u32_e32 v3, v1, v3
	v_lshrrev_b32_e32 v3, s36, v3
	v_mul_lo_u32 v3, v3, s30
	v_sub_u32_e32 v5, v1, v3
	v_mad_u64_u32 v[2:3], s[26:27], v5, s34, v[2:3]
	v_mad_u64_u32 v[0:1], s[26:27], v5, s35, v[0:1]
	;; [unrolled: 1-line block ×3, first 2 shown]
.LBB69_83:
	s_cbranch_execz .LBB69_85
	s_branch .LBB69_87
.LBB69_84:
                                        ; implicit-def: $vgpr4
                                        ; implicit-def: $vgpr0
                                        ; implicit-def: $vgpr2
.LBB69_85:
	s_waitcnt lgkmcnt(0)
	v_mul_hi_u32 v0, s13, v14
	v_add_u32_e32 v0, v14, v0
	v_lshrrev_b32_e32 v1, s14, v0
	v_mul_lo_u32 v0, v1, s12
	v_sub_u32_e32 v0, v14, v0
	v_mul_lo_u32 v2, v0, s8
	v_mul_lo_u32 v4, v0, s10
	s_andn2_b64 vcc, exec, s[24:25]
	v_mul_lo_u32 v0, v0, s9
	s_cbranch_vccnz .LBB69_87
; %bb.86:
	v_mul_hi_u32 v3, s22, v1
	v_add_u32_e32 v3, v1, v3
	v_lshrrev_b32_e32 v3, s23, v3
	v_mul_lo_u32 v3, v3, s15
	v_sub_u32_e32 v5, v1, v3
	v_mad_u64_u32 v[2:3], s[8:9], v5, s11, v[2:3]
	v_mad_u64_u32 v[0:1], s[8:9], v5, s20, v[0:1]
	v_mad_u64_u32 v[4:5], s[8:9], v5, s21, v[4:5]
.LBB69_87:
	s_waitcnt lgkmcnt(0)
	global_load_dword v1, v4, s[18:19]
	v_mov_b32_e32 v3, s1
	s_mov_b32 s1, 0x2f800000
	s_mov_b32 s8, 0xcf800000
	v_mov_b32_e32 v5, 0
	s_waitcnt vmcnt(0)
	v_trunc_f32_e32 v1, v1
	v_mul_f32_e64 v4, |v1|, s1
	v_floor_f32_e32 v4, v4
	v_fma_f32 v6, v4, s8, |v1|
	v_cvt_u32_f32_e32 v8, v6
	v_cvt_u32_f32_e32 v4, v4
	v_add_co_u32_e32 v6, vcc, s0, v2
	v_ashrrev_i32_e32 v1, 31, v1
	v_addc_co_u32_e32 v7, vcc, 0, v3, vcc
	v_xor_b32_e32 v2, v8, v1
	v_xor_b32_e32 v3, v4, v1
	v_sub_co_u32_e32 v2, vcc, v2, v1
	v_subb_co_u32_e32 v3, vcc, v3, v1, vcc
	v_cmp_lt_i64_e32 vcc, -1, v[2:3]
	s_and_saveexec_b64 s[0:1], vcc
	s_cbranch_execz .LBB69_99
; %bb.88:
	v_cmp_lt_i64_e32 vcc, 0, v[2:3]
	v_mov_b32_e32 v5, 1.0
	s_and_saveexec_b64 s[8:9], vcc
	s_cbranch_execz .LBB69_98
; %bb.89:
	global_load_ushort v0, v0, s[2:3]
	v_cmp_ne_u64_e32 vcc, 1, v[2:3]
                                        ; implicit-def: $vgpr5
	s_waitcnt vmcnt(0)
	v_lshlrev_b32_e32 v0, 16, v0
	s_and_saveexec_b64 s[2:3], vcc
	s_xor_b64 s[2:3], exec, s[2:3]
	s_cbranch_execz .LBB69_95
; %bb.90:
	s_mov_b64 s[10:11], 0x81
	v_cmp_gt_u64_e32 vcc, s[10:11], v[2:3]
	v_mov_b32_e32 v5, 0x7fc00000
	s_and_saveexec_b64 s[10:11], vcc
	s_cbranch_execz .LBB69_94
; %bb.91:
	s_mov_b64 s[14:15], 1
	s_mov_b64 s[12:13], 0
	v_mov_b32_e32 v1, 1.0
	v_mov_b32_e32 v5, v0
.LBB69_92:                              ; =>This Inner Loop Header: Depth=1
	s_flbit_i32_b32 s18, s15
	s_min_u32 s20, s18, 32
	s_lshl_b64 s[18:19], s[14:15], s20
	s_min_u32 s18, s18, 1
	s_or_b32 s18, s19, s18
	v_cvt_f32_u32_e32 v4, s18
	s_sub_i32 s20, 32, s20
	s_add_u32 s14, s14, 1
	s_addc_u32 s15, s15, 0
	v_ldexp_f32 v4, v4, s20
	v_cmp_eq_u64_e32 vcc, s[14:15], v[2:3]
	v_mul_f32_e32 v4, v1, v4
	s_or_b64 s[12:13], vcc, s[12:13]
	v_mov_b32_e32 v1, v5
	v_fma_f32 v5, v5, v0, -v4
	s_andn2_b64 exec, exec, s[12:13]
	s_cbranch_execnz .LBB69_92
; %bb.93:
	s_or_b64 exec, exec, s[12:13]
.LBB69_94:
	s_or_b64 exec, exec, s[10:11]
                                        ; implicit-def: $vgpr0
.LBB69_95:
	s_andn2_saveexec_b64 s[2:3], s[2:3]
; %bb.96:
	v_mov_b32_e32 v5, v0
; %bb.97:
	s_or_b64 exec, exec, s[2:3]
.LBB69_98:
	s_or_b64 exec, exec, s[8:9]
.LBB69_99:
	s_or_b64 exec, exec, s[0:1]
	s_mov_b64 s[30:31], exec
.LBB69_100:
	s_or_b64 exec, exec, s[28:29]
	s_waitcnt lgkmcnt(0)
	s_and_b64 s[8:9], s[30:31], exec
                                        ; implicit-def: $vgpr24
                                        ; implicit-def: $vgpr14
	s_andn2_saveexec_b64 s[10:11], s[16:17]
	s_cbranch_execz .LBB69_2
.LBB69_101:
	v_cndmask_b32_e64 v0, 0, 1, s[6:7]
	v_cmp_ne_u32_e64 s[0:1], 1, v0
	s_andn2_b64 vcc, exec, s[6:7]
	s_cbranch_vccnz .LBB69_107
; %bb.102:
	s_cmp_lg_u32 s33, 0
	v_mov_b32_e32 v8, 0
	v_mov_b32_e32 v6, 0
	v_mov_b32_e32 v0, 0
	s_cbranch_scc0 .LBB69_108
; %bb.103:
	s_min_u32 s6, s44, 15
	s_add_i32 s2, s6, 1
	s_and_b32 s7, s2, 30
	s_add_u32 s2, s4, 0xffffffec
	s_addc_u32 s3, s5, -1
	v_mov_b32_e32 v0, 0
	v_mov_b32_e32 v1, v14
	;; [unrolled: 1-line block ×4, first 2 shown]
.LBB69_104:                             ; =>This Inner Loop Header: Depth=1
	s_mov_b64 s[20:21], s[2:3]
	s_load_dwordx4 s[12:15], s[20:21], 0x18
	s_load_dwordx2 s[22:23], s[20:21], 0x28
	s_load_dwordx2 s[24:25], s[20:21], 0xe8
	s_load_dwordx4 s[16:19], s[20:21], 0xd8
	s_add_u32 s2, s20, 24
	s_waitcnt lgkmcnt(0)
	v_mul_hi_u32 v2, s13, v1
	v_add_u32_e32 v2, v1, v2
	v_lshrrev_b32_e32 v2, s14, v2
	v_mul_lo_u32 v3, v2, s12
	v_mul_hi_u32 v4, s22, v2
	v_sub_u32_e32 v1, v1, v3
	v_add_u32_e32 v3, v2, v4
	v_mul_lo_u32 v4, v1, s16
	v_mul_lo_u32 v5, v1, s17
	;; [unrolled: 1-line block ×3, first 2 shown]
	v_lshrrev_b32_e32 v1, s23, v3
	v_mul_lo_u32 v3, v1, s15
	v_sub_u32_e32 v2, v2, v3
	s_addc_u32 s3, s21, 0
	s_add_i32 s7, s7, -2
	v_mul_lo_u32 v3, v2, s19
	v_mul_lo_u32 v9, v2, s24
	;; [unrolled: 1-line block ×3, first 2 shown]
	s_cmp_lg_u32 s7, 0
	v_add3_u32 v0, v4, v0, v3
	v_add3_u32 v8, v7, v8, v2
	v_add3_u32 v6, v5, v6, v9
	s_cbranch_scc1 .LBB69_104
; %bb.105:
	s_bitcmp1_b32 s6, 0
	s_cselect_b64 s[6:7], -1, 0
	s_and_b64 vcc, exec, s[6:7]
	s_cbranch_vccnz .LBB69_108
; %bb.106:
	s_load_dwordx2 s[6:7], s[2:3], 0x18
	s_load_dword s14, s[2:3], 0x20
	s_load_dword s15, s[2:3], 0xe0
	s_load_dwordx2 s[12:13], s[2:3], 0xd8
	s_waitcnt lgkmcnt(0)
	v_mul_hi_u32 v2, s7, v1
	v_add_u32_e32 v2, v1, v2
	v_lshrrev_b32_e32 v2, s14, v2
	v_mul_lo_u32 v2, v2, s6
	v_sub_u32_e32 v2, v1, v2
	v_mad_u64_u32 v[0:1], s[2:3], v2, s12, v[0:1]
	v_mad_u64_u32 v[6:7], s[2:3], v2, s13, v[6:7]
	;; [unrolled: 1-line block ×3, first 2 shown]
	s_cbranch_execz .LBB69_109
	s_branch .LBB69_111
.LBB69_107:
                                        ; implicit-def: $vgpr8
                                        ; implicit-def: $vgpr6
                                        ; implicit-def: $vgpr0
	s_branch .LBB69_109
.LBB69_108:
	s_cbranch_execnz .LBB69_111
.LBB69_109:
	s_load_dwordx4 s[12:15], s[4:5], 0x4
	s_load_dwordx4 s[16:19], s[4:5], 0xc4
	s_cmp_lt_u32 s33, 2
	s_waitcnt lgkmcnt(0)
	v_mul_hi_u32 v0, s13, v14
	v_add_u32_e32 v0, v14, v0
	v_lshrrev_b32_e32 v1, s14, v0
	v_mul_lo_u32 v0, v1, s12
	v_sub_u32_e32 v2, v14, v0
	v_mul_lo_u32 v0, v2, s16
	v_mul_lo_u32 v8, v2, s18
	;; [unrolled: 1-line block ×3, first 2 shown]
	s_cbranch_scc1 .LBB69_111
; %bb.110:
	s_load_dwordx4 s[12:15], s[4:5], 0x10
	s_load_dwordx4 s[16:19], s[4:5], 0xd0
	s_waitcnt lgkmcnt(0)
	v_mul_hi_u32 v2, s13, v1
	v_add_u32_e32 v2, v1, v2
	v_lshrrev_b32_e32 v2, s14, v2
	v_mul_lo_u32 v2, v2, s12
	v_sub_u32_e32 v2, v1, v2
	v_mad_u64_u32 v[0:1], s[2:3], v2, s16, v[0:1]
	v_mad_u64_u32 v[6:7], s[2:3], v2, s17, v[6:7]
	;; [unrolled: 1-line block ×3, first 2 shown]
.LBB69_111:
	s_and_b64 vcc, exec, s[0:1]
	v_add_u32_e32 v1, 0x80, v14
	s_cbranch_vccnz .LBB69_117
; %bb.112:
	s_cmp_lg_u32 s33, 0
	v_mov_b32_e32 v12, 0
	v_mov_b32_e32 v10, 0
	;; [unrolled: 1-line block ×3, first 2 shown]
	s_cbranch_scc0 .LBB69_118
; %bb.113:
	s_min_u32 s6, s44, 15
	s_add_i32 s2, s6, 1
	s_and_b32 s7, s2, 30
	s_add_u32 s2, s4, 0xffffffec
	s_addc_u32 s3, s5, -1
	v_mov_b32_e32 v2, 0
	v_mov_b32_e32 v3, v1
	;; [unrolled: 1-line block ×4, first 2 shown]
.LBB69_114:                             ; =>This Inner Loop Header: Depth=1
	s_mov_b64 s[20:21], s[2:3]
	s_load_dwordx4 s[12:15], s[20:21], 0x18
	s_load_dwordx2 s[22:23], s[20:21], 0x28
	s_load_dwordx2 s[24:25], s[20:21], 0xe8
	s_load_dwordx4 s[16:19], s[20:21], 0xd8
	s_add_u32 s2, s20, 24
	s_waitcnt lgkmcnt(0)
	v_mul_hi_u32 v4, s13, v3
	v_add_u32_e32 v4, v3, v4
	v_lshrrev_b32_e32 v4, s14, v4
	v_mul_lo_u32 v5, v4, s12
	v_mul_hi_u32 v7, s22, v4
	v_sub_u32_e32 v3, v3, v5
	v_add_u32_e32 v5, v4, v7
	v_mul_lo_u32 v7, v3, s16
	v_mul_lo_u32 v9, v3, s17
	;; [unrolled: 1-line block ×3, first 2 shown]
	v_lshrrev_b32_e32 v3, s23, v5
	v_mul_lo_u32 v5, v3, s15
	v_sub_u32_e32 v4, v4, v5
	s_addc_u32 s3, s21, 0
	s_add_i32 s7, s7, -2
	v_mul_lo_u32 v5, v4, s19
	v_mul_lo_u32 v13, v4, s24
	;; [unrolled: 1-line block ×3, first 2 shown]
	s_cmp_lg_u32 s7, 0
	v_add3_u32 v2, v7, v2, v5
	v_add3_u32 v12, v11, v12, v4
	;; [unrolled: 1-line block ×3, first 2 shown]
	s_cbranch_scc1 .LBB69_114
; %bb.115:
	s_bitcmp1_b32 s6, 0
	s_cselect_b64 s[6:7], -1, 0
	s_and_b64 vcc, exec, s[6:7]
	s_cbranch_vccnz .LBB69_118
; %bb.116:
	s_load_dwordx2 s[6:7], s[2:3], 0x18
	s_load_dword s14, s[2:3], 0x20
	s_load_dword s15, s[2:3], 0xe0
	s_load_dwordx2 s[12:13], s[2:3], 0xd8
	s_waitcnt lgkmcnt(0)
	v_mul_hi_u32 v4, s7, v3
	v_add_u32_e32 v4, v3, v4
	v_lshrrev_b32_e32 v4, s14, v4
	v_mul_lo_u32 v4, v4, s6
	v_sub_u32_e32 v4, v3, v4
	v_mad_u64_u32 v[2:3], s[2:3], v4, s12, v[2:3]
	v_mad_u64_u32 v[10:11], s[2:3], v4, s13, v[10:11]
	v_mad_u64_u32 v[12:13], s[2:3], v4, s15, v[12:13]
	s_cbranch_execz .LBB69_119
	s_branch .LBB69_121
.LBB69_117:
                                        ; implicit-def: $vgpr12
                                        ; implicit-def: $vgpr10
                                        ; implicit-def: $vgpr2
	s_branch .LBB69_119
.LBB69_118:
	s_cbranch_execnz .LBB69_121
.LBB69_119:
	s_load_dwordx4 s[12:15], s[4:5], 0x4
	s_load_dwordx4 s[16:19], s[4:5], 0xc4
	s_cmp_lt_u32 s33, 2
	s_waitcnt lgkmcnt(0)
	v_mul_hi_u32 v2, s13, v1
	v_add_u32_e32 v2, v1, v2
	v_lshrrev_b32_e32 v3, s14, v2
	v_mul_lo_u32 v2, v3, s12
	v_sub_u32_e32 v1, v1, v2
	v_mul_lo_u32 v2, v1, s16
	v_mul_lo_u32 v12, v1, s18
	;; [unrolled: 1-line block ×3, first 2 shown]
	s_cbranch_scc1 .LBB69_121
; %bb.120:
	s_load_dwordx4 s[12:15], s[4:5], 0x10
	s_load_dwordx4 s[16:19], s[4:5], 0xd0
	s_waitcnt lgkmcnt(0)
	v_mul_hi_u32 v1, s13, v3
	v_add_u32_e32 v1, v3, v1
	v_lshrrev_b32_e32 v1, s14, v1
	v_mul_lo_u32 v1, v1, s12
	v_sub_u32_e32 v1, v3, v1
	v_mad_u64_u32 v[2:3], s[2:3], v1, s16, v[2:3]
	v_mad_u64_u32 v[10:11], s[2:3], v1, s17, v[10:11]
	;; [unrolled: 1-line block ×3, first 2 shown]
.LBB69_121:
	s_and_b64 vcc, exec, s[0:1]
	v_add_u32_e32 v1, 0x100, v14
	s_cbranch_vccnz .LBB69_127
; %bb.122:
	s_cmp_lg_u32 s33, 0
	v_mov_b32_e32 v18, 0
	v_mov_b32_e32 v16, 0
	;; [unrolled: 1-line block ×3, first 2 shown]
	s_cbranch_scc0 .LBB69_128
; %bb.123:
	s_min_u32 s6, s44, 15
	s_add_i32 s2, s6, 1
	s_and_b32 s7, s2, 30
	s_add_u32 s2, s4, 0xffffffec
	s_addc_u32 s3, s5, -1
	v_mov_b32_e32 v4, 0
	v_mov_b32_e32 v3, v1
	;; [unrolled: 1-line block ×4, first 2 shown]
.LBB69_124:                             ; =>This Inner Loop Header: Depth=1
	s_mov_b64 s[20:21], s[2:3]
	s_load_dwordx4 s[12:15], s[20:21], 0x18
	s_load_dwordx2 s[22:23], s[20:21], 0x28
	s_load_dwordx2 s[24:25], s[20:21], 0xe8
	s_load_dwordx4 s[16:19], s[20:21], 0xd8
	s_add_u32 s2, s20, 24
	s_waitcnt lgkmcnt(0)
	v_mul_hi_u32 v5, s13, v3
	v_add_u32_e32 v5, v3, v5
	v_lshrrev_b32_e32 v5, s14, v5
	v_mul_lo_u32 v7, v5, s12
	v_mul_hi_u32 v9, s22, v5
	v_sub_u32_e32 v3, v3, v7
	v_add_u32_e32 v7, v5, v9
	v_mul_lo_u32 v9, v3, s16
	v_mul_lo_u32 v11, v3, s17
	;; [unrolled: 1-line block ×3, first 2 shown]
	v_lshrrev_b32_e32 v3, s23, v7
	v_mul_lo_u32 v7, v3, s15
	v_sub_u32_e32 v5, v5, v7
	s_addc_u32 s3, s21, 0
	s_add_i32 s7, s7, -2
	v_mul_lo_u32 v7, v5, s19
	v_mul_lo_u32 v14, v5, s24
	;; [unrolled: 1-line block ×3, first 2 shown]
	s_cmp_lg_u32 s7, 0
	v_add3_u32 v4, v9, v4, v7
	v_add3_u32 v18, v13, v18, v5
	;; [unrolled: 1-line block ×3, first 2 shown]
	s_cbranch_scc1 .LBB69_124
; %bb.125:
	s_bitcmp1_b32 s6, 0
	s_cselect_b64 s[6:7], -1, 0
	s_and_b64 vcc, exec, s[6:7]
	s_cbranch_vccnz .LBB69_128
; %bb.126:
	s_load_dwordx2 s[6:7], s[2:3], 0x18
	s_load_dword s14, s[2:3], 0x20
	s_load_dword s15, s[2:3], 0xe0
	s_load_dwordx2 s[12:13], s[2:3], 0xd8
	s_waitcnt lgkmcnt(0)
	v_mul_hi_u32 v5, s7, v3
	v_add_u32_e32 v5, v3, v5
	v_lshrrev_b32_e32 v5, s14, v5
	v_mul_lo_u32 v5, v5, s6
	v_sub_u32_e32 v3, v3, v5
	v_mad_u64_u32 v[4:5], s[2:3], v3, s12, v[4:5]
	v_mad_u64_u32 v[16:17], s[2:3], v3, s13, v[16:17]
	;; [unrolled: 1-line block ×3, first 2 shown]
	s_cbranch_execz .LBB69_129
	s_branch .LBB69_131
.LBB69_127:
                                        ; implicit-def: $vgpr18
                                        ; implicit-def: $vgpr16
                                        ; implicit-def: $vgpr4
	s_branch .LBB69_129
.LBB69_128:
	s_cbranch_execnz .LBB69_131
.LBB69_129:
	s_load_dwordx4 s[12:15], s[4:5], 0x4
	s_load_dwordx4 s[16:19], s[4:5], 0xc4
	s_cmp_lt_u32 s33, 2
	s_waitcnt lgkmcnt(0)
	v_mul_hi_u32 v3, s13, v1
	v_add_u32_e32 v3, v1, v3
	v_lshrrev_b32_e32 v3, s14, v3
	v_mul_lo_u32 v4, v3, s12
	v_sub_u32_e32 v1, v1, v4
	v_mul_lo_u32 v4, v1, s16
	v_mul_lo_u32 v18, v1, s18
	;; [unrolled: 1-line block ×3, first 2 shown]
	s_cbranch_scc1 .LBB69_131
; %bb.130:
	s_load_dwordx4 s[12:15], s[4:5], 0x10
	s_load_dwordx4 s[16:19], s[4:5], 0xd0
	s_waitcnt lgkmcnt(0)
	v_mul_hi_u32 v1, s13, v3
	v_add_u32_e32 v1, v3, v1
	v_lshrrev_b32_e32 v1, s14, v1
	v_mul_lo_u32 v1, v1, s12
	v_sub_u32_e32 v1, v3, v1
	v_mad_u64_u32 v[4:5], s[2:3], v1, s16, v[4:5]
	v_mad_u64_u32 v[16:17], s[2:3], v1, s17, v[16:17]
	;; [unrolled: 1-line block ×3, first 2 shown]
.LBB69_131:
	s_and_b64 vcc, exec, s[0:1]
	s_cbranch_vccnz .LBB69_137
; %bb.132:
	s_cmp_lg_u32 s33, 0
	v_mov_b32_e32 v22, 0
	v_mov_b32_e32 v20, 0
	;; [unrolled: 1-line block ×3, first 2 shown]
	s_cbranch_scc0 .LBB69_138
; %bb.133:
	s_min_u32 s2, s44, 15
	s_add_i32 s0, s2, 1
	s_and_b32 s3, s0, 30
	s_add_u32 s0, s4, 0xffffffec
	s_addc_u32 s1, s5, -1
	v_mov_b32_e32 v14, 0
	v_mov_b32_e32 v1, v24
	;; [unrolled: 1-line block ×4, first 2 shown]
.LBB69_134:                             ; =>This Inner Loop Header: Depth=1
	s_mov_b64 s[6:7], s[0:1]
	s_load_dwordx4 s[12:15], s[6:7], 0x18
	s_load_dwordx2 s[20:21], s[6:7], 0x28
	s_load_dwordx2 s[22:23], s[6:7], 0xe8
	s_load_dwordx4 s[16:19], s[6:7], 0xd8
	s_add_u32 s0, s6, 24
	s_waitcnt lgkmcnt(0)
	v_mul_hi_u32 v3, s13, v1
	v_add_u32_e32 v3, v1, v3
	v_lshrrev_b32_e32 v3, s14, v3
	v_mul_lo_u32 v5, v3, s12
	v_mul_hi_u32 v7, s20, v3
	v_sub_u32_e32 v1, v1, v5
	v_add_u32_e32 v5, v3, v7
	v_mul_lo_u32 v7, v1, s16
	v_mul_lo_u32 v9, v1, s17
	;; [unrolled: 1-line block ×3, first 2 shown]
	v_lshrrev_b32_e32 v1, s21, v5
	v_mul_lo_u32 v5, v1, s15
	v_sub_u32_e32 v3, v3, v5
	s_addc_u32 s1, s7, 0
	s_add_i32 s3, s3, -2
	v_mul_lo_u32 v5, v3, s19
	v_mul_lo_u32 v13, v3, s22
	;; [unrolled: 1-line block ×3, first 2 shown]
	s_cmp_lg_u32 s3, 0
	v_add3_u32 v14, v7, v14, v5
	v_add3_u32 v22, v11, v22, v3
	;; [unrolled: 1-line block ×3, first 2 shown]
	s_cbranch_scc1 .LBB69_134
; %bb.135:
	s_bitcmp1_b32 s2, 0
	s_cselect_b64 s[2:3], -1, 0
	s_and_b64 vcc, exec, s[2:3]
	s_cbranch_vccnz .LBB69_138
; %bb.136:
	s_load_dwordx2 s[2:3], s[0:1], 0x18
	s_load_dword s12, s[0:1], 0x20
	s_load_dword s13, s[0:1], 0xe0
	s_load_dwordx2 s[6:7], s[0:1], 0xd8
	s_waitcnt lgkmcnt(0)
	v_mul_hi_u32 v3, s3, v1
	v_add_u32_e32 v3, v1, v3
	v_lshrrev_b32_e32 v3, s12, v3
	v_mul_lo_u32 v3, v3, s2
	v_sub_u32_e32 v1, v1, v3
	v_mad_u64_u32 v[14:15], s[0:1], v1, s6, v[14:15]
	v_mad_u64_u32 v[20:21], s[0:1], v1, s7, v[20:21]
	;; [unrolled: 1-line block ×3, first 2 shown]
	s_cbranch_execz .LBB69_139
	s_branch .LBB69_141
.LBB69_137:
                                        ; implicit-def: $vgpr22
                                        ; implicit-def: $vgpr20
                                        ; implicit-def: $vgpr14
	s_branch .LBB69_139
.LBB69_138:
	s_cbranch_execnz .LBB69_141
.LBB69_139:
	s_load_dwordx4 s[0:3], s[4:5], 0x4
	s_load_dwordx4 s[12:15], s[4:5], 0xc4
	s_cmp_lt_u32 s33, 2
	s_waitcnt lgkmcnt(0)
	v_mul_hi_u32 v1, s1, v24
	v_add_u32_e32 v1, v24, v1
	v_lshrrev_b32_e32 v1, s2, v1
	v_mul_lo_u32 v3, v1, s0
	v_sub_u32_e32 v3, v24, v3
	v_mul_lo_u32 v14, v3, s12
	v_mul_lo_u32 v22, v3, s14
	v_mul_lo_u32 v20, v3, s13
	s_cbranch_scc1 .LBB69_141
; %bb.140:
	s_load_dwordx4 s[0:3], s[4:5], 0x10
	s_load_dwordx4 s[12:15], s[4:5], 0xd0
	s_waitcnt lgkmcnt(0)
	v_mul_hi_u32 v3, s1, v1
	v_add_u32_e32 v3, v1, v3
	v_lshrrev_b32_e32 v3, s2, v3
	v_mul_lo_u32 v3, v3, s0
	v_sub_u32_e32 v1, v1, v3
	v_mad_u64_u32 v[14:15], s[0:1], v1, s12, v[14:15]
	v_mad_u64_u32 v[20:21], s[0:1], v1, s13, v[20:21]
	;; [unrolled: 1-line block ×3, first 2 shown]
.LBB69_141:
	s_load_dwordx2 s[6:7], s[4:5], 0x198
	s_mov_b32 s0, 0x2f800000
	s_mov_b32 s1, 0xcf800000
	s_waitcnt lgkmcnt(0)
	global_load_dword v1, v8, s[6:7]
	s_waitcnt vmcnt(0)
	v_trunc_f32_e32 v1, v1
	v_mul_f32_e64 v3, |v1|, s0
	v_floor_f32_e32 v3, v3
	v_fma_f32 v5, v3, s1, |v1|
	v_cvt_u32_f32_e32 v5, v5
	v_cvt_u32_f32_e32 v3, v3
	s_load_dwordx4 s[0:3], s[4:5], 0x188
	v_ashrrev_i32_e32 v1, 31, v1
	v_xor_b32_e32 v5, v5, v1
	v_xor_b32_e32 v3, v3, v1
	v_sub_co_u32_e32 v8, vcc, v5, v1
	v_subb_co_u32_e32 v9, vcc, v3, v1, vcc
	v_cmp_lt_i64_e32 vcc, -1, v[8:9]
	v_mov_b32_e32 v1, 0
	s_and_saveexec_b64 s[4:5], vcc
	s_cbranch_execz .LBB69_153
; %bb.142:
	v_cmp_lt_i64_e32 vcc, 0, v[8:9]
	v_mov_b32_e32 v1, 1.0
	s_and_saveexec_b64 s[12:13], vcc
	s_cbranch_execz .LBB69_152
; %bb.143:
	s_waitcnt lgkmcnt(0)
	global_load_ushort v1, v6, s[2:3]
	v_cmp_ne_u64_e32 vcc, 1, v[8:9]
	s_waitcnt vmcnt(0)
	v_lshlrev_b32_e32 v3, 16, v1
                                        ; implicit-def: $vgpr1
	s_and_saveexec_b64 s[14:15], vcc
	s_xor_b64 s[14:15], exec, s[14:15]
	s_cbranch_execz .LBB69_149
; %bb.144:
	s_mov_b64 s[16:17], 0x81
	v_cmp_gt_u64_e32 vcc, s[16:17], v[8:9]
	v_mov_b32_e32 v1, 0x7fc00000
	s_and_saveexec_b64 s[16:17], vcc
	s_cbranch_execz .LBB69_148
; %bb.145:
	s_mov_b64 s[20:21], 1
	s_mov_b64 s[18:19], 0
	v_mov_b32_e32 v5, 1.0
	v_mov_b32_e32 v1, v3
.LBB69_146:                             ; =>This Inner Loop Header: Depth=1
	s_flbit_i32_b32 s22, s21
	s_min_u32 s24, s22, 32
	s_lshl_b64 s[22:23], s[20:21], s24
	s_min_u32 s22, s22, 1
	s_or_b32 s22, s23, s22
	v_cvt_f32_u32_e32 v6, s22
	s_sub_i32 s24, 32, s24
	s_add_u32 s20, s20, 1
	s_addc_u32 s21, s21, 0
	v_ldexp_f32 v6, v6, s24
	v_cmp_eq_u64_e32 vcc, s[20:21], v[8:9]
	v_mul_f32_e32 v6, v5, v6
	s_or_b64 s[18:19], vcc, s[18:19]
	v_mov_b32_e32 v5, v1
	v_fma_f32 v1, v1, v3, -v6
	s_andn2_b64 exec, exec, s[18:19]
	s_cbranch_execnz .LBB69_146
; %bb.147:
	s_or_b64 exec, exec, s[18:19]
.LBB69_148:
	s_or_b64 exec, exec, s[16:17]
                                        ; implicit-def: $vgpr3
.LBB69_149:
	s_andn2_saveexec_b64 s[14:15], s[14:15]
; %bb.150:
	v_mov_b32_e32 v1, v3
; %bb.151:
	s_or_b64 exec, exec, s[14:15]
.LBB69_152:
	s_or_b64 exec, exec, s[12:13]
.LBB69_153:
	s_or_b64 exec, exec, s[4:5]
	global_load_dword v3, v12, s[6:7]
	s_mov_b32 s4, 0x2f800000
	s_mov_b32 s5, 0xcf800000
	s_waitcnt vmcnt(0)
	v_trunc_f32_e32 v3, v3
	v_mul_f32_e64 v5, |v3|, s4
	v_floor_f32_e32 v5, v5
	v_fma_f32 v6, v5, s5, |v3|
	v_cvt_u32_f32_e32 v6, v6
	v_cvt_u32_f32_e32 v5, v5
	v_ashrrev_i32_e32 v3, 31, v3
	v_xor_b32_e32 v6, v6, v3
	v_xor_b32_e32 v5, v5, v3
	v_sub_co_u32_e32 v6, vcc, v6, v3
	v_subb_co_u32_e32 v7, vcc, v5, v3, vcc
	v_cmp_lt_i64_e32 vcc, -1, v[6:7]
	v_mov_b32_e32 v3, 0
	s_and_saveexec_b64 s[4:5], vcc
	s_cbranch_execz .LBB69_165
; %bb.154:
	v_cmp_lt_i64_e32 vcc, 0, v[6:7]
	v_mov_b32_e32 v3, 1.0
	s_and_saveexec_b64 s[12:13], vcc
	s_cbranch_execz .LBB69_164
; %bb.155:
	s_waitcnt lgkmcnt(0)
	global_load_ushort v3, v10, s[2:3]
	v_cmp_ne_u64_e32 vcc, 1, v[6:7]
	s_waitcnt vmcnt(0)
	v_lshlrev_b32_e32 v5, 16, v3
                                        ; implicit-def: $vgpr3
	s_and_saveexec_b64 s[14:15], vcc
	s_xor_b64 s[14:15], exec, s[14:15]
	s_cbranch_execz .LBB69_161
; %bb.156:
	s_mov_b64 s[16:17], 0x81
	v_cmp_gt_u64_e32 vcc, s[16:17], v[6:7]
	v_mov_b32_e32 v3, 0x7fc00000
	s_and_saveexec_b64 s[16:17], vcc
	s_cbranch_execz .LBB69_160
; %bb.157:
	s_mov_b64 s[20:21], 1
	s_mov_b64 s[18:19], 0
	v_mov_b32_e32 v8, 1.0
	v_mov_b32_e32 v3, v5
.LBB69_158:                             ; =>This Inner Loop Header: Depth=1
	s_flbit_i32_b32 s22, s21
	s_min_u32 s24, s22, 32
	s_lshl_b64 s[22:23], s[20:21], s24
	s_min_u32 s22, s22, 1
	s_or_b32 s22, s23, s22
	v_cvt_f32_u32_e32 v9, s22
	s_sub_i32 s24, 32, s24
	s_add_u32 s20, s20, 1
	s_addc_u32 s21, s21, 0
	v_ldexp_f32 v9, v9, s24
	v_cmp_eq_u64_e32 vcc, s[20:21], v[6:7]
	v_mul_f32_e32 v9, v8, v9
	s_or_b64 s[18:19], vcc, s[18:19]
	v_mov_b32_e32 v8, v3
	v_fma_f32 v3, v3, v5, -v9
	s_andn2_b64 exec, exec, s[18:19]
	s_cbranch_execnz .LBB69_158
; %bb.159:
	s_or_b64 exec, exec, s[18:19]
.LBB69_160:
	s_or_b64 exec, exec, s[16:17]
                                        ; implicit-def: $vgpr5
.LBB69_161:
	s_andn2_saveexec_b64 s[14:15], s[14:15]
; %bb.162:
	v_mov_b32_e32 v3, v5
; %bb.163:
	s_or_b64 exec, exec, s[14:15]
.LBB69_164:
	s_or_b64 exec, exec, s[12:13]
.LBB69_165:
	s_or_b64 exec, exec, s[4:5]
	global_load_dword v5, v18, s[6:7]
	s_mov_b32 s4, 0x2f800000
	s_mov_b32 s5, 0xcf800000
	s_waitcnt vmcnt(0)
	v_trunc_f32_e32 v5, v5
	v_mul_f32_e64 v6, |v5|, s4
	v_floor_f32_e32 v6, v6
	v_fma_f32 v7, v6, s5, |v5|
	v_cvt_u32_f32_e32 v6, v6
	v_cvt_u32_f32_e32 v7, v7
	v_ashrrev_i32_e32 v5, 31, v5
	v_xor_b32_e32 v8, v6, v5
	v_xor_b32_e32 v6, v7, v5
	v_sub_co_u32_e32 v6, vcc, v6, v5
	v_subb_co_u32_e32 v7, vcc, v8, v5, vcc
	v_cmp_lt_i64_e32 vcc, -1, v[6:7]
	v_mov_b32_e32 v8, 0
	s_and_saveexec_b64 s[4:5], vcc
	s_cbranch_execz .LBB69_177
; %bb.166:
	v_cmp_lt_i64_e32 vcc, 0, v[6:7]
	v_mov_b32_e32 v8, 1.0
	s_and_saveexec_b64 s[12:13], vcc
	s_cbranch_execz .LBB69_176
; %bb.167:
	s_waitcnt lgkmcnt(0)
	global_load_ushort v5, v16, s[2:3]
	v_cmp_ne_u64_e32 vcc, 1, v[6:7]
                                        ; implicit-def: $vgpr8
	s_waitcnt vmcnt(0)
	v_lshlrev_b32_e32 v5, 16, v5
	s_and_saveexec_b64 s[14:15], vcc
	s_xor_b64 s[14:15], exec, s[14:15]
	s_cbranch_execz .LBB69_173
; %bb.168:
	s_mov_b64 s[16:17], 0x81
	v_cmp_gt_u64_e32 vcc, s[16:17], v[6:7]
	v_mov_b32_e32 v8, 0x7fc00000
	s_and_saveexec_b64 s[16:17], vcc
	s_cbranch_execz .LBB69_172
; %bb.169:
	s_mov_b64 s[20:21], 1
	s_mov_b64 s[18:19], 0
	v_mov_b32_e32 v9, 1.0
	v_mov_b32_e32 v8, v5
.LBB69_170:                             ; =>This Inner Loop Header: Depth=1
	s_flbit_i32_b32 s22, s21
	s_min_u32 s24, s22, 32
	s_lshl_b64 s[22:23], s[20:21], s24
	s_min_u32 s22, s22, 1
	s_or_b32 s22, s23, s22
	v_cvt_f32_u32_e32 v10, s22
	s_sub_i32 s24, 32, s24
	s_add_u32 s20, s20, 1
	s_addc_u32 s21, s21, 0
	v_ldexp_f32 v10, v10, s24
	v_cmp_eq_u64_e32 vcc, s[20:21], v[6:7]
	v_mul_f32_e32 v10, v9, v10
	s_or_b64 s[18:19], vcc, s[18:19]
	v_mov_b32_e32 v9, v8
	v_fma_f32 v8, v8, v5, -v10
	s_andn2_b64 exec, exec, s[18:19]
	s_cbranch_execnz .LBB69_170
; %bb.171:
	s_or_b64 exec, exec, s[18:19]
.LBB69_172:
	s_or_b64 exec, exec, s[16:17]
                                        ; implicit-def: $vgpr5
.LBB69_173:
	s_andn2_saveexec_b64 s[14:15], s[14:15]
; %bb.174:
	v_mov_b32_e32 v8, v5
; %bb.175:
	s_or_b64 exec, exec, s[14:15]
.LBB69_176:
	s_or_b64 exec, exec, s[12:13]
.LBB69_177:
	s_or_b64 exec, exec, s[4:5]
	global_load_dword v5, v22, s[6:7]
	s_mov_b32 s4, 0x2f800000
	s_mov_b32 s5, 0xcf800000
	s_waitcnt vmcnt(0)
	v_trunc_f32_e32 v5, v5
	v_mul_f32_e64 v6, |v5|, s4
	v_floor_f32_e32 v6, v6
	v_fma_f32 v7, v6, s5, |v5|
	v_cvt_u32_f32_e32 v6, v6
	v_cvt_u32_f32_e32 v7, v7
	v_ashrrev_i32_e32 v5, 31, v5
	v_xor_b32_e32 v9, v6, v5
	v_xor_b32_e32 v6, v7, v5
	v_sub_co_u32_e32 v6, vcc, v6, v5
	v_subb_co_u32_e32 v7, vcc, v9, v5, vcc
	v_cmp_lt_i64_e32 vcc, -1, v[6:7]
	v_mov_b32_e32 v5, 0
	s_and_saveexec_b64 s[4:5], vcc
	s_cbranch_execz .LBB69_189
; %bb.178:
	v_cmp_lt_i64_e32 vcc, 0, v[6:7]
	v_mov_b32_e32 v5, 1.0
	s_and_saveexec_b64 s[6:7], vcc
	s_cbranch_execz .LBB69_188
; %bb.179:
	s_waitcnt lgkmcnt(0)
	global_load_ushort v5, v20, s[2:3]
	v_cmp_ne_u64_e32 vcc, 1, v[6:7]
	s_waitcnt vmcnt(0)
	v_lshlrev_b32_e32 v9, 16, v5
                                        ; implicit-def: $vgpr5
	s_and_saveexec_b64 s[2:3], vcc
	s_xor_b64 s[2:3], exec, s[2:3]
	s_cbranch_execz .LBB69_185
; %bb.180:
	s_mov_b64 s[12:13], 0x81
	v_cmp_gt_u64_e32 vcc, s[12:13], v[6:7]
	v_mov_b32_e32 v5, 0x7fc00000
	s_and_saveexec_b64 s[12:13], vcc
	s_cbranch_execz .LBB69_184
; %bb.181:
	s_mov_b64 s[16:17], 1
	s_mov_b64 s[14:15], 0
	v_mov_b32_e32 v10, 1.0
	v_mov_b32_e32 v5, v9
.LBB69_182:                             ; =>This Inner Loop Header: Depth=1
	s_flbit_i32_b32 s18, s17
	s_min_u32 s20, s18, 32
	s_lshl_b64 s[18:19], s[16:17], s20
	s_min_u32 s18, s18, 1
	s_or_b32 s18, s19, s18
	v_cvt_f32_u32_e32 v11, s18
	s_sub_i32 s20, 32, s20
	s_add_u32 s16, s16, 1
	s_addc_u32 s17, s17, 0
	v_ldexp_f32 v11, v11, s20
	v_cmp_eq_u64_e32 vcc, s[16:17], v[6:7]
	v_mul_f32_e32 v11, v10, v11
	s_or_b64 s[14:15], vcc, s[14:15]
	v_mov_b32_e32 v10, v5
	v_fma_f32 v5, v5, v9, -v11
	s_andn2_b64 exec, exec, s[14:15]
	s_cbranch_execnz .LBB69_182
; %bb.183:
	s_or_b64 exec, exec, s[14:15]
.LBB69_184:
	s_or_b64 exec, exec, s[12:13]
                                        ; implicit-def: $vgpr9
.LBB69_185:
	s_andn2_saveexec_b64 s[2:3], s[2:3]
; %bb.186:
	v_mov_b32_e32 v5, v9
; %bb.187:
	s_or_b64 exec, exec, s[2:3]
.LBB69_188:
	s_or_b64 exec, exec, s[6:7]
.LBB69_189:
	s_or_b64 exec, exec, s[4:5]
	s_waitcnt lgkmcnt(0)
	v_mov_b32_e32 v7, s1
	v_add_co_u32_e32 v6, vcc, s0, v14
	v_bfe_u32 v9, v1, 16, 1
	s_movk_i32 s2, 0x7fff
	v_addc_co_u32_e32 v7, vcc, 0, v7, vcc
	v_add3_u32 v9, v1, v9, s2
	v_lshrrev_b32_e32 v9, 16, v9
	v_mov_b32_e32 v10, 0x7fc0
	v_cmp_o_f32_e32 vcc, v1, v1
	v_cndmask_b32_e32 v1, v10, v9, vcc
	global_store_short v0, v1, s[0:1]
	v_bfe_u32 v0, v3, 16, 1
	v_add3_u32 v0, v3, v0, s2
	v_lshrrev_b32_e32 v0, 16, v0
	v_cmp_o_f32_e32 vcc, v3, v3
	v_cndmask_b32_e32 v0, v10, v0, vcc
	global_store_short v2, v0, s[0:1]
	v_bfe_u32 v0, v8, 16, 1
	v_add3_u32 v0, v8, v0, s2
	v_lshrrev_b32_e32 v0, 16, v0
	v_cmp_o_f32_e32 vcc, v8, v8
	v_cndmask_b32_e32 v0, v10, v0, vcc
	global_store_short v4, v0, s[0:1]
	s_or_b64 s[8:9], s[8:9], exec
	s_or_b64 exec, exec, s[10:11]
	s_and_saveexec_b64 s[0:1], s[8:9]
	s_cbranch_execz .LBB69_3
.LBB69_190:
	v_bfe_u32 v0, v5, 16, 1
	s_movk_i32 s0, 0x7fff
	v_add3_u32 v0, v5, v0, s0
	v_lshrrev_b32_e32 v0, 16, v0
	v_mov_b32_e32 v1, 0x7fc0
	v_cmp_o_f32_e32 vcc, v5, v5
	v_cndmask_b32_e32 v0, v1, v0, vcc
	global_store_short v[6:7], v0, off
	s_endpgm
	.section	.rodata,"a",@progbits
	.p2align	6, 0x0
	.amdhsa_kernel _ZN2at6native32elementwise_kernel_manual_unrollILi128ELi4EZNS0_12_GLOBAL__N_142type_specialized_broadcast_kernel_launcherILi2EE5applyINS0_13BinaryFunctorIfffZZZNS2_33hermite_polynomial_he_kernel_cudaERNS_18TensorIteratorBaseEENKUlvE_clEvENKUlvE0_clEvEUlffE_EESt5arrayIPcLm3EESD_IN3c1010ScalarTypeELm3EE16OffsetCalculatorILi3EjLb0EEEEvlT_T0_T1_T2_EUlibE_EEviSN_
		.amdhsa_group_segment_fixed_size 0
		.amdhsa_private_segment_fixed_size 0
		.amdhsa_kernarg_size 432
		.amdhsa_user_sgpr_count 6
		.amdhsa_user_sgpr_private_segment_buffer 1
		.amdhsa_user_sgpr_dispatch_ptr 0
		.amdhsa_user_sgpr_queue_ptr 0
		.amdhsa_user_sgpr_kernarg_segment_ptr 1
		.amdhsa_user_sgpr_dispatch_id 0
		.amdhsa_user_sgpr_flat_scratch_init 0
		.amdhsa_user_sgpr_kernarg_preload_length 0
		.amdhsa_user_sgpr_kernarg_preload_offset 0
		.amdhsa_user_sgpr_private_segment_size 0
		.amdhsa_uses_dynamic_stack 0
		.amdhsa_system_sgpr_private_segment_wavefront_offset 0
		.amdhsa_system_sgpr_workgroup_id_x 1
		.amdhsa_system_sgpr_workgroup_id_y 0
		.amdhsa_system_sgpr_workgroup_id_z 0
		.amdhsa_system_sgpr_workgroup_info 0
		.amdhsa_system_vgpr_workitem_id 0
		.amdhsa_next_free_vgpr 25
		.amdhsa_next_free_sgpr 54
		.amdhsa_accum_offset 28
		.amdhsa_reserve_vcc 1
		.amdhsa_reserve_flat_scratch 0
		.amdhsa_float_round_mode_32 0
		.amdhsa_float_round_mode_16_64 0
		.amdhsa_float_denorm_mode_32 3
		.amdhsa_float_denorm_mode_16_64 3
		.amdhsa_dx10_clamp 1
		.amdhsa_ieee_mode 1
		.amdhsa_fp16_overflow 0
		.amdhsa_tg_split 0
		.amdhsa_exception_fp_ieee_invalid_op 0
		.amdhsa_exception_fp_denorm_src 0
		.amdhsa_exception_fp_ieee_div_zero 0
		.amdhsa_exception_fp_ieee_overflow 0
		.amdhsa_exception_fp_ieee_underflow 0
		.amdhsa_exception_fp_ieee_inexact 0
		.amdhsa_exception_int_div_zero 0
	.end_amdhsa_kernel
	.section	.text._ZN2at6native32elementwise_kernel_manual_unrollILi128ELi4EZNS0_12_GLOBAL__N_142type_specialized_broadcast_kernel_launcherILi2EE5applyINS0_13BinaryFunctorIfffZZZNS2_33hermite_polynomial_he_kernel_cudaERNS_18TensorIteratorBaseEENKUlvE_clEvENKUlvE0_clEvEUlffE_EESt5arrayIPcLm3EESD_IN3c1010ScalarTypeELm3EE16OffsetCalculatorILi3EjLb0EEEEvlT_T0_T1_T2_EUlibE_EEviSN_,"axG",@progbits,_ZN2at6native32elementwise_kernel_manual_unrollILi128ELi4EZNS0_12_GLOBAL__N_142type_specialized_broadcast_kernel_launcherILi2EE5applyINS0_13BinaryFunctorIfffZZZNS2_33hermite_polynomial_he_kernel_cudaERNS_18TensorIteratorBaseEENKUlvE_clEvENKUlvE0_clEvEUlffE_EESt5arrayIPcLm3EESD_IN3c1010ScalarTypeELm3EE16OffsetCalculatorILi3EjLb0EEEEvlT_T0_T1_T2_EUlibE_EEviSN_,comdat
.Lfunc_end69:
	.size	_ZN2at6native32elementwise_kernel_manual_unrollILi128ELi4EZNS0_12_GLOBAL__N_142type_specialized_broadcast_kernel_launcherILi2EE5applyINS0_13BinaryFunctorIfffZZZNS2_33hermite_polynomial_he_kernel_cudaERNS_18TensorIteratorBaseEENKUlvE_clEvENKUlvE0_clEvEUlffE_EESt5arrayIPcLm3EESD_IN3c1010ScalarTypeELm3EE16OffsetCalculatorILi3EjLb0EEEEvlT_T0_T1_T2_EUlibE_EEviSN_, .Lfunc_end69-_ZN2at6native32elementwise_kernel_manual_unrollILi128ELi4EZNS0_12_GLOBAL__N_142type_specialized_broadcast_kernel_launcherILi2EE5applyINS0_13BinaryFunctorIfffZZZNS2_33hermite_polynomial_he_kernel_cudaERNS_18TensorIteratorBaseEENKUlvE_clEvENKUlvE0_clEvEUlffE_EESt5arrayIPcLm3EESD_IN3c1010ScalarTypeELm3EE16OffsetCalculatorILi3EjLb0EEEEvlT_T0_T1_T2_EUlibE_EEviSN_
                                        ; -- End function
	.section	.AMDGPU.csdata,"",@progbits
; Kernel info:
; codeLenInByte = 7124
; NumSgprs: 58
; NumVgprs: 25
; NumAgprs: 0
; TotalNumVgprs: 25
; ScratchSize: 0
; MemoryBound: 0
; FloatMode: 240
; IeeeMode: 1
; LDSByteSize: 0 bytes/workgroup (compile time only)
; SGPRBlocks: 7
; VGPRBlocks: 3
; NumSGPRsForWavesPerEU: 58
; NumVGPRsForWavesPerEU: 25
; AccumOffset: 28
; Occupancy: 8
; WaveLimiterHint : 1
; COMPUTE_PGM_RSRC2:SCRATCH_EN: 0
; COMPUTE_PGM_RSRC2:USER_SGPR: 6
; COMPUTE_PGM_RSRC2:TRAP_HANDLER: 0
; COMPUTE_PGM_RSRC2:TGID_X_EN: 1
; COMPUTE_PGM_RSRC2:TGID_Y_EN: 0
; COMPUTE_PGM_RSRC2:TGID_Z_EN: 0
; COMPUTE_PGM_RSRC2:TIDIG_COMP_CNT: 0
; COMPUTE_PGM_RSRC3_GFX90A:ACCUM_OFFSET: 6
; COMPUTE_PGM_RSRC3_GFX90A:TG_SPLIT: 0
	.section	.text._ZN2at6native32elementwise_kernel_manual_unrollILi128ELi4EZNS0_12_GLOBAL__N_142type_specialized_broadcast_kernel_launcherILi3EE5applyINS0_13BinaryFunctorIfffZZZNS2_33hermite_polynomial_he_kernel_cudaERNS_18TensorIteratorBaseEENKUlvE_clEvENKUlvE0_clEvEUlffE_EESt5arrayIPcLm3EESD_IN3c1010ScalarTypeELm3EE16OffsetCalculatorILi3EjLb0EEEEvlT_T0_T1_T2_EUlibE_EEviSN_,"axG",@progbits,_ZN2at6native32elementwise_kernel_manual_unrollILi128ELi4EZNS0_12_GLOBAL__N_142type_specialized_broadcast_kernel_launcherILi3EE5applyINS0_13BinaryFunctorIfffZZZNS2_33hermite_polynomial_he_kernel_cudaERNS_18TensorIteratorBaseEENKUlvE_clEvENKUlvE0_clEvEUlffE_EESt5arrayIPcLm3EESD_IN3c1010ScalarTypeELm3EE16OffsetCalculatorILi3EjLb0EEEEvlT_T0_T1_T2_EUlibE_EEviSN_,comdat
	.globl	_ZN2at6native32elementwise_kernel_manual_unrollILi128ELi4EZNS0_12_GLOBAL__N_142type_specialized_broadcast_kernel_launcherILi3EE5applyINS0_13BinaryFunctorIfffZZZNS2_33hermite_polynomial_he_kernel_cudaERNS_18TensorIteratorBaseEENKUlvE_clEvENKUlvE0_clEvEUlffE_EESt5arrayIPcLm3EESD_IN3c1010ScalarTypeELm3EE16OffsetCalculatorILi3EjLb0EEEEvlT_T0_T1_T2_EUlibE_EEviSN_ ; -- Begin function _ZN2at6native32elementwise_kernel_manual_unrollILi128ELi4EZNS0_12_GLOBAL__N_142type_specialized_broadcast_kernel_launcherILi3EE5applyINS0_13BinaryFunctorIfffZZZNS2_33hermite_polynomial_he_kernel_cudaERNS_18TensorIteratorBaseEENKUlvE_clEvENKUlvE0_clEvEUlffE_EESt5arrayIPcLm3EESD_IN3c1010ScalarTypeELm3EE16OffsetCalculatorILi3EjLb0EEEEvlT_T0_T1_T2_EUlibE_EEviSN_
	.p2align	8
	.type	_ZN2at6native32elementwise_kernel_manual_unrollILi128ELi4EZNS0_12_GLOBAL__N_142type_specialized_broadcast_kernel_launcherILi3EE5applyINS0_13BinaryFunctorIfffZZZNS2_33hermite_polynomial_he_kernel_cudaERNS_18TensorIteratorBaseEENKUlvE_clEvENKUlvE0_clEvEUlffE_EESt5arrayIPcLm3EESD_IN3c1010ScalarTypeELm3EE16OffsetCalculatorILi3EjLb0EEEEvlT_T0_T1_T2_EUlibE_EEviSN_,@function
_ZN2at6native32elementwise_kernel_manual_unrollILi128ELi4EZNS0_12_GLOBAL__N_142type_specialized_broadcast_kernel_launcherILi3EE5applyINS0_13BinaryFunctorIfffZZZNS2_33hermite_polynomial_he_kernel_cudaERNS_18TensorIteratorBaseEENKUlvE_clEvENKUlvE0_clEvEUlffE_EESt5arrayIPcLm3EESD_IN3c1010ScalarTypeELm3EE16OffsetCalculatorILi3EjLb0EEEEvlT_T0_T1_T2_EUlibE_EEviSN_: ; @_ZN2at6native32elementwise_kernel_manual_unrollILi128ELi4EZNS0_12_GLOBAL__N_142type_specialized_broadcast_kernel_launcherILi3EE5applyINS0_13BinaryFunctorIfffZZZNS2_33hermite_polynomial_he_kernel_cudaERNS_18TensorIteratorBaseEENKUlvE_clEvENKUlvE0_clEvEUlffE_EESt5arrayIPcLm3EESD_IN3c1010ScalarTypeELm3EE16OffsetCalculatorILi3EjLb0EEEEvlT_T0_T1_T2_EUlibE_EEviSN_
; %bb.0:
	s_load_dword s46, s[4:5], 0x0
	s_load_dword s33, s[4:5], 0x8
	s_or_b32 s4, s4, 8
	v_lshl_or_b32 v14, s6, 9, v0
	v_or_b32_e32 v24, 0x180, v14
	s_waitcnt lgkmcnt(0)
	v_cmp_le_i32_e32 vcc, s46, v24
	s_add_i32 s44, s33, -1
	s_cmp_gt_u32 s44, 1
	s_cselect_b64 s[6:7], -1, 0
	s_and_saveexec_b64 s[0:1], vcc
	s_xor_b64 s[16:17], exec, s[0:1]
	s_cbranch_execz .LBB70_98
; %bb.1:
	s_load_dwordx4 s[12:15], s[4:5], 0x4
	s_load_dwordx2 s[22:23], s[4:5], 0x14
	s_load_dwordx4 s[8:11], s[4:5], 0xc4
	s_load_dwordx2 s[20:21], s[4:5], 0xd4
	s_load_dwordx2 s[18:19], s[4:5], 0x198
	s_load_dwordx4 s[0:3], s[4:5], 0x188
	s_cmp_lg_u32 s33, 0
	s_cselect_b64 s[26:27], -1, 0
	s_min_u32 s45, s44, 15
	s_cmp_gt_u32 s33, 1
	s_cselect_b64 s[24:25], -1, 0
	v_cmp_gt_i32_e32 vcc, s46, v14
	s_and_saveexec_b64 s[28:29], vcc
	s_cbranch_execnz .LBB70_5
; %bb.2:
	s_or_b64 exec, exec, s[28:29]
	v_cmp_gt_i32_e32 vcc, s46, v14
	s_and_saveexec_b64 s[28:29], vcc
	s_cbranch_execnz .LBB70_28
.LBB70_3:
	s_or_b64 exec, exec, s[28:29]
	v_cmp_gt_i32_e32 vcc, s46, v14
	s_and_saveexec_b64 s[28:29], vcc
	s_cbranch_execnz .LBB70_51
.LBB70_4:
	s_or_b64 exec, exec, s[28:29]
	v_cmp_gt_i32_e32 vcc, s46, v14
	s_and_saveexec_b64 s[28:29], vcc
	s_cbranch_execnz .LBB70_74
	s_branch .LBB70_97
.LBB70_5:
	s_andn2_b64 vcc, exec, s[6:7]
	s_cbranch_vccnz .LBB70_12
; %bb.6:
	s_andn2_b64 vcc, exec, s[26:27]
	v_mov_b32_e32 v4, 0
	v_mov_b32_e32 v2, 0
	v_mov_b32_e32 v0, 0
	s_cbranch_vccnz .LBB70_11
; %bb.7:
	s_add_i32 s30, s45, 1
	s_and_b32 s34, s30, 30
	s_add_u32 s30, s4, 0xffffffec
	s_addc_u32 s31, s5, -1
	v_mov_b32_e32 v0, 0
	v_mov_b32_e32 v1, v14
	;; [unrolled: 1-line block ×4, first 2 shown]
.LBB70_8:                               ; =>This Inner Loop Header: Depth=1
	s_mov_b64 s[48:49], s[30:31]
	s_load_dwordx4 s[36:39], s[48:49], 0x18
	s_load_dwordx2 s[50:51], s[48:49], 0x28
	s_load_dwordx2 s[52:53], s[48:49], 0xe8
	s_load_dwordx4 s[40:43], s[48:49], 0xd8
	s_add_u32 s30, s48, 24
	s_waitcnt lgkmcnt(0)
	v_mul_hi_u32 v3, s37, v1
	v_add_u32_e32 v3, v1, v3
	v_lshrrev_b32_e32 v3, s38, v3
	v_mul_lo_u32 v5, v3, s36
	v_mul_hi_u32 v6, s50, v3
	v_sub_u32_e32 v1, v1, v5
	v_add_u32_e32 v5, v3, v6
	v_mul_lo_u32 v6, v1, s40
	v_mul_lo_u32 v7, v1, s41
	;; [unrolled: 1-line block ×3, first 2 shown]
	v_lshrrev_b32_e32 v1, s51, v5
	v_mul_lo_u32 v5, v1, s39
	v_sub_u32_e32 v3, v3, v5
	s_addc_u32 s31, s49, 0
	s_add_i32 s34, s34, -2
	v_mul_lo_u32 v5, v3, s43
	v_mul_lo_u32 v9, v3, s52
	;; [unrolled: 1-line block ×3, first 2 shown]
	s_cmp_lg_u32 s34, 0
	v_add3_u32 v0, v6, v0, v5
	v_add3_u32 v4, v8, v4, v3
	;; [unrolled: 1-line block ×3, first 2 shown]
	s_cbranch_scc1 .LBB70_8
; %bb.9:
	s_bitcmp1_b32 s45, 0
	s_cselect_b64 s[34:35], -1, 0
	s_and_b64 vcc, exec, s[34:35]
	s_cbranch_vccnz .LBB70_11
; %bb.10:
	s_load_dwordx2 s[34:35], s[30:31], 0x18
	s_load_dword s38, s[30:31], 0x20
	s_load_dword s39, s[30:31], 0xe0
	s_load_dwordx2 s[36:37], s[30:31], 0xd8
	s_waitcnt lgkmcnt(0)
	v_mul_hi_u32 v3, s35, v1
	v_add_u32_e32 v3, v1, v3
	v_lshrrev_b32_e32 v3, s38, v3
	v_mul_lo_u32 v3, v3, s34
	v_sub_u32_e32 v5, v1, v3
	v_mad_u64_u32 v[0:1], s[30:31], v5, s36, v[0:1]
	v_mad_u64_u32 v[2:3], s[30:31], v5, s37, v[2:3]
	;; [unrolled: 1-line block ×3, first 2 shown]
.LBB70_11:
	s_cbranch_execz .LBB70_13
	s_branch .LBB70_15
.LBB70_12:
                                        ; implicit-def: $vgpr4
                                        ; implicit-def: $vgpr2
                                        ; implicit-def: $vgpr0
.LBB70_13:
	s_waitcnt lgkmcnt(0)
	v_mul_hi_u32 v0, s13, v14
	v_add_u32_e32 v0, v14, v0
	v_lshrrev_b32_e32 v1, s14, v0
	v_mul_lo_u32 v0, v1, s12
	v_sub_u32_e32 v2, v14, v0
	v_mul_lo_u32 v0, v2, s8
	v_mul_lo_u32 v4, v2, s10
	s_andn2_b64 vcc, exec, s[24:25]
	v_mul_lo_u32 v2, v2, s9
	s_cbranch_vccnz .LBB70_15
; %bb.14:
	v_mul_hi_u32 v3, s22, v1
	v_add_u32_e32 v3, v1, v3
	v_lshrrev_b32_e32 v3, s23, v3
	v_mul_lo_u32 v3, v3, s15
	v_sub_u32_e32 v5, v1, v3
	v_mad_u64_u32 v[0:1], s[30:31], v5, s11, v[0:1]
	v_mad_u64_u32 v[2:3], s[30:31], v5, s20, v[2:3]
	v_mad_u64_u32 v[4:5], s[30:31], v5, s21, v[4:5]
.LBB70_15:
	s_waitcnt lgkmcnt(0)
	global_load_ushort v1, v4, s[18:19]
	v_mov_b32_e32 v3, 0
	s_waitcnt vmcnt(0)
	v_cvt_f32_f16_e32 v1, v1
	v_cvt_i32_f32_e32 v4, v1
	v_ashrrev_i32_e32 v5, 31, v4
	v_cmp_lt_i64_e32 vcc, -1, v[4:5]
	s_and_saveexec_b64 s[30:31], vcc
	s_cbranch_execz .LBB70_27
; %bb.16:
	v_cmp_lt_i64_e32 vcc, 0, v[4:5]
	v_mov_b32_e32 v3, 1.0
	s_and_saveexec_b64 s[34:35], vcc
	s_cbranch_execz .LBB70_26
; %bb.17:
	global_load_dword v1, v2, s[2:3]
	v_cmp_ne_u64_e32 vcc, 1, v[4:5]
                                        ; implicit-def: $vgpr3
	s_and_saveexec_b64 s[36:37], vcc
	s_xor_b64 s[36:37], exec, s[36:37]
	s_cbranch_execz .LBB70_23
; %bb.18:
	s_mov_b64 s[38:39], 0x81
	v_cmp_gt_u64_e32 vcc, s[38:39], v[4:5]
	v_mov_b32_e32 v3, 0x7fc00000
	s_and_saveexec_b64 s[38:39], vcc
	s_cbranch_execz .LBB70_22
; %bb.19:
	s_mov_b64 s[42:43], 1
	s_mov_b64 s[40:41], 0
	v_mov_b32_e32 v2, 1.0
	s_waitcnt vmcnt(0)
	v_mov_b32_e32 v3, v1
.LBB70_20:                              ; =>This Inner Loop Header: Depth=1
	s_flbit_i32_b32 s47, s43
	s_min_u32 s47, s47, 32
	s_lshl_b64 s[48:49], s[42:43], s47
	s_min_u32 s48, s48, 1
	s_or_b32 s48, s49, s48
	v_cvt_f32_u32_e32 v6, s48
	s_sub_i32 s47, 32, s47
	s_add_u32 s42, s42, 1
	s_addc_u32 s43, s43, 0
	v_ldexp_f32 v6, v6, s47
	v_cmp_eq_u64_e32 vcc, s[42:43], v[4:5]
	v_mul_f32_e32 v6, v2, v6
	s_or_b64 s[40:41], vcc, s[40:41]
	v_mov_b32_e32 v2, v3
	v_fma_f32 v3, v1, v3, -v6
	s_andn2_b64 exec, exec, s[40:41]
	s_cbranch_execnz .LBB70_20
; %bb.21:
	s_or_b64 exec, exec, s[40:41]
.LBB70_22:
	s_or_b64 exec, exec, s[38:39]
                                        ; implicit-def: $vgpr1
.LBB70_23:
	s_andn2_saveexec_b64 s[36:37], s[36:37]
	s_cbranch_execz .LBB70_25
; %bb.24:
	s_waitcnt vmcnt(0)
	v_mov_b32_e32 v3, v1
.LBB70_25:
	s_or_b64 exec, exec, s[36:37]
.LBB70_26:
	s_or_b64 exec, exec, s[34:35]
.LBB70_27:
	s_or_b64 exec, exec, s[30:31]
	v_add_u32_e32 v14, 0x80, v14
	global_store_dword v0, v3, s[0:1]
	s_or_b64 exec, exec, s[28:29]
	v_cmp_gt_i32_e32 vcc, s46, v14
	s_and_saveexec_b64 s[28:29], vcc
	s_cbranch_execz .LBB70_3
.LBB70_28:
	s_andn2_b64 vcc, exec, s[6:7]
	s_cbranch_vccnz .LBB70_35
; %bb.29:
	s_andn2_b64 vcc, exec, s[26:27]
	v_mov_b32_e32 v4, 0
	v_mov_b32_e32 v2, 0
	;; [unrolled: 1-line block ×3, first 2 shown]
	s_cbranch_vccnz .LBB70_34
; %bb.30:
	s_add_i32 s30, s45, 1
	s_and_b32 s34, s30, 30
	s_add_u32 s30, s4, 0xffffffec
	s_addc_u32 s31, s5, -1
	v_mov_b32_e32 v0, 0
	s_waitcnt vmcnt(1)
	v_mov_b32_e32 v1, v14
	v_mov_b32_e32 v2, 0
	v_mov_b32_e32 v4, 0
.LBB70_31:                              ; =>This Inner Loop Header: Depth=1
	s_mov_b64 s[48:49], s[30:31]
	s_load_dwordx4 s[36:39], s[48:49], 0x18
	s_load_dwordx2 s[50:51], s[48:49], 0x28
	s_load_dwordx2 s[52:53], s[48:49], 0xe8
	s_load_dwordx4 s[40:43], s[48:49], 0xd8
	s_add_u32 s30, s48, 24
	s_waitcnt lgkmcnt(0)
	v_mul_hi_u32 v3, s37, v1
	v_add_u32_e32 v3, v1, v3
	v_lshrrev_b32_e32 v3, s38, v3
	v_mul_lo_u32 v5, v3, s36
	v_mul_hi_u32 v6, s50, v3
	v_sub_u32_e32 v1, v1, v5
	v_add_u32_e32 v5, v3, v6
	v_mul_lo_u32 v6, v1, s40
	v_mul_lo_u32 v7, v1, s41
	;; [unrolled: 1-line block ×3, first 2 shown]
	v_lshrrev_b32_e32 v1, s51, v5
	v_mul_lo_u32 v5, v1, s39
	v_sub_u32_e32 v3, v3, v5
	s_addc_u32 s31, s49, 0
	s_add_i32 s34, s34, -2
	v_mul_lo_u32 v5, v3, s43
	v_mul_lo_u32 v9, v3, s52
	;; [unrolled: 1-line block ×3, first 2 shown]
	s_cmp_eq_u32 s34, 0
	v_add3_u32 v0, v6, v0, v5
	v_add3_u32 v4, v8, v4, v3
	;; [unrolled: 1-line block ×3, first 2 shown]
	s_cbranch_scc0 .LBB70_31
; %bb.32:
	s_bitcmp1_b32 s45, 0
	s_cselect_b64 s[34:35], -1, 0
	s_and_b64 vcc, exec, s[34:35]
	s_cbranch_vccnz .LBB70_34
; %bb.33:
	s_load_dwordx2 s[34:35], s[30:31], 0x18
	s_load_dword s38, s[30:31], 0x20
	s_load_dword s39, s[30:31], 0xe0
	s_load_dwordx2 s[36:37], s[30:31], 0xd8
	s_waitcnt lgkmcnt(0)
	v_mul_hi_u32 v3, s35, v1
	v_add_u32_e32 v3, v1, v3
	v_lshrrev_b32_e32 v3, s38, v3
	v_mul_lo_u32 v3, v3, s34
	v_sub_u32_e32 v5, v1, v3
	v_mad_u64_u32 v[0:1], s[30:31], v5, s36, v[0:1]
	v_mad_u64_u32 v[2:3], s[30:31], v5, s37, v[2:3]
	;; [unrolled: 1-line block ×3, first 2 shown]
.LBB70_34:
	s_cbranch_execz .LBB70_36
	s_branch .LBB70_38
.LBB70_35:
                                        ; implicit-def: $vgpr4
                                        ; implicit-def: $vgpr2
                                        ; implicit-def: $vgpr0
.LBB70_36:
	s_waitcnt lgkmcnt(0)
	v_mul_hi_u32 v0, s13, v14
	v_add_u32_e32 v0, v14, v0
	s_waitcnt vmcnt(1)
	v_lshrrev_b32_e32 v1, s14, v0
	v_mul_lo_u32 v0, v1, s12
	v_sub_u32_e32 v2, v14, v0
	v_mul_lo_u32 v0, v2, s8
	v_mul_lo_u32 v4, v2, s10
	s_andn2_b64 vcc, exec, s[24:25]
	v_mul_lo_u32 v2, v2, s9
	s_cbranch_vccnz .LBB70_38
; %bb.37:
	v_mul_hi_u32 v3, s22, v1
	v_add_u32_e32 v3, v1, v3
	v_lshrrev_b32_e32 v3, s23, v3
	v_mul_lo_u32 v3, v3, s15
	v_sub_u32_e32 v5, v1, v3
	v_mad_u64_u32 v[0:1], s[30:31], v5, s11, v[0:1]
	v_mad_u64_u32 v[2:3], s[30:31], v5, s20, v[2:3]
	;; [unrolled: 1-line block ×3, first 2 shown]
.LBB70_38:
	s_waitcnt lgkmcnt(0)
	global_load_ushort v1, v4, s[18:19]
	v_mov_b32_e32 v3, 0
	s_waitcnt vmcnt(0)
	v_cvt_f32_f16_e32 v1, v1
	v_cvt_i32_f32_e32 v4, v1
	v_ashrrev_i32_e32 v5, 31, v4
	v_cmp_lt_i64_e32 vcc, -1, v[4:5]
	s_and_saveexec_b64 s[30:31], vcc
	s_cbranch_execz .LBB70_50
; %bb.39:
	v_cmp_lt_i64_e32 vcc, 0, v[4:5]
	v_mov_b32_e32 v3, 1.0
	s_and_saveexec_b64 s[34:35], vcc
	s_cbranch_execz .LBB70_49
; %bb.40:
	global_load_dword v1, v2, s[2:3]
	v_cmp_ne_u64_e32 vcc, 1, v[4:5]
                                        ; implicit-def: $vgpr3
	s_and_saveexec_b64 s[36:37], vcc
	s_xor_b64 s[36:37], exec, s[36:37]
	s_cbranch_execz .LBB70_46
; %bb.41:
	s_mov_b64 s[38:39], 0x81
	v_cmp_gt_u64_e32 vcc, s[38:39], v[4:5]
	v_mov_b32_e32 v3, 0x7fc00000
	s_and_saveexec_b64 s[38:39], vcc
	s_cbranch_execz .LBB70_45
; %bb.42:
	s_mov_b64 s[42:43], 1
	s_mov_b64 s[40:41], 0
	v_mov_b32_e32 v2, 1.0
	s_waitcnt vmcnt(0)
	v_mov_b32_e32 v3, v1
.LBB70_43:                              ; =>This Inner Loop Header: Depth=1
	s_flbit_i32_b32 s47, s43
	s_min_u32 s47, s47, 32
	s_lshl_b64 s[48:49], s[42:43], s47
	s_min_u32 s48, s48, 1
	s_or_b32 s48, s49, s48
	v_cvt_f32_u32_e32 v6, s48
	s_sub_i32 s47, 32, s47
	s_add_u32 s42, s42, 1
	s_addc_u32 s43, s43, 0
	v_ldexp_f32 v6, v6, s47
	v_cmp_eq_u64_e32 vcc, s[42:43], v[4:5]
	v_mul_f32_e32 v6, v2, v6
	s_or_b64 s[40:41], vcc, s[40:41]
	v_mov_b32_e32 v2, v3
	v_fma_f32 v3, v1, v3, -v6
	s_andn2_b64 exec, exec, s[40:41]
	s_cbranch_execnz .LBB70_43
; %bb.44:
	s_or_b64 exec, exec, s[40:41]
.LBB70_45:
	s_or_b64 exec, exec, s[38:39]
                                        ; implicit-def: $vgpr1
.LBB70_46:
	s_andn2_saveexec_b64 s[36:37], s[36:37]
	s_cbranch_execz .LBB70_48
; %bb.47:
	s_waitcnt vmcnt(0)
	v_mov_b32_e32 v3, v1
.LBB70_48:
	s_or_b64 exec, exec, s[36:37]
.LBB70_49:
	s_or_b64 exec, exec, s[34:35]
.LBB70_50:
	s_or_b64 exec, exec, s[30:31]
	v_add_u32_e32 v14, 0x80, v14
	global_store_dword v0, v3, s[0:1]
	s_or_b64 exec, exec, s[28:29]
	v_cmp_gt_i32_e32 vcc, s46, v14
	s_and_saveexec_b64 s[28:29], vcc
	s_cbranch_execz .LBB70_4
.LBB70_51:
	s_andn2_b64 vcc, exec, s[6:7]
	s_cbranch_vccnz .LBB70_58
; %bb.52:
	s_andn2_b64 vcc, exec, s[26:27]
	v_mov_b32_e32 v4, 0
	v_mov_b32_e32 v2, 0
	;; [unrolled: 1-line block ×3, first 2 shown]
	s_cbranch_vccnz .LBB70_57
; %bb.53:
	s_add_i32 s30, s45, 1
	s_and_b32 s34, s30, 30
	s_add_u32 s30, s4, 0xffffffec
	s_addc_u32 s31, s5, -1
	v_mov_b32_e32 v0, 0
	s_waitcnt vmcnt(1)
	v_mov_b32_e32 v1, v14
	v_mov_b32_e32 v2, 0
	;; [unrolled: 1-line block ×3, first 2 shown]
.LBB70_54:                              ; =>This Inner Loop Header: Depth=1
	s_mov_b64 s[48:49], s[30:31]
	s_load_dwordx4 s[36:39], s[48:49], 0x18
	s_load_dwordx2 s[50:51], s[48:49], 0x28
	s_load_dwordx2 s[52:53], s[48:49], 0xe8
	s_load_dwordx4 s[40:43], s[48:49], 0xd8
	s_add_u32 s30, s48, 24
	s_waitcnt lgkmcnt(0)
	v_mul_hi_u32 v3, s37, v1
	v_add_u32_e32 v3, v1, v3
	v_lshrrev_b32_e32 v3, s38, v3
	v_mul_lo_u32 v5, v3, s36
	v_mul_hi_u32 v6, s50, v3
	v_sub_u32_e32 v1, v1, v5
	v_add_u32_e32 v5, v3, v6
	v_mul_lo_u32 v6, v1, s40
	v_mul_lo_u32 v7, v1, s41
	;; [unrolled: 1-line block ×3, first 2 shown]
	v_lshrrev_b32_e32 v1, s51, v5
	v_mul_lo_u32 v5, v1, s39
	v_sub_u32_e32 v3, v3, v5
	s_addc_u32 s31, s49, 0
	s_add_i32 s34, s34, -2
	v_mul_lo_u32 v5, v3, s43
	v_mul_lo_u32 v9, v3, s52
	;; [unrolled: 1-line block ×3, first 2 shown]
	s_cmp_eq_u32 s34, 0
	v_add3_u32 v0, v6, v0, v5
	v_add3_u32 v4, v8, v4, v3
	;; [unrolled: 1-line block ×3, first 2 shown]
	s_cbranch_scc0 .LBB70_54
; %bb.55:
	s_bitcmp1_b32 s45, 0
	s_cselect_b64 s[34:35], -1, 0
	s_and_b64 vcc, exec, s[34:35]
	s_cbranch_vccnz .LBB70_57
; %bb.56:
	s_load_dwordx2 s[34:35], s[30:31], 0x18
	s_load_dword s38, s[30:31], 0x20
	s_load_dword s39, s[30:31], 0xe0
	s_load_dwordx2 s[36:37], s[30:31], 0xd8
	s_waitcnt lgkmcnt(0)
	v_mul_hi_u32 v3, s35, v1
	v_add_u32_e32 v3, v1, v3
	v_lshrrev_b32_e32 v3, s38, v3
	v_mul_lo_u32 v3, v3, s34
	v_sub_u32_e32 v5, v1, v3
	v_mad_u64_u32 v[0:1], s[30:31], v5, s36, v[0:1]
	v_mad_u64_u32 v[2:3], s[30:31], v5, s37, v[2:3]
	;; [unrolled: 1-line block ×3, first 2 shown]
.LBB70_57:
	s_cbranch_execz .LBB70_59
	s_branch .LBB70_61
.LBB70_58:
                                        ; implicit-def: $vgpr4
                                        ; implicit-def: $vgpr2
                                        ; implicit-def: $vgpr0
.LBB70_59:
	s_waitcnt lgkmcnt(0)
	v_mul_hi_u32 v0, s13, v14
	v_add_u32_e32 v0, v14, v0
	s_waitcnt vmcnt(1)
	v_lshrrev_b32_e32 v1, s14, v0
	v_mul_lo_u32 v0, v1, s12
	v_sub_u32_e32 v2, v14, v0
	v_mul_lo_u32 v0, v2, s8
	v_mul_lo_u32 v4, v2, s10
	s_andn2_b64 vcc, exec, s[24:25]
	v_mul_lo_u32 v2, v2, s9
	s_cbranch_vccnz .LBB70_61
; %bb.60:
	v_mul_hi_u32 v3, s22, v1
	v_add_u32_e32 v3, v1, v3
	v_lshrrev_b32_e32 v3, s23, v3
	v_mul_lo_u32 v3, v3, s15
	v_sub_u32_e32 v5, v1, v3
	v_mad_u64_u32 v[0:1], s[30:31], v5, s11, v[0:1]
	v_mad_u64_u32 v[2:3], s[30:31], v5, s20, v[2:3]
	;; [unrolled: 1-line block ×3, first 2 shown]
.LBB70_61:
	s_waitcnt lgkmcnt(0)
	global_load_ushort v1, v4, s[18:19]
	v_mov_b32_e32 v3, 0
	s_waitcnt vmcnt(0)
	v_cvt_f32_f16_e32 v1, v1
	v_cvt_i32_f32_e32 v4, v1
	v_ashrrev_i32_e32 v5, 31, v4
	v_cmp_lt_i64_e32 vcc, -1, v[4:5]
	s_and_saveexec_b64 s[30:31], vcc
	s_cbranch_execz .LBB70_73
; %bb.62:
	v_cmp_lt_i64_e32 vcc, 0, v[4:5]
	v_mov_b32_e32 v3, 1.0
	s_and_saveexec_b64 s[34:35], vcc
	s_cbranch_execz .LBB70_72
; %bb.63:
	global_load_dword v1, v2, s[2:3]
	v_cmp_ne_u64_e32 vcc, 1, v[4:5]
                                        ; implicit-def: $vgpr3
	s_and_saveexec_b64 s[36:37], vcc
	s_xor_b64 s[36:37], exec, s[36:37]
	s_cbranch_execz .LBB70_69
; %bb.64:
	s_mov_b64 s[38:39], 0x81
	v_cmp_gt_u64_e32 vcc, s[38:39], v[4:5]
	v_mov_b32_e32 v3, 0x7fc00000
	s_and_saveexec_b64 s[38:39], vcc
	s_cbranch_execz .LBB70_68
; %bb.65:
	s_mov_b64 s[42:43], 1
	s_mov_b64 s[40:41], 0
	v_mov_b32_e32 v2, 1.0
	s_waitcnt vmcnt(0)
	v_mov_b32_e32 v3, v1
.LBB70_66:                              ; =>This Inner Loop Header: Depth=1
	s_flbit_i32_b32 s47, s43
	s_min_u32 s47, s47, 32
	s_lshl_b64 s[48:49], s[42:43], s47
	s_min_u32 s48, s48, 1
	s_or_b32 s48, s49, s48
	v_cvt_f32_u32_e32 v6, s48
	s_sub_i32 s47, 32, s47
	s_add_u32 s42, s42, 1
	s_addc_u32 s43, s43, 0
	v_ldexp_f32 v6, v6, s47
	v_cmp_eq_u64_e32 vcc, s[42:43], v[4:5]
	v_mul_f32_e32 v6, v2, v6
	s_or_b64 s[40:41], vcc, s[40:41]
	v_mov_b32_e32 v2, v3
	v_fma_f32 v3, v1, v3, -v6
	s_andn2_b64 exec, exec, s[40:41]
	s_cbranch_execnz .LBB70_66
; %bb.67:
	s_or_b64 exec, exec, s[40:41]
.LBB70_68:
	s_or_b64 exec, exec, s[38:39]
                                        ; implicit-def: $vgpr1
.LBB70_69:
	s_andn2_saveexec_b64 s[36:37], s[36:37]
	s_cbranch_execz .LBB70_71
; %bb.70:
	s_waitcnt vmcnt(0)
	v_mov_b32_e32 v3, v1
.LBB70_71:
	s_or_b64 exec, exec, s[36:37]
.LBB70_72:
	s_or_b64 exec, exec, s[34:35]
.LBB70_73:
	s_or_b64 exec, exec, s[30:31]
	v_add_u32_e32 v14, 0x80, v14
	global_store_dword v0, v3, s[0:1]
	s_or_b64 exec, exec, s[28:29]
	v_cmp_gt_i32_e32 vcc, s46, v14
	s_and_saveexec_b64 s[28:29], vcc
	s_cbranch_execz .LBB70_97
.LBB70_74:
	s_andn2_b64 vcc, exec, s[6:7]
	s_cbranch_vccnz .LBB70_81
; %bb.75:
	s_andn2_b64 vcc, exec, s[26:27]
	v_mov_b32_e32 v4, 0
	v_mov_b32_e32 v2, 0
	;; [unrolled: 1-line block ×3, first 2 shown]
	s_cbranch_vccnz .LBB70_80
; %bb.76:
	s_add_i32 s26, s45, 1
	s_and_b32 s30, s26, 30
	s_add_u32 s26, s4, 0xffffffec
	s_addc_u32 s27, s5, -1
	v_mov_b32_e32 v0, 0
	s_waitcnt vmcnt(1)
	v_mov_b32_e32 v1, v14
	v_mov_b32_e32 v2, 0
	;; [unrolled: 1-line block ×3, first 2 shown]
.LBB70_77:                              ; =>This Inner Loop Header: Depth=1
	s_mov_b64 s[34:35], s[26:27]
	s_load_dwordx4 s[36:39], s[34:35], 0x18
	s_load_dwordx2 s[46:47], s[34:35], 0x28
	s_load_dwordx2 s[48:49], s[34:35], 0xe8
	s_load_dwordx4 s[40:43], s[34:35], 0xd8
	s_add_u32 s26, s34, 24
	s_waitcnt lgkmcnt(0)
	v_mul_hi_u32 v3, s37, v1
	v_add_u32_e32 v3, v1, v3
	v_lshrrev_b32_e32 v3, s38, v3
	v_mul_lo_u32 v5, v3, s36
	v_mul_hi_u32 v6, s46, v3
	v_sub_u32_e32 v1, v1, v5
	v_add_u32_e32 v5, v3, v6
	v_mul_lo_u32 v6, v1, s40
	v_mul_lo_u32 v7, v1, s41
	;; [unrolled: 1-line block ×3, first 2 shown]
	v_lshrrev_b32_e32 v1, s47, v5
	v_mul_lo_u32 v5, v1, s39
	v_sub_u32_e32 v3, v3, v5
	s_addc_u32 s27, s35, 0
	s_add_i32 s30, s30, -2
	v_mul_lo_u32 v5, v3, s43
	v_mul_lo_u32 v9, v3, s48
	;; [unrolled: 1-line block ×3, first 2 shown]
	s_cmp_eq_u32 s30, 0
	v_add3_u32 v0, v6, v0, v5
	v_add3_u32 v4, v8, v4, v3
	;; [unrolled: 1-line block ×3, first 2 shown]
	s_cbranch_scc0 .LBB70_77
; %bb.78:
	s_bitcmp1_b32 s45, 0
	s_cselect_b64 s[30:31], -1, 0
	s_and_b64 vcc, exec, s[30:31]
	s_cbranch_vccnz .LBB70_80
; %bb.79:
	s_load_dwordx2 s[30:31], s[26:27], 0x18
	s_load_dword s36, s[26:27], 0x20
	s_load_dword s37, s[26:27], 0xe0
	s_load_dwordx2 s[34:35], s[26:27], 0xd8
	s_waitcnt lgkmcnt(0)
	v_mul_hi_u32 v3, s31, v1
	v_add_u32_e32 v3, v1, v3
	v_lshrrev_b32_e32 v3, s36, v3
	v_mul_lo_u32 v3, v3, s30
	v_sub_u32_e32 v5, v1, v3
	v_mad_u64_u32 v[0:1], s[26:27], v5, s34, v[0:1]
	v_mad_u64_u32 v[2:3], s[26:27], v5, s35, v[2:3]
	;; [unrolled: 1-line block ×3, first 2 shown]
.LBB70_80:
	s_cbranch_execz .LBB70_82
	s_branch .LBB70_84
.LBB70_81:
                                        ; implicit-def: $vgpr4
                                        ; implicit-def: $vgpr2
                                        ; implicit-def: $vgpr0
.LBB70_82:
	s_waitcnt lgkmcnt(0)
	v_mul_hi_u32 v0, s13, v14
	v_add_u32_e32 v0, v14, v0
	s_waitcnt vmcnt(1)
	v_lshrrev_b32_e32 v1, s14, v0
	v_mul_lo_u32 v0, v1, s12
	v_sub_u32_e32 v2, v14, v0
	v_mul_lo_u32 v0, v2, s8
	v_mul_lo_u32 v4, v2, s10
	s_andn2_b64 vcc, exec, s[24:25]
	v_mul_lo_u32 v2, v2, s9
	s_cbranch_vccnz .LBB70_84
; %bb.83:
	v_mul_hi_u32 v3, s22, v1
	v_add_u32_e32 v3, v1, v3
	v_lshrrev_b32_e32 v3, s23, v3
	v_mul_lo_u32 v3, v3, s15
	v_sub_u32_e32 v5, v1, v3
	v_mad_u64_u32 v[0:1], s[8:9], v5, s11, v[0:1]
	v_mad_u64_u32 v[2:3], s[8:9], v5, s20, v[2:3]
	;; [unrolled: 1-line block ×3, first 2 shown]
.LBB70_84:
	s_waitcnt lgkmcnt(0)
	global_load_ushort v1, v4, s[18:19]
	v_mov_b32_e32 v3, 0
	s_waitcnt vmcnt(0)
	v_cvt_f32_f16_e32 v1, v1
	v_cvt_i32_f32_e32 v4, v1
	v_ashrrev_i32_e32 v5, 31, v4
	v_cmp_lt_i64_e32 vcc, -1, v[4:5]
	s_and_saveexec_b64 s[8:9], vcc
	s_cbranch_execz .LBB70_96
; %bb.85:
	v_cmp_lt_i64_e32 vcc, 0, v[4:5]
	v_mov_b32_e32 v3, 1.0
	s_and_saveexec_b64 s[10:11], vcc
	s_cbranch_execz .LBB70_95
; %bb.86:
	global_load_dword v1, v2, s[2:3]
	v_cmp_ne_u64_e32 vcc, 1, v[4:5]
                                        ; implicit-def: $vgpr3
	s_and_saveexec_b64 s[2:3], vcc
	s_xor_b64 s[2:3], exec, s[2:3]
	s_cbranch_execz .LBB70_92
; %bb.87:
	s_mov_b64 s[12:13], 0x81
	v_cmp_gt_u64_e32 vcc, s[12:13], v[4:5]
	v_mov_b32_e32 v3, 0x7fc00000
	s_and_saveexec_b64 s[12:13], vcc
	s_cbranch_execz .LBB70_91
; %bb.88:
	s_mov_b64 s[18:19], 1
	s_mov_b64 s[14:15], 0
	v_mov_b32_e32 v2, 1.0
	s_waitcnt vmcnt(0)
	v_mov_b32_e32 v3, v1
.LBB70_89:                              ; =>This Inner Loop Header: Depth=1
	s_flbit_i32_b32 s20, s19
	s_min_u32 s22, s20, 32
	s_lshl_b64 s[20:21], s[18:19], s22
	s_min_u32 s20, s20, 1
	s_or_b32 s20, s21, s20
	v_cvt_f32_u32_e32 v6, s20
	s_sub_i32 s22, 32, s22
	s_add_u32 s18, s18, 1
	s_addc_u32 s19, s19, 0
	v_ldexp_f32 v6, v6, s22
	v_cmp_eq_u64_e32 vcc, s[18:19], v[4:5]
	v_mul_f32_e32 v6, v2, v6
	s_or_b64 s[14:15], vcc, s[14:15]
	v_mov_b32_e32 v2, v3
	v_fma_f32 v3, v1, v3, -v6
	s_andn2_b64 exec, exec, s[14:15]
	s_cbranch_execnz .LBB70_89
; %bb.90:
	s_or_b64 exec, exec, s[14:15]
.LBB70_91:
	s_or_b64 exec, exec, s[12:13]
                                        ; implicit-def: $vgpr1
.LBB70_92:
	s_andn2_saveexec_b64 s[2:3], s[2:3]
	s_cbranch_execz .LBB70_94
; %bb.93:
	s_waitcnt vmcnt(0)
	v_mov_b32_e32 v3, v1
.LBB70_94:
	s_or_b64 exec, exec, s[2:3]
.LBB70_95:
	s_or_b64 exec, exec, s[10:11]
.LBB70_96:
	s_or_b64 exec, exec, s[8:9]
	global_store_dword v0, v3, s[0:1]
.LBB70_97:
	s_or_b64 exec, exec, s[28:29]
                                        ; implicit-def: $vgpr24
                                        ; implicit-def: $vgpr14
.LBB70_98:
	s_waitcnt lgkmcnt(0)
	s_andn2_saveexec_b64 s[0:1], s[16:17]
	s_cbranch_execz .LBB70_105
; %bb.99:
	v_cndmask_b32_e64 v0, 0, 1, s[6:7]
	v_cmp_ne_u32_e64 s[0:1], 1, v0
	s_andn2_b64 vcc, exec, s[6:7]
	s_cbranch_vccnz .LBB70_106
; %bb.100:
	s_cmp_lg_u32 s33, 0
	v_mov_b32_e32 v8, 0
	v_mov_b32_e32 v6, 0
	;; [unrolled: 1-line block ×3, first 2 shown]
	s_cbranch_scc0 .LBB70_107
; %bb.101:
	s_min_u32 s6, s44, 15
	s_add_i32 s2, s6, 1
	s_and_b32 s7, s2, 30
	s_add_u32 s2, s4, 0xffffffec
	s_addc_u32 s3, s5, -1
	v_mov_b32_e32 v0, 0
	s_waitcnt vmcnt(1)
	v_mov_b32_e32 v1, v14
	v_mov_b32_e32 v6, 0
	;; [unrolled: 1-line block ×3, first 2 shown]
.LBB70_102:                             ; =>This Inner Loop Header: Depth=1
	s_mov_b64 s[16:17], s[2:3]
	s_load_dwordx4 s[8:11], s[16:17], 0x18
	s_load_dwordx2 s[18:19], s[16:17], 0x28
	s_load_dwordx2 s[20:21], s[16:17], 0xe8
	s_load_dwordx4 s[12:15], s[16:17], 0xd8
	s_add_u32 s2, s16, 24
	s_waitcnt lgkmcnt(0)
	v_mul_hi_u32 v2, s9, v1
	v_add_u32_e32 v2, v1, v2
	v_lshrrev_b32_e32 v2, s10, v2
	v_mul_lo_u32 v3, v2, s8
	v_mul_hi_u32 v4, s18, v2
	v_sub_u32_e32 v1, v1, v3
	v_add_u32_e32 v3, v2, v4
	v_mul_lo_u32 v4, v1, s12
	v_mul_lo_u32 v5, v1, s13
	;; [unrolled: 1-line block ×3, first 2 shown]
	v_lshrrev_b32_e32 v1, s19, v3
	v_mul_lo_u32 v3, v1, s11
	v_sub_u32_e32 v2, v2, v3
	s_addc_u32 s3, s17, 0
	s_add_i32 s7, s7, -2
	v_mul_lo_u32 v3, v2, s15
	v_mul_lo_u32 v9, v2, s20
	;; [unrolled: 1-line block ×3, first 2 shown]
	s_cmp_lg_u32 s7, 0
	v_add3_u32 v0, v4, v0, v3
	v_add3_u32 v8, v7, v8, v2
	;; [unrolled: 1-line block ×3, first 2 shown]
	s_cbranch_scc1 .LBB70_102
; %bb.103:
	s_bitcmp1_b32 s6, 0
	s_cselect_b64 s[6:7], -1, 0
	s_and_b64 vcc, exec, s[6:7]
	s_cbranch_vccnz .LBB70_107
; %bb.104:
	s_load_dwordx2 s[6:7], s[2:3], 0x18
	s_load_dword s10, s[2:3], 0x20
	s_load_dword s11, s[2:3], 0xe0
	s_load_dwordx2 s[8:9], s[2:3], 0xd8
	s_waitcnt lgkmcnt(0)
	v_mul_hi_u32 v2, s7, v1
	v_add_u32_e32 v2, v1, v2
	v_lshrrev_b32_e32 v2, s10, v2
	v_mul_lo_u32 v2, v2, s6
	v_sub_u32_e32 v2, v1, v2
	v_mad_u64_u32 v[0:1], s[2:3], v2, s8, v[0:1]
	v_mad_u64_u32 v[6:7], s[2:3], v2, s9, v[6:7]
	;; [unrolled: 1-line block ×3, first 2 shown]
	s_cbranch_execz .LBB70_108
	s_branch .LBB70_110
.LBB70_105:
	s_endpgm
.LBB70_106:
                                        ; implicit-def: $vgpr8
                                        ; implicit-def: $vgpr6
                                        ; implicit-def: $vgpr0
	s_branch .LBB70_108
.LBB70_107:
	s_cbranch_execnz .LBB70_110
.LBB70_108:
	s_load_dwordx4 s[8:11], s[4:5], 0x4
	s_load_dwordx4 s[12:15], s[4:5], 0xc4
	s_cmp_lt_u32 s33, 2
	s_waitcnt lgkmcnt(0)
	v_mul_hi_u32 v0, s9, v14
	v_add_u32_e32 v0, v14, v0
	s_waitcnt vmcnt(1)
	v_lshrrev_b32_e32 v1, s10, v0
	v_mul_lo_u32 v0, v1, s8
	v_sub_u32_e32 v2, v14, v0
	v_mul_lo_u32 v0, v2, s12
	v_mul_lo_u32 v8, v2, s14
	;; [unrolled: 1-line block ×3, first 2 shown]
	s_cbranch_scc1 .LBB70_110
; %bb.109:
	s_load_dwordx4 s[8:11], s[4:5], 0x10
	s_load_dwordx4 s[12:15], s[4:5], 0xd0
	s_waitcnt lgkmcnt(0)
	v_mul_hi_u32 v2, s9, v1
	v_add_u32_e32 v2, v1, v2
	v_lshrrev_b32_e32 v2, s10, v2
	v_mul_lo_u32 v2, v2, s8
	v_sub_u32_e32 v2, v1, v2
	v_mad_u64_u32 v[0:1], s[2:3], v2, s12, v[0:1]
	v_mad_u64_u32 v[6:7], s[2:3], v2, s13, v[6:7]
	;; [unrolled: 1-line block ×3, first 2 shown]
.LBB70_110:
	s_and_b64 vcc, exec, s[0:1]
	s_waitcnt vmcnt(1)
	v_add_u32_e32 v1, 0x80, v14
	s_cbranch_vccnz .LBB70_116
; %bb.111:
	s_cmp_lg_u32 s33, 0
	v_mov_b32_e32 v12, 0
	v_mov_b32_e32 v10, 0
	;; [unrolled: 1-line block ×3, first 2 shown]
	s_cbranch_scc0 .LBB70_117
; %bb.112:
	s_min_u32 s6, s44, 15
	s_add_i32 s2, s6, 1
	s_and_b32 s7, s2, 30
	s_add_u32 s2, s4, 0xffffffec
	s_addc_u32 s3, s5, -1
	v_mov_b32_e32 v2, 0
	v_mov_b32_e32 v3, v1
	;; [unrolled: 1-line block ×4, first 2 shown]
.LBB70_113:                             ; =>This Inner Loop Header: Depth=1
	s_mov_b64 s[16:17], s[2:3]
	s_load_dwordx4 s[8:11], s[16:17], 0x18
	s_load_dwordx2 s[18:19], s[16:17], 0x28
	s_load_dwordx2 s[20:21], s[16:17], 0xe8
	s_load_dwordx4 s[12:15], s[16:17], 0xd8
	s_add_u32 s2, s16, 24
	s_waitcnt lgkmcnt(0)
	v_mul_hi_u32 v4, s9, v3
	v_add_u32_e32 v4, v3, v4
	v_lshrrev_b32_e32 v4, s10, v4
	v_mul_lo_u32 v5, v4, s8
	v_mul_hi_u32 v7, s18, v4
	v_sub_u32_e32 v3, v3, v5
	v_add_u32_e32 v5, v4, v7
	v_mul_lo_u32 v7, v3, s12
	v_mul_lo_u32 v9, v3, s13
	;; [unrolled: 1-line block ×3, first 2 shown]
	v_lshrrev_b32_e32 v3, s19, v5
	v_mul_lo_u32 v5, v3, s11
	v_sub_u32_e32 v4, v4, v5
	s_addc_u32 s3, s17, 0
	s_add_i32 s7, s7, -2
	v_mul_lo_u32 v5, v4, s15
	v_mul_lo_u32 v13, v4, s20
	;; [unrolled: 1-line block ×3, first 2 shown]
	s_cmp_lg_u32 s7, 0
	v_add3_u32 v2, v7, v2, v5
	v_add3_u32 v12, v11, v12, v4
	;; [unrolled: 1-line block ×3, first 2 shown]
	s_cbranch_scc1 .LBB70_113
; %bb.114:
	s_bitcmp1_b32 s6, 0
	s_cselect_b64 s[6:7], -1, 0
	s_and_b64 vcc, exec, s[6:7]
	s_cbranch_vccnz .LBB70_117
; %bb.115:
	s_load_dwordx2 s[6:7], s[2:3], 0x18
	s_load_dword s10, s[2:3], 0x20
	s_load_dword s11, s[2:3], 0xe0
	s_load_dwordx2 s[8:9], s[2:3], 0xd8
	s_waitcnt lgkmcnt(0)
	v_mul_hi_u32 v4, s7, v3
	v_add_u32_e32 v4, v3, v4
	v_lshrrev_b32_e32 v4, s10, v4
	v_mul_lo_u32 v4, v4, s6
	v_sub_u32_e32 v4, v3, v4
	v_mad_u64_u32 v[2:3], s[2:3], v4, s8, v[2:3]
	v_mad_u64_u32 v[10:11], s[2:3], v4, s9, v[10:11]
	;; [unrolled: 1-line block ×3, first 2 shown]
	s_cbranch_execz .LBB70_118
	s_branch .LBB70_120
.LBB70_116:
                                        ; implicit-def: $vgpr12
                                        ; implicit-def: $vgpr10
                                        ; implicit-def: $vgpr2
	s_branch .LBB70_118
.LBB70_117:
	s_cbranch_execnz .LBB70_120
.LBB70_118:
	s_load_dwordx4 s[8:11], s[4:5], 0x4
	s_load_dwordx4 s[12:15], s[4:5], 0xc4
	s_cmp_lt_u32 s33, 2
	s_waitcnt lgkmcnt(0)
	v_mul_hi_u32 v2, s9, v1
	v_add_u32_e32 v2, v1, v2
	v_lshrrev_b32_e32 v3, s10, v2
	v_mul_lo_u32 v2, v3, s8
	v_sub_u32_e32 v1, v1, v2
	v_mul_lo_u32 v2, v1, s12
	v_mul_lo_u32 v12, v1, s14
	;; [unrolled: 1-line block ×3, first 2 shown]
	s_cbranch_scc1 .LBB70_120
; %bb.119:
	s_load_dwordx4 s[8:11], s[4:5], 0x10
	s_load_dwordx4 s[12:15], s[4:5], 0xd0
	s_waitcnt lgkmcnt(0)
	v_mul_hi_u32 v1, s9, v3
	v_add_u32_e32 v1, v3, v1
	v_lshrrev_b32_e32 v1, s10, v1
	v_mul_lo_u32 v1, v1, s8
	v_sub_u32_e32 v1, v3, v1
	v_mad_u64_u32 v[2:3], s[2:3], v1, s12, v[2:3]
	v_mad_u64_u32 v[10:11], s[2:3], v1, s13, v[10:11]
	;; [unrolled: 1-line block ×3, first 2 shown]
.LBB70_120:
	s_and_b64 vcc, exec, s[0:1]
	v_add_u32_e32 v1, 0x100, v14
	s_cbranch_vccnz .LBB70_126
; %bb.121:
	s_cmp_lg_u32 s33, 0
	v_mov_b32_e32 v18, 0
	v_mov_b32_e32 v16, 0
	;; [unrolled: 1-line block ×3, first 2 shown]
	s_cbranch_scc0 .LBB70_127
; %bb.122:
	s_min_u32 s6, s44, 15
	s_add_i32 s2, s6, 1
	s_and_b32 s7, s2, 30
	s_add_u32 s2, s4, 0xffffffec
	s_addc_u32 s3, s5, -1
	v_mov_b32_e32 v4, 0
	v_mov_b32_e32 v3, v1
	;; [unrolled: 1-line block ×4, first 2 shown]
.LBB70_123:                             ; =>This Inner Loop Header: Depth=1
	s_mov_b64 s[16:17], s[2:3]
	s_load_dwordx4 s[8:11], s[16:17], 0x18
	s_load_dwordx2 s[18:19], s[16:17], 0x28
	s_load_dwordx2 s[20:21], s[16:17], 0xe8
	s_load_dwordx4 s[12:15], s[16:17], 0xd8
	s_add_u32 s2, s16, 24
	s_waitcnt lgkmcnt(0)
	v_mul_hi_u32 v5, s9, v3
	v_add_u32_e32 v5, v3, v5
	v_lshrrev_b32_e32 v5, s10, v5
	v_mul_lo_u32 v7, v5, s8
	v_mul_hi_u32 v9, s18, v5
	v_sub_u32_e32 v3, v3, v7
	v_add_u32_e32 v7, v5, v9
	v_mul_lo_u32 v9, v3, s12
	v_mul_lo_u32 v11, v3, s13
	;; [unrolled: 1-line block ×3, first 2 shown]
	v_lshrrev_b32_e32 v3, s19, v7
	v_mul_lo_u32 v7, v3, s11
	v_sub_u32_e32 v5, v5, v7
	s_addc_u32 s3, s17, 0
	s_add_i32 s7, s7, -2
	v_mul_lo_u32 v7, v5, s15
	v_mul_lo_u32 v14, v5, s20
	;; [unrolled: 1-line block ×3, first 2 shown]
	s_cmp_lg_u32 s7, 0
	v_add3_u32 v4, v9, v4, v7
	v_add3_u32 v18, v13, v18, v5
	;; [unrolled: 1-line block ×3, first 2 shown]
	s_cbranch_scc1 .LBB70_123
; %bb.124:
	s_bitcmp1_b32 s6, 0
	s_cselect_b64 s[6:7], -1, 0
	s_and_b64 vcc, exec, s[6:7]
	s_cbranch_vccnz .LBB70_127
; %bb.125:
	s_load_dwordx2 s[6:7], s[2:3], 0x18
	s_load_dword s10, s[2:3], 0x20
	s_load_dword s11, s[2:3], 0xe0
	s_load_dwordx2 s[8:9], s[2:3], 0xd8
	s_waitcnt lgkmcnt(0)
	v_mul_hi_u32 v5, s7, v3
	v_add_u32_e32 v5, v3, v5
	v_lshrrev_b32_e32 v5, s10, v5
	v_mul_lo_u32 v5, v5, s6
	v_sub_u32_e32 v3, v3, v5
	v_mad_u64_u32 v[4:5], s[2:3], v3, s8, v[4:5]
	v_mad_u64_u32 v[16:17], s[2:3], v3, s9, v[16:17]
	v_mad_u64_u32 v[18:19], s[2:3], v3, s11, v[18:19]
	s_cbranch_execz .LBB70_128
	s_branch .LBB70_130
.LBB70_126:
                                        ; implicit-def: $vgpr18
                                        ; implicit-def: $vgpr16
                                        ; implicit-def: $vgpr4
	s_branch .LBB70_128
.LBB70_127:
	s_cbranch_execnz .LBB70_130
.LBB70_128:
	s_load_dwordx4 s[8:11], s[4:5], 0x4
	s_load_dwordx4 s[12:15], s[4:5], 0xc4
	s_cmp_lt_u32 s33, 2
	s_waitcnt lgkmcnt(0)
	v_mul_hi_u32 v3, s9, v1
	v_add_u32_e32 v3, v1, v3
	v_lshrrev_b32_e32 v3, s10, v3
	v_mul_lo_u32 v4, v3, s8
	v_sub_u32_e32 v1, v1, v4
	v_mul_lo_u32 v4, v1, s12
	v_mul_lo_u32 v18, v1, s14
	;; [unrolled: 1-line block ×3, first 2 shown]
	s_cbranch_scc1 .LBB70_130
; %bb.129:
	s_load_dwordx4 s[8:11], s[4:5], 0x10
	s_load_dwordx4 s[12:15], s[4:5], 0xd0
	s_waitcnt lgkmcnt(0)
	v_mul_hi_u32 v1, s9, v3
	v_add_u32_e32 v1, v3, v1
	v_lshrrev_b32_e32 v1, s10, v1
	v_mul_lo_u32 v1, v1, s8
	v_sub_u32_e32 v1, v3, v1
	v_mad_u64_u32 v[4:5], s[2:3], v1, s12, v[4:5]
	v_mad_u64_u32 v[16:17], s[2:3], v1, s13, v[16:17]
	;; [unrolled: 1-line block ×3, first 2 shown]
.LBB70_130:
	s_and_b64 vcc, exec, s[0:1]
	s_cbranch_vccnz .LBB70_136
; %bb.131:
	s_cmp_lg_u32 s33, 0
	v_mov_b32_e32 v22, 0
	v_mov_b32_e32 v20, 0
	;; [unrolled: 1-line block ×3, first 2 shown]
	s_cbranch_scc0 .LBB70_137
; %bb.132:
	s_min_u32 s2, s44, 15
	s_add_i32 s0, s2, 1
	s_and_b32 s3, s0, 30
	s_add_u32 s0, s4, 0xffffffec
	s_addc_u32 s1, s5, -1
	v_mov_b32_e32 v14, 0
	v_mov_b32_e32 v1, v24
	;; [unrolled: 1-line block ×4, first 2 shown]
.LBB70_133:                             ; =>This Inner Loop Header: Depth=1
	s_mov_b64 s[6:7], s[0:1]
	s_load_dwordx4 s[8:11], s[6:7], 0x18
	s_load_dwordx2 s[16:17], s[6:7], 0x28
	s_load_dwordx2 s[18:19], s[6:7], 0xe8
	s_load_dwordx4 s[12:15], s[6:7], 0xd8
	s_add_u32 s0, s6, 24
	s_waitcnt lgkmcnt(0)
	v_mul_hi_u32 v3, s9, v1
	v_add_u32_e32 v3, v1, v3
	v_lshrrev_b32_e32 v3, s10, v3
	v_mul_lo_u32 v5, v3, s8
	v_mul_hi_u32 v7, s16, v3
	v_sub_u32_e32 v1, v1, v5
	v_add_u32_e32 v5, v3, v7
	v_mul_lo_u32 v7, v1, s12
	v_mul_lo_u32 v9, v1, s13
	;; [unrolled: 1-line block ×3, first 2 shown]
	v_lshrrev_b32_e32 v1, s17, v5
	v_mul_lo_u32 v5, v1, s11
	v_sub_u32_e32 v3, v3, v5
	s_addc_u32 s1, s7, 0
	s_add_i32 s3, s3, -2
	v_mul_lo_u32 v5, v3, s15
	v_mul_lo_u32 v13, v3, s18
	;; [unrolled: 1-line block ×3, first 2 shown]
	s_cmp_lg_u32 s3, 0
	v_add3_u32 v14, v7, v14, v5
	v_add3_u32 v22, v11, v22, v3
	;; [unrolled: 1-line block ×3, first 2 shown]
	s_cbranch_scc1 .LBB70_133
; %bb.134:
	s_bitcmp1_b32 s2, 0
	s_cselect_b64 s[2:3], -1, 0
	s_and_b64 vcc, exec, s[2:3]
	s_cbranch_vccnz .LBB70_137
; %bb.135:
	s_load_dwordx2 s[2:3], s[0:1], 0x18
	s_load_dword s8, s[0:1], 0x20
	s_load_dword s9, s[0:1], 0xe0
	s_load_dwordx2 s[6:7], s[0:1], 0xd8
	s_waitcnt lgkmcnt(0)
	v_mul_hi_u32 v3, s3, v1
	v_add_u32_e32 v3, v1, v3
	v_lshrrev_b32_e32 v3, s8, v3
	v_mul_lo_u32 v3, v3, s2
	v_sub_u32_e32 v1, v1, v3
	v_mad_u64_u32 v[14:15], s[0:1], v1, s6, v[14:15]
	v_mad_u64_u32 v[20:21], s[0:1], v1, s7, v[20:21]
	v_mad_u64_u32 v[22:23], s[0:1], v1, s9, v[22:23]
	s_cbranch_execz .LBB70_138
	s_branch .LBB70_140
.LBB70_136:
                                        ; implicit-def: $vgpr22
                                        ; implicit-def: $vgpr20
                                        ; implicit-def: $vgpr14
	s_branch .LBB70_138
.LBB70_137:
	s_cbranch_execnz .LBB70_140
.LBB70_138:
	s_load_dwordx4 s[0:3], s[4:5], 0x4
	s_load_dwordx4 s[8:11], s[4:5], 0xc4
	s_cmp_lt_u32 s33, 2
	s_waitcnt lgkmcnt(0)
	v_mul_hi_u32 v1, s1, v24
	v_add_u32_e32 v1, v24, v1
	v_lshrrev_b32_e32 v1, s2, v1
	v_mul_lo_u32 v3, v1, s0
	v_sub_u32_e32 v3, v24, v3
	v_mul_lo_u32 v14, v3, s8
	v_mul_lo_u32 v22, v3, s10
	v_mul_lo_u32 v20, v3, s9
	s_cbranch_scc1 .LBB70_140
; %bb.139:
	s_load_dwordx4 s[0:3], s[4:5], 0x10
	s_load_dwordx4 s[8:11], s[4:5], 0xd0
	s_waitcnt lgkmcnt(0)
	v_mul_hi_u32 v3, s1, v1
	v_add_u32_e32 v3, v1, v3
	v_lshrrev_b32_e32 v3, s2, v3
	v_mul_lo_u32 v3, v3, s0
	v_sub_u32_e32 v1, v1, v3
	v_mad_u64_u32 v[14:15], s[0:1], v1, s8, v[14:15]
	v_mad_u64_u32 v[20:21], s[0:1], v1, s9, v[20:21]
	;; [unrolled: 1-line block ×3, first 2 shown]
.LBB70_140:
	s_load_dwordx2 s[6:7], s[4:5], 0x198
	s_load_dwordx4 s[0:3], s[4:5], 0x188
	s_waitcnt lgkmcnt(0)
	global_load_ushort v1, v8, s[6:7]
	s_waitcnt vmcnt(0)
	v_cvt_f32_f16_e32 v1, v1
	v_cvt_i32_f32_e32 v8, v1
	v_mov_b32_e32 v1, 0
	v_ashrrev_i32_e32 v9, 31, v8
	v_cmp_lt_i64_e32 vcc, -1, v[8:9]
	s_and_saveexec_b64 s[4:5], vcc
	s_cbranch_execz .LBB70_152
; %bb.141:
	v_cmp_lt_i64_e32 vcc, 0, v[8:9]
	v_mov_b32_e32 v1, 1.0
	s_and_saveexec_b64 s[8:9], vcc
	s_cbranch_execz .LBB70_151
; %bb.142:
	global_load_dword v3, v6, s[2:3]
	v_cmp_ne_u64_e32 vcc, 1, v[8:9]
                                        ; implicit-def: $vgpr1
	s_and_saveexec_b64 s[10:11], vcc
	s_xor_b64 s[10:11], exec, s[10:11]
	s_cbranch_execz .LBB70_148
; %bb.143:
	s_mov_b64 s[12:13], 0x81
	v_cmp_gt_u64_e32 vcc, s[12:13], v[8:9]
	v_mov_b32_e32 v1, 0x7fc00000
	s_and_saveexec_b64 s[12:13], vcc
	s_cbranch_execz .LBB70_147
; %bb.144:
	s_mov_b64 s[16:17], 1
	s_mov_b64 s[14:15], 0
	v_mov_b32_e32 v5, 1.0
	s_waitcnt vmcnt(0)
	v_mov_b32_e32 v1, v3
.LBB70_145:                             ; =>This Inner Loop Header: Depth=1
	s_flbit_i32_b32 s18, s17
	s_min_u32 s20, s18, 32
	s_lshl_b64 s[18:19], s[16:17], s20
	s_min_u32 s18, s18, 1
	s_or_b32 s18, s19, s18
	v_cvt_f32_u32_e32 v6, s18
	s_sub_i32 s20, 32, s20
	s_add_u32 s16, s16, 1
	s_addc_u32 s17, s17, 0
	v_ldexp_f32 v6, v6, s20
	v_cmp_eq_u64_e32 vcc, s[16:17], v[8:9]
	v_mul_f32_e32 v6, v5, v6
	s_or_b64 s[14:15], vcc, s[14:15]
	v_mov_b32_e32 v5, v1
	v_fma_f32 v1, v3, v1, -v6
	s_andn2_b64 exec, exec, s[14:15]
	s_cbranch_execnz .LBB70_145
; %bb.146:
	s_or_b64 exec, exec, s[14:15]
.LBB70_147:
	s_or_b64 exec, exec, s[12:13]
                                        ; implicit-def: $vgpr3
.LBB70_148:
	s_andn2_saveexec_b64 s[10:11], s[10:11]
	s_cbranch_execz .LBB70_150
; %bb.149:
	s_waitcnt vmcnt(0)
	v_mov_b32_e32 v1, v3
.LBB70_150:
	s_or_b64 exec, exec, s[10:11]
.LBB70_151:
	s_or_b64 exec, exec, s[8:9]
.LBB70_152:
	s_or_b64 exec, exec, s[4:5]
	global_load_ushort v3, v12, s[6:7]
	s_waitcnt vmcnt(0)
	v_cvt_f32_f16_e32 v3, v3
	v_cvt_i32_f32_e32 v6, v3
	v_mov_b32_e32 v3, 0
	v_ashrrev_i32_e32 v7, 31, v6
	v_cmp_lt_i64_e32 vcc, -1, v[6:7]
	s_and_saveexec_b64 s[4:5], vcc
	s_cbranch_execz .LBB70_164
; %bb.153:
	v_cmp_lt_i64_e32 vcc, 0, v[6:7]
	v_mov_b32_e32 v3, 1.0
	s_and_saveexec_b64 s[8:9], vcc
	s_cbranch_execz .LBB70_163
; %bb.154:
	global_load_dword v5, v10, s[2:3]
	v_cmp_ne_u64_e32 vcc, 1, v[6:7]
                                        ; implicit-def: $vgpr3
	s_and_saveexec_b64 s[10:11], vcc
	s_xor_b64 s[10:11], exec, s[10:11]
	s_cbranch_execz .LBB70_160
; %bb.155:
	s_mov_b64 s[12:13], 0x81
	v_cmp_gt_u64_e32 vcc, s[12:13], v[6:7]
	v_mov_b32_e32 v3, 0x7fc00000
	s_and_saveexec_b64 s[12:13], vcc
	s_cbranch_execz .LBB70_159
; %bb.156:
	s_mov_b64 s[16:17], 1
	s_mov_b64 s[14:15], 0
	v_mov_b32_e32 v8, 1.0
	s_waitcnt vmcnt(0)
	v_mov_b32_e32 v3, v5
.LBB70_157:                             ; =>This Inner Loop Header: Depth=1
	s_flbit_i32_b32 s18, s17
	s_min_u32 s20, s18, 32
	s_lshl_b64 s[18:19], s[16:17], s20
	s_min_u32 s18, s18, 1
	s_or_b32 s18, s19, s18
	v_cvt_f32_u32_e32 v9, s18
	s_sub_i32 s20, 32, s20
	s_add_u32 s16, s16, 1
	s_addc_u32 s17, s17, 0
	v_ldexp_f32 v9, v9, s20
	v_cmp_eq_u64_e32 vcc, s[16:17], v[6:7]
	v_mul_f32_e32 v9, v8, v9
	s_or_b64 s[14:15], vcc, s[14:15]
	v_mov_b32_e32 v8, v3
	v_fma_f32 v3, v5, v3, -v9
	s_andn2_b64 exec, exec, s[14:15]
	s_cbranch_execnz .LBB70_157
; %bb.158:
	s_or_b64 exec, exec, s[14:15]
.LBB70_159:
	s_or_b64 exec, exec, s[12:13]
                                        ; implicit-def: $vgpr5
.LBB70_160:
	s_andn2_saveexec_b64 s[10:11], s[10:11]
	s_cbranch_execz .LBB70_162
; %bb.161:
	s_waitcnt vmcnt(0)
	v_mov_b32_e32 v3, v5
.LBB70_162:
	s_or_b64 exec, exec, s[10:11]
.LBB70_163:
	s_or_b64 exec, exec, s[8:9]
.LBB70_164:
	s_or_b64 exec, exec, s[4:5]
	global_load_ushort v5, v18, s[6:7]
	s_waitcnt vmcnt(0)
	v_cvt_f32_f16_e32 v5, v5
	v_cvt_i32_f32_e32 v6, v5
	v_mov_b32_e32 v5, 0
	v_ashrrev_i32_e32 v7, 31, v6
	v_cmp_lt_i64_e32 vcc, -1, v[6:7]
	s_and_saveexec_b64 s[4:5], vcc
	s_cbranch_execz .LBB70_176
; %bb.165:
	v_cmp_lt_i64_e32 vcc, 0, v[6:7]
	v_mov_b32_e32 v5, 1.0
	s_and_saveexec_b64 s[8:9], vcc
	s_cbranch_execz .LBB70_175
; %bb.166:
	global_load_dword v8, v16, s[2:3]
	v_cmp_ne_u64_e32 vcc, 1, v[6:7]
                                        ; implicit-def: $vgpr5
	s_and_saveexec_b64 s[10:11], vcc
	s_xor_b64 s[10:11], exec, s[10:11]
	s_cbranch_execz .LBB70_172
; %bb.167:
	s_mov_b64 s[12:13], 0x81
	v_cmp_gt_u64_e32 vcc, s[12:13], v[6:7]
	v_mov_b32_e32 v5, 0x7fc00000
	s_and_saveexec_b64 s[12:13], vcc
	s_cbranch_execz .LBB70_171
; %bb.168:
	s_mov_b64 s[16:17], 1
	s_mov_b64 s[14:15], 0
	v_mov_b32_e32 v9, 1.0
	s_waitcnt vmcnt(0)
	v_mov_b32_e32 v5, v8
.LBB70_169:                             ; =>This Inner Loop Header: Depth=1
	s_flbit_i32_b32 s18, s17
	s_min_u32 s20, s18, 32
	s_lshl_b64 s[18:19], s[16:17], s20
	s_min_u32 s18, s18, 1
	s_or_b32 s18, s19, s18
	v_cvt_f32_u32_e32 v10, s18
	s_sub_i32 s20, 32, s20
	s_add_u32 s16, s16, 1
	s_addc_u32 s17, s17, 0
	v_ldexp_f32 v10, v10, s20
	v_cmp_eq_u64_e32 vcc, s[16:17], v[6:7]
	v_mul_f32_e32 v10, v9, v10
	s_or_b64 s[14:15], vcc, s[14:15]
	v_mov_b32_e32 v9, v5
	v_fma_f32 v5, v8, v5, -v10
	s_andn2_b64 exec, exec, s[14:15]
	s_cbranch_execnz .LBB70_169
; %bb.170:
	s_or_b64 exec, exec, s[14:15]
.LBB70_171:
	s_or_b64 exec, exec, s[12:13]
                                        ; implicit-def: $vgpr8
.LBB70_172:
	s_andn2_saveexec_b64 s[10:11], s[10:11]
	s_cbranch_execz .LBB70_174
; %bb.173:
	s_waitcnt vmcnt(0)
	v_mov_b32_e32 v5, v8
.LBB70_174:
	s_or_b64 exec, exec, s[10:11]
.LBB70_175:
	s_or_b64 exec, exec, s[8:9]
.LBB70_176:
	s_or_b64 exec, exec, s[4:5]
	global_load_ushort v6, v22, s[6:7]
	s_waitcnt vmcnt(1)
	v_mov_b32_e32 v8, 0
	s_waitcnt vmcnt(0)
	v_cvt_f32_f16_e32 v6, v6
	v_cvt_i32_f32_e32 v6, v6
	v_ashrrev_i32_e32 v7, 31, v6
	v_cmp_lt_i64_e32 vcc, -1, v[6:7]
	s_and_saveexec_b64 s[4:5], vcc
	s_cbranch_execz .LBB70_188
; %bb.177:
	v_cmp_lt_i64_e32 vcc, 0, v[6:7]
	v_mov_b32_e32 v8, 1.0
	s_and_saveexec_b64 s[6:7], vcc
	s_cbranch_execz .LBB70_187
; %bb.178:
	global_load_dword v9, v20, s[2:3]
	v_cmp_ne_u64_e32 vcc, 1, v[6:7]
                                        ; implicit-def: $vgpr8
	s_and_saveexec_b64 s[2:3], vcc
	s_xor_b64 s[2:3], exec, s[2:3]
	s_cbranch_execz .LBB70_184
; %bb.179:
	s_mov_b64 s[8:9], 0x81
	v_cmp_gt_u64_e32 vcc, s[8:9], v[6:7]
	v_mov_b32_e32 v8, 0x7fc00000
	s_and_saveexec_b64 s[8:9], vcc
	s_cbranch_execz .LBB70_183
; %bb.180:
	s_mov_b64 s[12:13], 1
	s_mov_b64 s[10:11], 0
	v_mov_b32_e32 v10, 1.0
	s_waitcnt vmcnt(0)
	v_mov_b32_e32 v8, v9
.LBB70_181:                             ; =>This Inner Loop Header: Depth=1
	s_flbit_i32_b32 s14, s13
	s_min_u32 s16, s14, 32
	s_lshl_b64 s[14:15], s[12:13], s16
	s_min_u32 s14, s14, 1
	s_or_b32 s14, s15, s14
	v_cvt_f32_u32_e32 v11, s14
	s_sub_i32 s16, 32, s16
	s_add_u32 s12, s12, 1
	s_addc_u32 s13, s13, 0
	v_ldexp_f32 v11, v11, s16
	v_cmp_eq_u64_e32 vcc, s[12:13], v[6:7]
	v_mul_f32_e32 v11, v10, v11
	s_or_b64 s[10:11], vcc, s[10:11]
	v_mov_b32_e32 v10, v8
	v_fma_f32 v8, v9, v8, -v11
	s_andn2_b64 exec, exec, s[10:11]
	s_cbranch_execnz .LBB70_181
; %bb.182:
	s_or_b64 exec, exec, s[10:11]
.LBB70_183:
	s_or_b64 exec, exec, s[8:9]
                                        ; implicit-def: $vgpr9
.LBB70_184:
	s_andn2_saveexec_b64 s[2:3], s[2:3]
	s_cbranch_execz .LBB70_186
; %bb.185:
	s_waitcnt vmcnt(0)
	v_mov_b32_e32 v8, v9
.LBB70_186:
	s_or_b64 exec, exec, s[2:3]
.LBB70_187:
	s_or_b64 exec, exec, s[6:7]
.LBB70_188:
	s_or_b64 exec, exec, s[4:5]
	global_store_dword v0, v1, s[0:1]
	global_store_dword v2, v3, s[0:1]
	;; [unrolled: 1-line block ×4, first 2 shown]
	s_endpgm
	.section	.rodata,"a",@progbits
	.p2align	6, 0x0
	.amdhsa_kernel _ZN2at6native32elementwise_kernel_manual_unrollILi128ELi4EZNS0_12_GLOBAL__N_142type_specialized_broadcast_kernel_launcherILi3EE5applyINS0_13BinaryFunctorIfffZZZNS2_33hermite_polynomial_he_kernel_cudaERNS_18TensorIteratorBaseEENKUlvE_clEvENKUlvE0_clEvEUlffE_EESt5arrayIPcLm3EESD_IN3c1010ScalarTypeELm3EE16OffsetCalculatorILi3EjLb0EEEEvlT_T0_T1_T2_EUlibE_EEviSN_
		.amdhsa_group_segment_fixed_size 0
		.amdhsa_private_segment_fixed_size 0
		.amdhsa_kernarg_size 432
		.amdhsa_user_sgpr_count 6
		.amdhsa_user_sgpr_private_segment_buffer 1
		.amdhsa_user_sgpr_dispatch_ptr 0
		.amdhsa_user_sgpr_queue_ptr 0
		.amdhsa_user_sgpr_kernarg_segment_ptr 1
		.amdhsa_user_sgpr_dispatch_id 0
		.amdhsa_user_sgpr_flat_scratch_init 0
		.amdhsa_user_sgpr_kernarg_preload_length 0
		.amdhsa_user_sgpr_kernarg_preload_offset 0
		.amdhsa_user_sgpr_private_segment_size 0
		.amdhsa_uses_dynamic_stack 0
		.amdhsa_system_sgpr_private_segment_wavefront_offset 0
		.amdhsa_system_sgpr_workgroup_id_x 1
		.amdhsa_system_sgpr_workgroup_id_y 0
		.amdhsa_system_sgpr_workgroup_id_z 0
		.amdhsa_system_sgpr_workgroup_info 0
		.amdhsa_system_vgpr_workitem_id 0
		.amdhsa_next_free_vgpr 25
		.amdhsa_next_free_sgpr 54
		.amdhsa_accum_offset 28
		.amdhsa_reserve_vcc 1
		.amdhsa_reserve_flat_scratch 0
		.amdhsa_float_round_mode_32 0
		.amdhsa_float_round_mode_16_64 0
		.amdhsa_float_denorm_mode_32 3
		.amdhsa_float_denorm_mode_16_64 3
		.amdhsa_dx10_clamp 1
		.amdhsa_ieee_mode 1
		.amdhsa_fp16_overflow 0
		.amdhsa_tg_split 0
		.amdhsa_exception_fp_ieee_invalid_op 0
		.amdhsa_exception_fp_denorm_src 0
		.amdhsa_exception_fp_ieee_div_zero 0
		.amdhsa_exception_fp_ieee_overflow 0
		.amdhsa_exception_fp_ieee_underflow 0
		.amdhsa_exception_fp_ieee_inexact 0
		.amdhsa_exception_int_div_zero 0
	.end_amdhsa_kernel
	.section	.text._ZN2at6native32elementwise_kernel_manual_unrollILi128ELi4EZNS0_12_GLOBAL__N_142type_specialized_broadcast_kernel_launcherILi3EE5applyINS0_13BinaryFunctorIfffZZZNS2_33hermite_polynomial_he_kernel_cudaERNS_18TensorIteratorBaseEENKUlvE_clEvENKUlvE0_clEvEUlffE_EESt5arrayIPcLm3EESD_IN3c1010ScalarTypeELm3EE16OffsetCalculatorILi3EjLb0EEEEvlT_T0_T1_T2_EUlibE_EEviSN_,"axG",@progbits,_ZN2at6native32elementwise_kernel_manual_unrollILi128ELi4EZNS0_12_GLOBAL__N_142type_specialized_broadcast_kernel_launcherILi3EE5applyINS0_13BinaryFunctorIfffZZZNS2_33hermite_polynomial_he_kernel_cudaERNS_18TensorIteratorBaseEENKUlvE_clEvENKUlvE0_clEvEUlffE_EESt5arrayIPcLm3EESD_IN3c1010ScalarTypeELm3EE16OffsetCalculatorILi3EjLb0EEEEvlT_T0_T1_T2_EUlibE_EEviSN_,comdat
.Lfunc_end70:
	.size	_ZN2at6native32elementwise_kernel_manual_unrollILi128ELi4EZNS0_12_GLOBAL__N_142type_specialized_broadcast_kernel_launcherILi3EE5applyINS0_13BinaryFunctorIfffZZZNS2_33hermite_polynomial_he_kernel_cudaERNS_18TensorIteratorBaseEENKUlvE_clEvENKUlvE0_clEvEUlffE_EESt5arrayIPcLm3EESD_IN3c1010ScalarTypeELm3EE16OffsetCalculatorILi3EjLb0EEEEvlT_T0_T1_T2_EUlibE_EEviSN_, .Lfunc_end70-_ZN2at6native32elementwise_kernel_manual_unrollILi128ELi4EZNS0_12_GLOBAL__N_142type_specialized_broadcast_kernel_launcherILi3EE5applyINS0_13BinaryFunctorIfffZZZNS2_33hermite_polynomial_he_kernel_cudaERNS_18TensorIteratorBaseEENKUlvE_clEvENKUlvE0_clEvEUlffE_EESt5arrayIPcLm3EESD_IN3c1010ScalarTypeELm3EE16OffsetCalculatorILi3EjLb0EEEEvlT_T0_T1_T2_EUlibE_EEviSN_
                                        ; -- End function
	.section	.AMDGPU.csdata,"",@progbits
; Kernel info:
; codeLenInByte = 6420
; NumSgprs: 58
; NumVgprs: 25
; NumAgprs: 0
; TotalNumVgprs: 25
; ScratchSize: 0
; MemoryBound: 0
; FloatMode: 240
; IeeeMode: 1
; LDSByteSize: 0 bytes/workgroup (compile time only)
; SGPRBlocks: 7
; VGPRBlocks: 3
; NumSGPRsForWavesPerEU: 58
; NumVGPRsForWavesPerEU: 25
; AccumOffset: 28
; Occupancy: 8
; WaveLimiterHint : 1
; COMPUTE_PGM_RSRC2:SCRATCH_EN: 0
; COMPUTE_PGM_RSRC2:USER_SGPR: 6
; COMPUTE_PGM_RSRC2:TRAP_HANDLER: 0
; COMPUTE_PGM_RSRC2:TGID_X_EN: 1
; COMPUTE_PGM_RSRC2:TGID_Y_EN: 0
; COMPUTE_PGM_RSRC2:TGID_Z_EN: 0
; COMPUTE_PGM_RSRC2:TIDIG_COMP_CNT: 0
; COMPUTE_PGM_RSRC3_GFX90A:ACCUM_OFFSET: 6
; COMPUTE_PGM_RSRC3_GFX90A:TG_SPLIT: 0
	.section	.text._ZN2at6native32elementwise_kernel_manual_unrollILi128ELi4EZNS0_12_GLOBAL__N_142type_specialized_broadcast_kernel_launcherILi4EE5applyINS0_13BinaryFunctorIfffZZZNS2_33hermite_polynomial_he_kernel_cudaERNS_18TensorIteratorBaseEENKUlvE_clEvENKUlvE0_clEvEUlffE_EESt5arrayIPcLm3EESD_IN3c1010ScalarTypeELm3EE16OffsetCalculatorILi3EjLb0EEEEvlT_T0_T1_T2_EUlibE_EEviSN_,"axG",@progbits,_ZN2at6native32elementwise_kernel_manual_unrollILi128ELi4EZNS0_12_GLOBAL__N_142type_specialized_broadcast_kernel_launcherILi4EE5applyINS0_13BinaryFunctorIfffZZZNS2_33hermite_polynomial_he_kernel_cudaERNS_18TensorIteratorBaseEENKUlvE_clEvENKUlvE0_clEvEUlffE_EESt5arrayIPcLm3EESD_IN3c1010ScalarTypeELm3EE16OffsetCalculatorILi3EjLb0EEEEvlT_T0_T1_T2_EUlibE_EEviSN_,comdat
	.globl	_ZN2at6native32elementwise_kernel_manual_unrollILi128ELi4EZNS0_12_GLOBAL__N_142type_specialized_broadcast_kernel_launcherILi4EE5applyINS0_13BinaryFunctorIfffZZZNS2_33hermite_polynomial_he_kernel_cudaERNS_18TensorIteratorBaseEENKUlvE_clEvENKUlvE0_clEvEUlffE_EESt5arrayIPcLm3EESD_IN3c1010ScalarTypeELm3EE16OffsetCalculatorILi3EjLb0EEEEvlT_T0_T1_T2_EUlibE_EEviSN_ ; -- Begin function _ZN2at6native32elementwise_kernel_manual_unrollILi128ELi4EZNS0_12_GLOBAL__N_142type_specialized_broadcast_kernel_launcherILi4EE5applyINS0_13BinaryFunctorIfffZZZNS2_33hermite_polynomial_he_kernel_cudaERNS_18TensorIteratorBaseEENKUlvE_clEvENKUlvE0_clEvEUlffE_EESt5arrayIPcLm3EESD_IN3c1010ScalarTypeELm3EE16OffsetCalculatorILi3EjLb0EEEEvlT_T0_T1_T2_EUlibE_EEviSN_
	.p2align	8
	.type	_ZN2at6native32elementwise_kernel_manual_unrollILi128ELi4EZNS0_12_GLOBAL__N_142type_specialized_broadcast_kernel_launcherILi4EE5applyINS0_13BinaryFunctorIfffZZZNS2_33hermite_polynomial_he_kernel_cudaERNS_18TensorIteratorBaseEENKUlvE_clEvENKUlvE0_clEvEUlffE_EESt5arrayIPcLm3EESD_IN3c1010ScalarTypeELm3EE16OffsetCalculatorILi3EjLb0EEEEvlT_T0_T1_T2_EUlibE_EEviSN_,@function
_ZN2at6native32elementwise_kernel_manual_unrollILi128ELi4EZNS0_12_GLOBAL__N_142type_specialized_broadcast_kernel_launcherILi4EE5applyINS0_13BinaryFunctorIfffZZZNS2_33hermite_polynomial_he_kernel_cudaERNS_18TensorIteratorBaseEENKUlvE_clEvENKUlvE0_clEvEUlffE_EESt5arrayIPcLm3EESD_IN3c1010ScalarTypeELm3EE16OffsetCalculatorILi3EjLb0EEEEvlT_T0_T1_T2_EUlibE_EEviSN_: ; @_ZN2at6native32elementwise_kernel_manual_unrollILi128ELi4EZNS0_12_GLOBAL__N_142type_specialized_broadcast_kernel_launcherILi4EE5applyINS0_13BinaryFunctorIfffZZZNS2_33hermite_polynomial_he_kernel_cudaERNS_18TensorIteratorBaseEENKUlvE_clEvENKUlvE0_clEvEUlffE_EESt5arrayIPcLm3EESD_IN3c1010ScalarTypeELm3EE16OffsetCalculatorILi3EjLb0EEEEvlT_T0_T1_T2_EUlibE_EEviSN_
; %bb.0:
	s_load_dword s46, s[4:5], 0x0
	s_load_dword s33, s[4:5], 0x8
	s_or_b32 s4, s4, 8
	v_lshl_or_b32 v14, s6, 9, v0
	v_or_b32_e32 v24, 0x180, v14
	s_waitcnt lgkmcnt(0)
	v_cmp_le_i32_e32 vcc, s46, v24
	s_add_i32 s44, s33, -1
	s_cmp_gt_u32 s44, 1
	s_cselect_b64 s[6:7], -1, 0
	s_and_saveexec_b64 s[0:1], vcc
	s_xor_b64 s[16:17], exec, s[0:1]
	s_cbranch_execz .LBB71_98
; %bb.1:
	s_load_dwordx4 s[12:15], s[4:5], 0x4
	s_load_dwordx2 s[22:23], s[4:5], 0x14
	s_load_dwordx4 s[8:11], s[4:5], 0xc4
	s_load_dwordx2 s[20:21], s[4:5], 0xd4
	s_load_dwordx2 s[18:19], s[4:5], 0x198
	s_load_dwordx4 s[0:3], s[4:5], 0x188
	s_cmp_lg_u32 s33, 0
	s_cselect_b64 s[26:27], -1, 0
	s_min_u32 s45, s44, 15
	s_cmp_gt_u32 s33, 1
	s_cselect_b64 s[24:25], -1, 0
	v_cmp_gt_i32_e32 vcc, s46, v14
	s_and_saveexec_b64 s[28:29], vcc
	s_cbranch_execnz .LBB71_5
; %bb.2:
	s_or_b64 exec, exec, s[28:29]
	v_cmp_gt_i32_e32 vcc, s46, v14
	s_and_saveexec_b64 s[28:29], vcc
	s_cbranch_execnz .LBB71_28
.LBB71_3:
	s_or_b64 exec, exec, s[28:29]
	v_cmp_gt_i32_e32 vcc, s46, v14
	s_and_saveexec_b64 s[28:29], vcc
	s_cbranch_execnz .LBB71_51
.LBB71_4:
	s_or_b64 exec, exec, s[28:29]
	v_cmp_gt_i32_e32 vcc, s46, v14
	s_and_saveexec_b64 s[28:29], vcc
	s_cbranch_execnz .LBB71_74
	s_branch .LBB71_97
.LBB71_5:
	s_andn2_b64 vcc, exec, s[6:7]
	s_cbranch_vccnz .LBB71_12
; %bb.6:
	s_andn2_b64 vcc, exec, s[26:27]
	v_mov_b32_e32 v4, 0
	v_mov_b32_e32 v2, 0
	;; [unrolled: 1-line block ×3, first 2 shown]
	s_cbranch_vccnz .LBB71_11
; %bb.7:
	s_add_i32 s30, s45, 1
	s_and_b32 s34, s30, 30
	s_add_u32 s30, s4, 0xffffffec
	s_addc_u32 s31, s5, -1
	v_mov_b32_e32 v0, 0
	v_mov_b32_e32 v1, v14
	v_mov_b32_e32 v2, 0
	v_mov_b32_e32 v4, 0
.LBB71_8:                               ; =>This Inner Loop Header: Depth=1
	s_mov_b64 s[48:49], s[30:31]
	s_load_dwordx4 s[36:39], s[48:49], 0x18
	s_load_dwordx2 s[50:51], s[48:49], 0x28
	s_load_dwordx2 s[52:53], s[48:49], 0xe8
	s_load_dwordx4 s[40:43], s[48:49], 0xd8
	s_add_u32 s30, s48, 24
	s_waitcnt lgkmcnt(0)
	v_mul_hi_u32 v3, s37, v1
	v_add_u32_e32 v3, v1, v3
	v_lshrrev_b32_e32 v3, s38, v3
	v_mul_lo_u32 v5, v3, s36
	v_mul_hi_u32 v6, s50, v3
	v_sub_u32_e32 v1, v1, v5
	v_add_u32_e32 v5, v3, v6
	v_mul_lo_u32 v6, v1, s40
	v_mul_lo_u32 v7, v1, s41
	;; [unrolled: 1-line block ×3, first 2 shown]
	v_lshrrev_b32_e32 v1, s51, v5
	v_mul_lo_u32 v5, v1, s39
	v_sub_u32_e32 v3, v3, v5
	s_addc_u32 s31, s49, 0
	s_add_i32 s34, s34, -2
	v_mul_lo_u32 v5, v3, s43
	v_mul_lo_u32 v9, v3, s52
	;; [unrolled: 1-line block ×3, first 2 shown]
	s_cmp_lg_u32 s34, 0
	v_add3_u32 v0, v6, v0, v5
	v_add3_u32 v4, v8, v4, v3
	;; [unrolled: 1-line block ×3, first 2 shown]
	s_cbranch_scc1 .LBB71_8
; %bb.9:
	s_bitcmp1_b32 s45, 0
	s_cselect_b64 s[34:35], -1, 0
	s_and_b64 vcc, exec, s[34:35]
	s_cbranch_vccnz .LBB71_11
; %bb.10:
	s_load_dwordx2 s[34:35], s[30:31], 0x18
	s_load_dword s38, s[30:31], 0x20
	s_load_dword s39, s[30:31], 0xe0
	s_load_dwordx2 s[36:37], s[30:31], 0xd8
	s_waitcnt lgkmcnt(0)
	v_mul_hi_u32 v3, s35, v1
	v_add_u32_e32 v3, v1, v3
	v_lshrrev_b32_e32 v3, s38, v3
	v_mul_lo_u32 v3, v3, s34
	v_sub_u32_e32 v5, v1, v3
	v_mad_u64_u32 v[0:1], s[30:31], v5, s36, v[0:1]
	v_mad_u64_u32 v[2:3], s[30:31], v5, s37, v[2:3]
	;; [unrolled: 1-line block ×3, first 2 shown]
.LBB71_11:
	s_cbranch_execz .LBB71_13
	s_branch .LBB71_15
.LBB71_12:
                                        ; implicit-def: $vgpr4
                                        ; implicit-def: $vgpr2
                                        ; implicit-def: $vgpr0
.LBB71_13:
	s_waitcnt lgkmcnt(0)
	v_mul_hi_u32 v0, s13, v14
	v_add_u32_e32 v0, v14, v0
	v_lshrrev_b32_e32 v1, s14, v0
	v_mul_lo_u32 v0, v1, s12
	v_sub_u32_e32 v2, v14, v0
	v_mul_lo_u32 v0, v2, s8
	v_mul_lo_u32 v4, v2, s10
	s_andn2_b64 vcc, exec, s[24:25]
	v_mul_lo_u32 v2, v2, s9
	s_cbranch_vccnz .LBB71_15
; %bb.14:
	v_mul_hi_u32 v3, s22, v1
	v_add_u32_e32 v3, v1, v3
	v_lshrrev_b32_e32 v3, s23, v3
	v_mul_lo_u32 v3, v3, s15
	v_sub_u32_e32 v5, v1, v3
	v_mad_u64_u32 v[0:1], s[30:31], v5, s11, v[0:1]
	v_mad_u64_u32 v[2:3], s[30:31], v5, s20, v[2:3]
	;; [unrolled: 1-line block ×3, first 2 shown]
.LBB71_15:
	s_waitcnt lgkmcnt(0)
	global_load_dword v1, v4, s[18:19]
	s_mov_b32 s30, 0x2f800000
	s_mov_b32 s31, 0xcf800000
	s_waitcnt vmcnt(0)
	v_trunc_f32_e32 v1, v1
	v_mul_f32_e64 v3, |v1|, s30
	v_floor_f32_e32 v3, v3
	v_fma_f32 v4, v3, s31, |v1|
	v_cvt_u32_f32_e32 v4, v4
	v_cvt_u32_f32_e32 v3, v3
	v_ashrrev_i32_e32 v1, 31, v1
	v_xor_b32_e32 v4, v4, v1
	v_xor_b32_e32 v3, v3, v1
	v_sub_co_u32_e32 v4, vcc, v4, v1
	v_subb_co_u32_e32 v5, vcc, v3, v1, vcc
	v_cmp_lt_i64_e32 vcc, -1, v[4:5]
	v_mov_b32_e32 v3, 0
	s_and_saveexec_b64 s[30:31], vcc
	s_cbranch_execz .LBB71_27
; %bb.16:
	v_cmp_lt_i64_e32 vcc, 0, v[4:5]
	v_mov_b32_e32 v3, 1.0
	s_and_saveexec_b64 s[34:35], vcc
	s_cbranch_execz .LBB71_26
; %bb.17:
	global_load_ushort v1, v2, s[2:3]
	v_cmp_ne_u64_e32 vcc, 1, v[4:5]
                                        ; implicit-def: $vgpr3
	s_waitcnt vmcnt(0)
	v_cvt_f32_f16_e32 v1, v1
	s_and_saveexec_b64 s[36:37], vcc
	s_xor_b64 s[36:37], exec, s[36:37]
	s_cbranch_execz .LBB71_23
; %bb.18:
	s_mov_b64 s[38:39], 0x81
	v_cmp_gt_u64_e32 vcc, s[38:39], v[4:5]
	v_mov_b32_e32 v3, 0x7fc00000
	s_and_saveexec_b64 s[38:39], vcc
	s_cbranch_execz .LBB71_22
; %bb.19:
	s_mov_b64 s[42:43], 1
	s_mov_b64 s[40:41], 0
	v_mov_b32_e32 v2, 1.0
	v_mov_b32_e32 v3, v1
.LBB71_20:                              ; =>This Inner Loop Header: Depth=1
	s_flbit_i32_b32 s47, s43
	s_min_u32 s47, s47, 32
	s_lshl_b64 s[48:49], s[42:43], s47
	s_min_u32 s48, s48, 1
	s_or_b32 s48, s49, s48
	v_cvt_f32_u32_e32 v6, s48
	s_sub_i32 s47, 32, s47
	s_add_u32 s42, s42, 1
	s_addc_u32 s43, s43, 0
	v_ldexp_f32 v6, v6, s47
	v_cmp_eq_u64_e32 vcc, s[42:43], v[4:5]
	v_mul_f32_e32 v6, v2, v6
	s_or_b64 s[40:41], vcc, s[40:41]
	v_mov_b32_e32 v2, v3
	v_fma_f32 v3, v3, v1, -v6
	s_andn2_b64 exec, exec, s[40:41]
	s_cbranch_execnz .LBB71_20
; %bb.21:
	s_or_b64 exec, exec, s[40:41]
.LBB71_22:
	s_or_b64 exec, exec, s[38:39]
                                        ; implicit-def: $vgpr1
.LBB71_23:
	s_andn2_saveexec_b64 s[36:37], s[36:37]
; %bb.24:
	v_mov_b32_e32 v3, v1
; %bb.25:
	s_or_b64 exec, exec, s[36:37]
.LBB71_26:
	s_or_b64 exec, exec, s[34:35]
.LBB71_27:
	s_or_b64 exec, exec, s[30:31]
	v_add_u32_e32 v14, 0x80, v14
	global_store_dword v0, v3, s[0:1]
	s_or_b64 exec, exec, s[28:29]
	v_cmp_gt_i32_e32 vcc, s46, v14
	s_and_saveexec_b64 s[28:29], vcc
	s_cbranch_execz .LBB71_3
.LBB71_28:
	s_andn2_b64 vcc, exec, s[6:7]
	s_cbranch_vccnz .LBB71_35
; %bb.29:
	s_andn2_b64 vcc, exec, s[26:27]
	v_mov_b32_e32 v4, 0
	v_mov_b32_e32 v2, 0
	;; [unrolled: 1-line block ×3, first 2 shown]
	s_cbranch_vccnz .LBB71_34
; %bb.30:
	s_add_i32 s30, s45, 1
	s_and_b32 s34, s30, 30
	s_add_u32 s30, s4, 0xffffffec
	s_addc_u32 s31, s5, -1
	v_mov_b32_e32 v0, 0
	v_mov_b32_e32 v1, v14
	;; [unrolled: 1-line block ×4, first 2 shown]
.LBB71_31:                              ; =>This Inner Loop Header: Depth=1
	s_mov_b64 s[48:49], s[30:31]
	s_load_dwordx4 s[36:39], s[48:49], 0x18
	s_load_dwordx2 s[50:51], s[48:49], 0x28
	s_load_dwordx2 s[52:53], s[48:49], 0xe8
	s_load_dwordx4 s[40:43], s[48:49], 0xd8
	s_add_u32 s30, s48, 24
	s_waitcnt lgkmcnt(0)
	v_mul_hi_u32 v3, s37, v1
	v_add_u32_e32 v3, v1, v3
	v_lshrrev_b32_e32 v3, s38, v3
	v_mul_lo_u32 v5, v3, s36
	v_mul_hi_u32 v6, s50, v3
	v_sub_u32_e32 v1, v1, v5
	v_add_u32_e32 v5, v3, v6
	v_mul_lo_u32 v6, v1, s40
	v_mul_lo_u32 v7, v1, s41
	;; [unrolled: 1-line block ×3, first 2 shown]
	v_lshrrev_b32_e32 v1, s51, v5
	v_mul_lo_u32 v5, v1, s39
	v_sub_u32_e32 v3, v3, v5
	s_addc_u32 s31, s49, 0
	s_add_i32 s34, s34, -2
	v_mul_lo_u32 v5, v3, s43
	v_mul_lo_u32 v9, v3, s52
	;; [unrolled: 1-line block ×3, first 2 shown]
	s_cmp_eq_u32 s34, 0
	v_add3_u32 v0, v6, v0, v5
	v_add3_u32 v4, v8, v4, v3
	;; [unrolled: 1-line block ×3, first 2 shown]
	s_cbranch_scc0 .LBB71_31
; %bb.32:
	s_bitcmp1_b32 s45, 0
	s_cselect_b64 s[34:35], -1, 0
	s_and_b64 vcc, exec, s[34:35]
	s_cbranch_vccnz .LBB71_34
; %bb.33:
	s_load_dwordx2 s[34:35], s[30:31], 0x18
	s_load_dword s38, s[30:31], 0x20
	s_load_dword s39, s[30:31], 0xe0
	s_load_dwordx2 s[36:37], s[30:31], 0xd8
	s_waitcnt lgkmcnt(0)
	v_mul_hi_u32 v3, s35, v1
	v_add_u32_e32 v3, v1, v3
	v_lshrrev_b32_e32 v3, s38, v3
	v_mul_lo_u32 v3, v3, s34
	v_sub_u32_e32 v5, v1, v3
	v_mad_u64_u32 v[0:1], s[30:31], v5, s36, v[0:1]
	v_mad_u64_u32 v[2:3], s[30:31], v5, s37, v[2:3]
	;; [unrolled: 1-line block ×3, first 2 shown]
.LBB71_34:
	s_cbranch_execz .LBB71_36
	s_branch .LBB71_38
.LBB71_35:
                                        ; implicit-def: $vgpr4
                                        ; implicit-def: $vgpr2
                                        ; implicit-def: $vgpr0
.LBB71_36:
	s_waitcnt lgkmcnt(0)
	v_mul_hi_u32 v0, s13, v14
	v_add_u32_e32 v0, v14, v0
	v_lshrrev_b32_e32 v1, s14, v0
	v_mul_lo_u32 v0, v1, s12
	v_sub_u32_e32 v2, v14, v0
	v_mul_lo_u32 v0, v2, s8
	v_mul_lo_u32 v4, v2, s10
	s_andn2_b64 vcc, exec, s[24:25]
	v_mul_lo_u32 v2, v2, s9
	s_cbranch_vccnz .LBB71_38
; %bb.37:
	v_mul_hi_u32 v3, s22, v1
	v_add_u32_e32 v3, v1, v3
	v_lshrrev_b32_e32 v3, s23, v3
	v_mul_lo_u32 v3, v3, s15
	v_sub_u32_e32 v5, v1, v3
	v_mad_u64_u32 v[0:1], s[30:31], v5, s11, v[0:1]
	v_mad_u64_u32 v[2:3], s[30:31], v5, s20, v[2:3]
	;; [unrolled: 1-line block ×3, first 2 shown]
.LBB71_38:
	s_waitcnt lgkmcnt(0)
	global_load_dword v1, v4, s[18:19]
	s_mov_b32 s30, 0x2f800000
	s_mov_b32 s31, 0xcf800000
	s_waitcnt vmcnt(0)
	v_trunc_f32_e32 v1, v1
	v_mul_f32_e64 v3, |v1|, s30
	v_floor_f32_e32 v3, v3
	v_fma_f32 v4, v3, s31, |v1|
	v_cvt_u32_f32_e32 v4, v4
	v_cvt_u32_f32_e32 v3, v3
	v_ashrrev_i32_e32 v1, 31, v1
	v_xor_b32_e32 v4, v4, v1
	v_xor_b32_e32 v3, v3, v1
	v_sub_co_u32_e32 v4, vcc, v4, v1
	v_subb_co_u32_e32 v5, vcc, v3, v1, vcc
	v_cmp_lt_i64_e32 vcc, -1, v[4:5]
	v_mov_b32_e32 v3, 0
	s_and_saveexec_b64 s[30:31], vcc
	s_cbranch_execz .LBB71_50
; %bb.39:
	v_cmp_lt_i64_e32 vcc, 0, v[4:5]
	v_mov_b32_e32 v3, 1.0
	s_and_saveexec_b64 s[34:35], vcc
	s_cbranch_execz .LBB71_49
; %bb.40:
	global_load_ushort v1, v2, s[2:3]
	v_cmp_ne_u64_e32 vcc, 1, v[4:5]
                                        ; implicit-def: $vgpr3
	s_waitcnt vmcnt(0)
	v_cvt_f32_f16_e32 v1, v1
	s_and_saveexec_b64 s[36:37], vcc
	s_xor_b64 s[36:37], exec, s[36:37]
	s_cbranch_execz .LBB71_46
; %bb.41:
	s_mov_b64 s[38:39], 0x81
	v_cmp_gt_u64_e32 vcc, s[38:39], v[4:5]
	v_mov_b32_e32 v3, 0x7fc00000
	s_and_saveexec_b64 s[38:39], vcc
	s_cbranch_execz .LBB71_45
; %bb.42:
	s_mov_b64 s[42:43], 1
	s_mov_b64 s[40:41], 0
	v_mov_b32_e32 v2, 1.0
	v_mov_b32_e32 v3, v1
.LBB71_43:                              ; =>This Inner Loop Header: Depth=1
	s_flbit_i32_b32 s47, s43
	s_min_u32 s47, s47, 32
	s_lshl_b64 s[48:49], s[42:43], s47
	s_min_u32 s48, s48, 1
	s_or_b32 s48, s49, s48
	v_cvt_f32_u32_e32 v6, s48
	s_sub_i32 s47, 32, s47
	s_add_u32 s42, s42, 1
	s_addc_u32 s43, s43, 0
	v_ldexp_f32 v6, v6, s47
	v_cmp_eq_u64_e32 vcc, s[42:43], v[4:5]
	v_mul_f32_e32 v6, v2, v6
	s_or_b64 s[40:41], vcc, s[40:41]
	v_mov_b32_e32 v2, v3
	v_fma_f32 v3, v3, v1, -v6
	s_andn2_b64 exec, exec, s[40:41]
	s_cbranch_execnz .LBB71_43
; %bb.44:
	s_or_b64 exec, exec, s[40:41]
.LBB71_45:
	s_or_b64 exec, exec, s[38:39]
                                        ; implicit-def: $vgpr1
.LBB71_46:
	s_andn2_saveexec_b64 s[36:37], s[36:37]
; %bb.47:
	v_mov_b32_e32 v3, v1
; %bb.48:
	s_or_b64 exec, exec, s[36:37]
.LBB71_49:
	s_or_b64 exec, exec, s[34:35]
.LBB71_50:
	s_or_b64 exec, exec, s[30:31]
	v_add_u32_e32 v14, 0x80, v14
	global_store_dword v0, v3, s[0:1]
	s_or_b64 exec, exec, s[28:29]
	v_cmp_gt_i32_e32 vcc, s46, v14
	s_and_saveexec_b64 s[28:29], vcc
	s_cbranch_execz .LBB71_4
.LBB71_51:
	s_andn2_b64 vcc, exec, s[6:7]
	s_cbranch_vccnz .LBB71_58
; %bb.52:
	s_andn2_b64 vcc, exec, s[26:27]
	v_mov_b32_e32 v4, 0
	v_mov_b32_e32 v2, 0
	;; [unrolled: 1-line block ×3, first 2 shown]
	s_cbranch_vccnz .LBB71_57
; %bb.53:
	s_add_i32 s30, s45, 1
	s_and_b32 s34, s30, 30
	s_add_u32 s30, s4, 0xffffffec
	s_addc_u32 s31, s5, -1
	v_mov_b32_e32 v0, 0
	v_mov_b32_e32 v1, v14
	;; [unrolled: 1-line block ×4, first 2 shown]
.LBB71_54:                              ; =>This Inner Loop Header: Depth=1
	s_mov_b64 s[48:49], s[30:31]
	s_load_dwordx4 s[36:39], s[48:49], 0x18
	s_load_dwordx2 s[50:51], s[48:49], 0x28
	s_load_dwordx2 s[52:53], s[48:49], 0xe8
	s_load_dwordx4 s[40:43], s[48:49], 0xd8
	s_add_u32 s30, s48, 24
	s_waitcnt lgkmcnt(0)
	v_mul_hi_u32 v3, s37, v1
	v_add_u32_e32 v3, v1, v3
	v_lshrrev_b32_e32 v3, s38, v3
	v_mul_lo_u32 v5, v3, s36
	v_mul_hi_u32 v6, s50, v3
	v_sub_u32_e32 v1, v1, v5
	v_add_u32_e32 v5, v3, v6
	v_mul_lo_u32 v6, v1, s40
	v_mul_lo_u32 v7, v1, s41
	;; [unrolled: 1-line block ×3, first 2 shown]
	v_lshrrev_b32_e32 v1, s51, v5
	v_mul_lo_u32 v5, v1, s39
	v_sub_u32_e32 v3, v3, v5
	s_addc_u32 s31, s49, 0
	s_add_i32 s34, s34, -2
	v_mul_lo_u32 v5, v3, s43
	v_mul_lo_u32 v9, v3, s52
	;; [unrolled: 1-line block ×3, first 2 shown]
	s_cmp_eq_u32 s34, 0
	v_add3_u32 v0, v6, v0, v5
	v_add3_u32 v4, v8, v4, v3
	;; [unrolled: 1-line block ×3, first 2 shown]
	s_cbranch_scc0 .LBB71_54
; %bb.55:
	s_bitcmp1_b32 s45, 0
	s_cselect_b64 s[34:35], -1, 0
	s_and_b64 vcc, exec, s[34:35]
	s_cbranch_vccnz .LBB71_57
; %bb.56:
	s_load_dwordx2 s[34:35], s[30:31], 0x18
	s_load_dword s38, s[30:31], 0x20
	s_load_dword s39, s[30:31], 0xe0
	s_load_dwordx2 s[36:37], s[30:31], 0xd8
	s_waitcnt lgkmcnt(0)
	v_mul_hi_u32 v3, s35, v1
	v_add_u32_e32 v3, v1, v3
	v_lshrrev_b32_e32 v3, s38, v3
	v_mul_lo_u32 v3, v3, s34
	v_sub_u32_e32 v5, v1, v3
	v_mad_u64_u32 v[0:1], s[30:31], v5, s36, v[0:1]
	v_mad_u64_u32 v[2:3], s[30:31], v5, s37, v[2:3]
	;; [unrolled: 1-line block ×3, first 2 shown]
.LBB71_57:
	s_cbranch_execz .LBB71_59
	s_branch .LBB71_61
.LBB71_58:
                                        ; implicit-def: $vgpr4
                                        ; implicit-def: $vgpr2
                                        ; implicit-def: $vgpr0
.LBB71_59:
	s_waitcnt lgkmcnt(0)
	v_mul_hi_u32 v0, s13, v14
	v_add_u32_e32 v0, v14, v0
	v_lshrrev_b32_e32 v1, s14, v0
	v_mul_lo_u32 v0, v1, s12
	v_sub_u32_e32 v2, v14, v0
	v_mul_lo_u32 v0, v2, s8
	v_mul_lo_u32 v4, v2, s10
	s_andn2_b64 vcc, exec, s[24:25]
	v_mul_lo_u32 v2, v2, s9
	s_cbranch_vccnz .LBB71_61
; %bb.60:
	v_mul_hi_u32 v3, s22, v1
	v_add_u32_e32 v3, v1, v3
	v_lshrrev_b32_e32 v3, s23, v3
	v_mul_lo_u32 v3, v3, s15
	v_sub_u32_e32 v5, v1, v3
	v_mad_u64_u32 v[0:1], s[30:31], v5, s11, v[0:1]
	v_mad_u64_u32 v[2:3], s[30:31], v5, s20, v[2:3]
	;; [unrolled: 1-line block ×3, first 2 shown]
.LBB71_61:
	s_waitcnt lgkmcnt(0)
	global_load_dword v1, v4, s[18:19]
	s_mov_b32 s30, 0x2f800000
	s_mov_b32 s31, 0xcf800000
	s_waitcnt vmcnt(0)
	v_trunc_f32_e32 v1, v1
	v_mul_f32_e64 v3, |v1|, s30
	v_floor_f32_e32 v3, v3
	v_fma_f32 v4, v3, s31, |v1|
	v_cvt_u32_f32_e32 v4, v4
	v_cvt_u32_f32_e32 v3, v3
	v_ashrrev_i32_e32 v1, 31, v1
	v_xor_b32_e32 v4, v4, v1
	v_xor_b32_e32 v3, v3, v1
	v_sub_co_u32_e32 v4, vcc, v4, v1
	v_subb_co_u32_e32 v5, vcc, v3, v1, vcc
	v_cmp_lt_i64_e32 vcc, -1, v[4:5]
	v_mov_b32_e32 v3, 0
	s_and_saveexec_b64 s[30:31], vcc
	s_cbranch_execz .LBB71_73
; %bb.62:
	v_cmp_lt_i64_e32 vcc, 0, v[4:5]
	v_mov_b32_e32 v3, 1.0
	s_and_saveexec_b64 s[34:35], vcc
	s_cbranch_execz .LBB71_72
; %bb.63:
	global_load_ushort v1, v2, s[2:3]
	v_cmp_ne_u64_e32 vcc, 1, v[4:5]
                                        ; implicit-def: $vgpr3
	s_waitcnt vmcnt(0)
	v_cvt_f32_f16_e32 v1, v1
	s_and_saveexec_b64 s[36:37], vcc
	s_xor_b64 s[36:37], exec, s[36:37]
	s_cbranch_execz .LBB71_69
; %bb.64:
	s_mov_b64 s[38:39], 0x81
	v_cmp_gt_u64_e32 vcc, s[38:39], v[4:5]
	v_mov_b32_e32 v3, 0x7fc00000
	s_and_saveexec_b64 s[38:39], vcc
	s_cbranch_execz .LBB71_68
; %bb.65:
	s_mov_b64 s[42:43], 1
	s_mov_b64 s[40:41], 0
	v_mov_b32_e32 v2, 1.0
	v_mov_b32_e32 v3, v1
.LBB71_66:                              ; =>This Inner Loop Header: Depth=1
	s_flbit_i32_b32 s47, s43
	s_min_u32 s47, s47, 32
	s_lshl_b64 s[48:49], s[42:43], s47
	s_min_u32 s48, s48, 1
	s_or_b32 s48, s49, s48
	v_cvt_f32_u32_e32 v6, s48
	s_sub_i32 s47, 32, s47
	s_add_u32 s42, s42, 1
	s_addc_u32 s43, s43, 0
	v_ldexp_f32 v6, v6, s47
	v_cmp_eq_u64_e32 vcc, s[42:43], v[4:5]
	v_mul_f32_e32 v6, v2, v6
	s_or_b64 s[40:41], vcc, s[40:41]
	v_mov_b32_e32 v2, v3
	v_fma_f32 v3, v3, v1, -v6
	s_andn2_b64 exec, exec, s[40:41]
	s_cbranch_execnz .LBB71_66
; %bb.67:
	s_or_b64 exec, exec, s[40:41]
.LBB71_68:
	s_or_b64 exec, exec, s[38:39]
                                        ; implicit-def: $vgpr1
.LBB71_69:
	s_andn2_saveexec_b64 s[36:37], s[36:37]
; %bb.70:
	v_mov_b32_e32 v3, v1
; %bb.71:
	s_or_b64 exec, exec, s[36:37]
.LBB71_72:
	s_or_b64 exec, exec, s[34:35]
.LBB71_73:
	s_or_b64 exec, exec, s[30:31]
	v_add_u32_e32 v14, 0x80, v14
	global_store_dword v0, v3, s[0:1]
	s_or_b64 exec, exec, s[28:29]
	v_cmp_gt_i32_e32 vcc, s46, v14
	s_and_saveexec_b64 s[28:29], vcc
	s_cbranch_execz .LBB71_97
.LBB71_74:
	s_andn2_b64 vcc, exec, s[6:7]
	s_cbranch_vccnz .LBB71_81
; %bb.75:
	s_andn2_b64 vcc, exec, s[26:27]
	v_mov_b32_e32 v4, 0
	v_mov_b32_e32 v2, 0
	;; [unrolled: 1-line block ×3, first 2 shown]
	s_cbranch_vccnz .LBB71_80
; %bb.76:
	s_add_i32 s26, s45, 1
	s_and_b32 s30, s26, 30
	s_add_u32 s26, s4, 0xffffffec
	s_addc_u32 s27, s5, -1
	v_mov_b32_e32 v0, 0
	v_mov_b32_e32 v1, v14
	;; [unrolled: 1-line block ×4, first 2 shown]
.LBB71_77:                              ; =>This Inner Loop Header: Depth=1
	s_mov_b64 s[34:35], s[26:27]
	s_load_dwordx4 s[36:39], s[34:35], 0x18
	s_load_dwordx2 s[46:47], s[34:35], 0x28
	s_load_dwordx2 s[48:49], s[34:35], 0xe8
	s_load_dwordx4 s[40:43], s[34:35], 0xd8
	s_add_u32 s26, s34, 24
	s_waitcnt lgkmcnt(0)
	v_mul_hi_u32 v3, s37, v1
	v_add_u32_e32 v3, v1, v3
	v_lshrrev_b32_e32 v3, s38, v3
	v_mul_lo_u32 v5, v3, s36
	v_mul_hi_u32 v6, s46, v3
	v_sub_u32_e32 v1, v1, v5
	v_add_u32_e32 v5, v3, v6
	v_mul_lo_u32 v6, v1, s40
	v_mul_lo_u32 v7, v1, s41
	;; [unrolled: 1-line block ×3, first 2 shown]
	v_lshrrev_b32_e32 v1, s47, v5
	v_mul_lo_u32 v5, v1, s39
	v_sub_u32_e32 v3, v3, v5
	s_addc_u32 s27, s35, 0
	s_add_i32 s30, s30, -2
	v_mul_lo_u32 v5, v3, s43
	v_mul_lo_u32 v9, v3, s48
	;; [unrolled: 1-line block ×3, first 2 shown]
	s_cmp_eq_u32 s30, 0
	v_add3_u32 v0, v6, v0, v5
	v_add3_u32 v4, v8, v4, v3
	;; [unrolled: 1-line block ×3, first 2 shown]
	s_cbranch_scc0 .LBB71_77
; %bb.78:
	s_bitcmp1_b32 s45, 0
	s_cselect_b64 s[30:31], -1, 0
	s_and_b64 vcc, exec, s[30:31]
	s_cbranch_vccnz .LBB71_80
; %bb.79:
	s_load_dwordx2 s[30:31], s[26:27], 0x18
	s_load_dword s36, s[26:27], 0x20
	s_load_dword s37, s[26:27], 0xe0
	s_load_dwordx2 s[34:35], s[26:27], 0xd8
	s_waitcnt lgkmcnt(0)
	v_mul_hi_u32 v3, s31, v1
	v_add_u32_e32 v3, v1, v3
	v_lshrrev_b32_e32 v3, s36, v3
	v_mul_lo_u32 v3, v3, s30
	v_sub_u32_e32 v5, v1, v3
	v_mad_u64_u32 v[0:1], s[26:27], v5, s34, v[0:1]
	v_mad_u64_u32 v[2:3], s[26:27], v5, s35, v[2:3]
	;; [unrolled: 1-line block ×3, first 2 shown]
.LBB71_80:
	s_cbranch_execz .LBB71_82
	s_branch .LBB71_84
.LBB71_81:
                                        ; implicit-def: $vgpr4
                                        ; implicit-def: $vgpr2
                                        ; implicit-def: $vgpr0
.LBB71_82:
	s_waitcnt lgkmcnt(0)
	v_mul_hi_u32 v0, s13, v14
	v_add_u32_e32 v0, v14, v0
	v_lshrrev_b32_e32 v1, s14, v0
	v_mul_lo_u32 v0, v1, s12
	v_sub_u32_e32 v2, v14, v0
	v_mul_lo_u32 v0, v2, s8
	v_mul_lo_u32 v4, v2, s10
	s_andn2_b64 vcc, exec, s[24:25]
	v_mul_lo_u32 v2, v2, s9
	s_cbranch_vccnz .LBB71_84
; %bb.83:
	v_mul_hi_u32 v3, s22, v1
	v_add_u32_e32 v3, v1, v3
	v_lshrrev_b32_e32 v3, s23, v3
	v_mul_lo_u32 v3, v3, s15
	v_sub_u32_e32 v5, v1, v3
	v_mad_u64_u32 v[0:1], s[8:9], v5, s11, v[0:1]
	v_mad_u64_u32 v[2:3], s[8:9], v5, s20, v[2:3]
	;; [unrolled: 1-line block ×3, first 2 shown]
.LBB71_84:
	s_waitcnt lgkmcnt(0)
	global_load_dword v1, v4, s[18:19]
	s_mov_b32 s8, 0x2f800000
	s_mov_b32 s9, 0xcf800000
	s_waitcnt vmcnt(0)
	v_trunc_f32_e32 v1, v1
	v_mul_f32_e64 v3, |v1|, s8
	v_floor_f32_e32 v3, v3
	v_fma_f32 v4, v3, s9, |v1|
	v_cvt_u32_f32_e32 v4, v4
	v_cvt_u32_f32_e32 v3, v3
	v_ashrrev_i32_e32 v1, 31, v1
	v_xor_b32_e32 v4, v4, v1
	v_xor_b32_e32 v3, v3, v1
	v_sub_co_u32_e32 v4, vcc, v4, v1
	v_subb_co_u32_e32 v5, vcc, v3, v1, vcc
	v_cmp_lt_i64_e32 vcc, -1, v[4:5]
	v_mov_b32_e32 v3, 0
	s_and_saveexec_b64 s[8:9], vcc
	s_cbranch_execz .LBB71_96
; %bb.85:
	v_cmp_lt_i64_e32 vcc, 0, v[4:5]
	v_mov_b32_e32 v3, 1.0
	s_and_saveexec_b64 s[10:11], vcc
	s_cbranch_execz .LBB71_95
; %bb.86:
	global_load_ushort v1, v2, s[2:3]
	v_cmp_ne_u64_e32 vcc, 1, v[4:5]
                                        ; implicit-def: $vgpr3
	s_waitcnt vmcnt(0)
	v_cvt_f32_f16_e32 v1, v1
	s_and_saveexec_b64 s[2:3], vcc
	s_xor_b64 s[2:3], exec, s[2:3]
	s_cbranch_execz .LBB71_92
; %bb.87:
	s_mov_b64 s[12:13], 0x81
	v_cmp_gt_u64_e32 vcc, s[12:13], v[4:5]
	v_mov_b32_e32 v3, 0x7fc00000
	s_and_saveexec_b64 s[12:13], vcc
	s_cbranch_execz .LBB71_91
; %bb.88:
	s_mov_b64 s[18:19], 1
	s_mov_b64 s[14:15], 0
	v_mov_b32_e32 v2, 1.0
	v_mov_b32_e32 v3, v1
.LBB71_89:                              ; =>This Inner Loop Header: Depth=1
	s_flbit_i32_b32 s20, s19
	s_min_u32 s22, s20, 32
	s_lshl_b64 s[20:21], s[18:19], s22
	s_min_u32 s20, s20, 1
	s_or_b32 s20, s21, s20
	v_cvt_f32_u32_e32 v6, s20
	s_sub_i32 s22, 32, s22
	s_add_u32 s18, s18, 1
	s_addc_u32 s19, s19, 0
	v_ldexp_f32 v6, v6, s22
	v_cmp_eq_u64_e32 vcc, s[18:19], v[4:5]
	v_mul_f32_e32 v6, v2, v6
	s_or_b64 s[14:15], vcc, s[14:15]
	v_mov_b32_e32 v2, v3
	v_fma_f32 v3, v3, v1, -v6
	s_andn2_b64 exec, exec, s[14:15]
	s_cbranch_execnz .LBB71_89
; %bb.90:
	s_or_b64 exec, exec, s[14:15]
.LBB71_91:
	s_or_b64 exec, exec, s[12:13]
                                        ; implicit-def: $vgpr1
.LBB71_92:
	s_andn2_saveexec_b64 s[2:3], s[2:3]
; %bb.93:
	v_mov_b32_e32 v3, v1
; %bb.94:
	s_or_b64 exec, exec, s[2:3]
.LBB71_95:
	s_or_b64 exec, exec, s[10:11]
.LBB71_96:
	s_or_b64 exec, exec, s[8:9]
	global_store_dword v0, v3, s[0:1]
.LBB71_97:
	s_or_b64 exec, exec, s[28:29]
                                        ; implicit-def: $vgpr24
                                        ; implicit-def: $vgpr14
.LBB71_98:
	s_waitcnt lgkmcnt(0)
	s_andn2_saveexec_b64 s[0:1], s[16:17]
	s_cbranch_execz .LBB71_105
; %bb.99:
	v_cndmask_b32_e64 v0, 0, 1, s[6:7]
	v_cmp_ne_u32_e64 s[0:1], 1, v0
	s_andn2_b64 vcc, exec, s[6:7]
	s_cbranch_vccnz .LBB71_106
; %bb.100:
	s_cmp_lg_u32 s33, 0
	v_mov_b32_e32 v8, 0
	v_mov_b32_e32 v6, 0
	v_mov_b32_e32 v0, 0
	s_cbranch_scc0 .LBB71_107
; %bb.101:
	s_min_u32 s6, s44, 15
	s_add_i32 s2, s6, 1
	s_and_b32 s7, s2, 30
	s_add_u32 s2, s4, 0xffffffec
	s_addc_u32 s3, s5, -1
	v_mov_b32_e32 v0, 0
	v_mov_b32_e32 v1, v14
	;; [unrolled: 1-line block ×4, first 2 shown]
.LBB71_102:                             ; =>This Inner Loop Header: Depth=1
	s_mov_b64 s[16:17], s[2:3]
	s_load_dwordx4 s[8:11], s[16:17], 0x18
	s_load_dwordx2 s[18:19], s[16:17], 0x28
	s_load_dwordx2 s[20:21], s[16:17], 0xe8
	s_load_dwordx4 s[12:15], s[16:17], 0xd8
	s_add_u32 s2, s16, 24
	s_waitcnt lgkmcnt(0)
	v_mul_hi_u32 v2, s9, v1
	v_add_u32_e32 v2, v1, v2
	v_lshrrev_b32_e32 v2, s10, v2
	v_mul_lo_u32 v3, v2, s8
	v_mul_hi_u32 v4, s18, v2
	v_sub_u32_e32 v1, v1, v3
	v_add_u32_e32 v3, v2, v4
	v_mul_lo_u32 v4, v1, s12
	v_mul_lo_u32 v5, v1, s13
	;; [unrolled: 1-line block ×3, first 2 shown]
	v_lshrrev_b32_e32 v1, s19, v3
	v_mul_lo_u32 v3, v1, s11
	v_sub_u32_e32 v2, v2, v3
	s_addc_u32 s3, s17, 0
	s_add_i32 s7, s7, -2
	v_mul_lo_u32 v3, v2, s15
	v_mul_lo_u32 v9, v2, s20
	;; [unrolled: 1-line block ×3, first 2 shown]
	s_cmp_lg_u32 s7, 0
	v_add3_u32 v0, v4, v0, v3
	v_add3_u32 v8, v7, v8, v2
	;; [unrolled: 1-line block ×3, first 2 shown]
	s_cbranch_scc1 .LBB71_102
; %bb.103:
	s_bitcmp1_b32 s6, 0
	s_cselect_b64 s[6:7], -1, 0
	s_and_b64 vcc, exec, s[6:7]
	s_cbranch_vccnz .LBB71_107
; %bb.104:
	s_load_dwordx2 s[6:7], s[2:3], 0x18
	s_load_dword s10, s[2:3], 0x20
	s_load_dword s11, s[2:3], 0xe0
	s_load_dwordx2 s[8:9], s[2:3], 0xd8
	s_waitcnt lgkmcnt(0)
	v_mul_hi_u32 v2, s7, v1
	v_add_u32_e32 v2, v1, v2
	v_lshrrev_b32_e32 v2, s10, v2
	v_mul_lo_u32 v2, v2, s6
	v_sub_u32_e32 v2, v1, v2
	v_mad_u64_u32 v[0:1], s[2:3], v2, s8, v[0:1]
	v_mad_u64_u32 v[6:7], s[2:3], v2, s9, v[6:7]
	;; [unrolled: 1-line block ×3, first 2 shown]
	s_cbranch_execz .LBB71_108
	s_branch .LBB71_110
.LBB71_105:
	s_endpgm
.LBB71_106:
                                        ; implicit-def: $vgpr8
                                        ; implicit-def: $vgpr6
                                        ; implicit-def: $vgpr0
	s_branch .LBB71_108
.LBB71_107:
	s_cbranch_execnz .LBB71_110
.LBB71_108:
	s_load_dwordx4 s[8:11], s[4:5], 0x4
	s_load_dwordx4 s[12:15], s[4:5], 0xc4
	s_cmp_lt_u32 s33, 2
	s_waitcnt lgkmcnt(0)
	v_mul_hi_u32 v0, s9, v14
	v_add_u32_e32 v0, v14, v0
	v_lshrrev_b32_e32 v1, s10, v0
	v_mul_lo_u32 v0, v1, s8
	v_sub_u32_e32 v2, v14, v0
	v_mul_lo_u32 v0, v2, s12
	v_mul_lo_u32 v8, v2, s14
	;; [unrolled: 1-line block ×3, first 2 shown]
	s_cbranch_scc1 .LBB71_110
; %bb.109:
	s_load_dwordx4 s[8:11], s[4:5], 0x10
	s_load_dwordx4 s[12:15], s[4:5], 0xd0
	s_waitcnt lgkmcnt(0)
	v_mul_hi_u32 v2, s9, v1
	v_add_u32_e32 v2, v1, v2
	v_lshrrev_b32_e32 v2, s10, v2
	v_mul_lo_u32 v2, v2, s8
	v_sub_u32_e32 v2, v1, v2
	v_mad_u64_u32 v[0:1], s[2:3], v2, s12, v[0:1]
	v_mad_u64_u32 v[6:7], s[2:3], v2, s13, v[6:7]
	;; [unrolled: 1-line block ×3, first 2 shown]
.LBB71_110:
	s_and_b64 vcc, exec, s[0:1]
	v_add_u32_e32 v1, 0x80, v14
	s_cbranch_vccnz .LBB71_116
; %bb.111:
	s_cmp_lg_u32 s33, 0
	v_mov_b32_e32 v12, 0
	v_mov_b32_e32 v10, 0
	;; [unrolled: 1-line block ×3, first 2 shown]
	s_cbranch_scc0 .LBB71_117
; %bb.112:
	s_min_u32 s6, s44, 15
	s_add_i32 s2, s6, 1
	s_and_b32 s7, s2, 30
	s_add_u32 s2, s4, 0xffffffec
	s_addc_u32 s3, s5, -1
	v_mov_b32_e32 v2, 0
	v_mov_b32_e32 v3, v1
	;; [unrolled: 1-line block ×4, first 2 shown]
.LBB71_113:                             ; =>This Inner Loop Header: Depth=1
	s_mov_b64 s[16:17], s[2:3]
	s_load_dwordx4 s[8:11], s[16:17], 0x18
	s_load_dwordx2 s[18:19], s[16:17], 0x28
	s_load_dwordx2 s[20:21], s[16:17], 0xe8
	s_load_dwordx4 s[12:15], s[16:17], 0xd8
	s_add_u32 s2, s16, 24
	s_waitcnt lgkmcnt(0)
	v_mul_hi_u32 v4, s9, v3
	v_add_u32_e32 v4, v3, v4
	v_lshrrev_b32_e32 v4, s10, v4
	v_mul_lo_u32 v5, v4, s8
	v_mul_hi_u32 v7, s18, v4
	v_sub_u32_e32 v3, v3, v5
	v_add_u32_e32 v5, v4, v7
	v_mul_lo_u32 v7, v3, s12
	v_mul_lo_u32 v9, v3, s13
	;; [unrolled: 1-line block ×3, first 2 shown]
	v_lshrrev_b32_e32 v3, s19, v5
	v_mul_lo_u32 v5, v3, s11
	v_sub_u32_e32 v4, v4, v5
	s_addc_u32 s3, s17, 0
	s_add_i32 s7, s7, -2
	v_mul_lo_u32 v5, v4, s15
	v_mul_lo_u32 v13, v4, s20
	;; [unrolled: 1-line block ×3, first 2 shown]
	s_cmp_lg_u32 s7, 0
	v_add3_u32 v2, v7, v2, v5
	v_add3_u32 v12, v11, v12, v4
	;; [unrolled: 1-line block ×3, first 2 shown]
	s_cbranch_scc1 .LBB71_113
; %bb.114:
	s_bitcmp1_b32 s6, 0
	s_cselect_b64 s[6:7], -1, 0
	s_and_b64 vcc, exec, s[6:7]
	s_cbranch_vccnz .LBB71_117
; %bb.115:
	s_load_dwordx2 s[6:7], s[2:3], 0x18
	s_load_dword s10, s[2:3], 0x20
	s_load_dword s11, s[2:3], 0xe0
	s_load_dwordx2 s[8:9], s[2:3], 0xd8
	s_waitcnt lgkmcnt(0)
	v_mul_hi_u32 v4, s7, v3
	v_add_u32_e32 v4, v3, v4
	v_lshrrev_b32_e32 v4, s10, v4
	v_mul_lo_u32 v4, v4, s6
	v_sub_u32_e32 v4, v3, v4
	v_mad_u64_u32 v[2:3], s[2:3], v4, s8, v[2:3]
	v_mad_u64_u32 v[10:11], s[2:3], v4, s9, v[10:11]
	;; [unrolled: 1-line block ×3, first 2 shown]
	s_cbranch_execz .LBB71_118
	s_branch .LBB71_120
.LBB71_116:
                                        ; implicit-def: $vgpr12
                                        ; implicit-def: $vgpr10
                                        ; implicit-def: $vgpr2
	s_branch .LBB71_118
.LBB71_117:
	s_cbranch_execnz .LBB71_120
.LBB71_118:
	s_load_dwordx4 s[8:11], s[4:5], 0x4
	s_load_dwordx4 s[12:15], s[4:5], 0xc4
	s_cmp_lt_u32 s33, 2
	s_waitcnt lgkmcnt(0)
	v_mul_hi_u32 v2, s9, v1
	v_add_u32_e32 v2, v1, v2
	v_lshrrev_b32_e32 v3, s10, v2
	v_mul_lo_u32 v2, v3, s8
	v_sub_u32_e32 v1, v1, v2
	v_mul_lo_u32 v2, v1, s12
	v_mul_lo_u32 v12, v1, s14
	;; [unrolled: 1-line block ×3, first 2 shown]
	s_cbranch_scc1 .LBB71_120
; %bb.119:
	s_load_dwordx4 s[8:11], s[4:5], 0x10
	s_load_dwordx4 s[12:15], s[4:5], 0xd0
	s_waitcnt lgkmcnt(0)
	v_mul_hi_u32 v1, s9, v3
	v_add_u32_e32 v1, v3, v1
	v_lshrrev_b32_e32 v1, s10, v1
	v_mul_lo_u32 v1, v1, s8
	v_sub_u32_e32 v1, v3, v1
	v_mad_u64_u32 v[2:3], s[2:3], v1, s12, v[2:3]
	v_mad_u64_u32 v[10:11], s[2:3], v1, s13, v[10:11]
	;; [unrolled: 1-line block ×3, first 2 shown]
.LBB71_120:
	s_and_b64 vcc, exec, s[0:1]
	v_add_u32_e32 v1, 0x100, v14
	s_cbranch_vccnz .LBB71_126
; %bb.121:
	s_cmp_lg_u32 s33, 0
	v_mov_b32_e32 v18, 0
	v_mov_b32_e32 v16, 0
	;; [unrolled: 1-line block ×3, first 2 shown]
	s_cbranch_scc0 .LBB71_127
; %bb.122:
	s_min_u32 s6, s44, 15
	s_add_i32 s2, s6, 1
	s_and_b32 s7, s2, 30
	s_add_u32 s2, s4, 0xffffffec
	s_addc_u32 s3, s5, -1
	v_mov_b32_e32 v4, 0
	v_mov_b32_e32 v3, v1
	;; [unrolled: 1-line block ×4, first 2 shown]
.LBB71_123:                             ; =>This Inner Loop Header: Depth=1
	s_mov_b64 s[16:17], s[2:3]
	s_load_dwordx4 s[8:11], s[16:17], 0x18
	s_load_dwordx2 s[18:19], s[16:17], 0x28
	s_load_dwordx2 s[20:21], s[16:17], 0xe8
	s_load_dwordx4 s[12:15], s[16:17], 0xd8
	s_add_u32 s2, s16, 24
	s_waitcnt lgkmcnt(0)
	v_mul_hi_u32 v5, s9, v3
	v_add_u32_e32 v5, v3, v5
	v_lshrrev_b32_e32 v5, s10, v5
	v_mul_lo_u32 v7, v5, s8
	v_mul_hi_u32 v9, s18, v5
	v_sub_u32_e32 v3, v3, v7
	v_add_u32_e32 v7, v5, v9
	v_mul_lo_u32 v9, v3, s12
	v_mul_lo_u32 v11, v3, s13
	;; [unrolled: 1-line block ×3, first 2 shown]
	v_lshrrev_b32_e32 v3, s19, v7
	v_mul_lo_u32 v7, v3, s11
	v_sub_u32_e32 v5, v5, v7
	s_addc_u32 s3, s17, 0
	s_add_i32 s7, s7, -2
	v_mul_lo_u32 v7, v5, s15
	v_mul_lo_u32 v14, v5, s20
	;; [unrolled: 1-line block ×3, first 2 shown]
	s_cmp_lg_u32 s7, 0
	v_add3_u32 v4, v9, v4, v7
	v_add3_u32 v18, v13, v18, v5
	;; [unrolled: 1-line block ×3, first 2 shown]
	s_cbranch_scc1 .LBB71_123
; %bb.124:
	s_bitcmp1_b32 s6, 0
	s_cselect_b64 s[6:7], -1, 0
	s_and_b64 vcc, exec, s[6:7]
	s_cbranch_vccnz .LBB71_127
; %bb.125:
	s_load_dwordx2 s[6:7], s[2:3], 0x18
	s_load_dword s10, s[2:3], 0x20
	s_load_dword s11, s[2:3], 0xe0
	s_load_dwordx2 s[8:9], s[2:3], 0xd8
	s_waitcnt lgkmcnt(0)
	v_mul_hi_u32 v5, s7, v3
	v_add_u32_e32 v5, v3, v5
	v_lshrrev_b32_e32 v5, s10, v5
	v_mul_lo_u32 v5, v5, s6
	v_sub_u32_e32 v3, v3, v5
	v_mad_u64_u32 v[4:5], s[2:3], v3, s8, v[4:5]
	v_mad_u64_u32 v[16:17], s[2:3], v3, s9, v[16:17]
	;; [unrolled: 1-line block ×3, first 2 shown]
	s_cbranch_execz .LBB71_128
	s_branch .LBB71_130
.LBB71_126:
                                        ; implicit-def: $vgpr18
                                        ; implicit-def: $vgpr16
                                        ; implicit-def: $vgpr4
	s_branch .LBB71_128
.LBB71_127:
	s_cbranch_execnz .LBB71_130
.LBB71_128:
	s_load_dwordx4 s[8:11], s[4:5], 0x4
	s_load_dwordx4 s[12:15], s[4:5], 0xc4
	s_cmp_lt_u32 s33, 2
	s_waitcnt lgkmcnt(0)
	v_mul_hi_u32 v3, s9, v1
	v_add_u32_e32 v3, v1, v3
	v_lshrrev_b32_e32 v3, s10, v3
	v_mul_lo_u32 v4, v3, s8
	v_sub_u32_e32 v1, v1, v4
	v_mul_lo_u32 v4, v1, s12
	v_mul_lo_u32 v18, v1, s14
	;; [unrolled: 1-line block ×3, first 2 shown]
	s_cbranch_scc1 .LBB71_130
; %bb.129:
	s_load_dwordx4 s[8:11], s[4:5], 0x10
	s_load_dwordx4 s[12:15], s[4:5], 0xd0
	s_waitcnt lgkmcnt(0)
	v_mul_hi_u32 v1, s9, v3
	v_add_u32_e32 v1, v3, v1
	v_lshrrev_b32_e32 v1, s10, v1
	v_mul_lo_u32 v1, v1, s8
	v_sub_u32_e32 v1, v3, v1
	v_mad_u64_u32 v[4:5], s[2:3], v1, s12, v[4:5]
	v_mad_u64_u32 v[16:17], s[2:3], v1, s13, v[16:17]
	;; [unrolled: 1-line block ×3, first 2 shown]
.LBB71_130:
	s_and_b64 vcc, exec, s[0:1]
	s_cbranch_vccnz .LBB71_136
; %bb.131:
	s_cmp_lg_u32 s33, 0
	v_mov_b32_e32 v22, 0
	v_mov_b32_e32 v20, 0
	;; [unrolled: 1-line block ×3, first 2 shown]
	s_cbranch_scc0 .LBB71_137
; %bb.132:
	s_min_u32 s2, s44, 15
	s_add_i32 s0, s2, 1
	s_and_b32 s3, s0, 30
	s_add_u32 s0, s4, 0xffffffec
	s_addc_u32 s1, s5, -1
	v_mov_b32_e32 v14, 0
	v_mov_b32_e32 v1, v24
	;; [unrolled: 1-line block ×4, first 2 shown]
.LBB71_133:                             ; =>This Inner Loop Header: Depth=1
	s_mov_b64 s[6:7], s[0:1]
	s_load_dwordx4 s[8:11], s[6:7], 0x18
	s_load_dwordx2 s[16:17], s[6:7], 0x28
	s_load_dwordx2 s[18:19], s[6:7], 0xe8
	s_load_dwordx4 s[12:15], s[6:7], 0xd8
	s_add_u32 s0, s6, 24
	s_waitcnt lgkmcnt(0)
	v_mul_hi_u32 v3, s9, v1
	v_add_u32_e32 v3, v1, v3
	v_lshrrev_b32_e32 v3, s10, v3
	v_mul_lo_u32 v5, v3, s8
	v_mul_hi_u32 v7, s16, v3
	v_sub_u32_e32 v1, v1, v5
	v_add_u32_e32 v5, v3, v7
	v_mul_lo_u32 v7, v1, s12
	v_mul_lo_u32 v9, v1, s13
	;; [unrolled: 1-line block ×3, first 2 shown]
	v_lshrrev_b32_e32 v1, s17, v5
	v_mul_lo_u32 v5, v1, s11
	v_sub_u32_e32 v3, v3, v5
	s_addc_u32 s1, s7, 0
	s_add_i32 s3, s3, -2
	v_mul_lo_u32 v5, v3, s15
	v_mul_lo_u32 v13, v3, s18
	;; [unrolled: 1-line block ×3, first 2 shown]
	s_cmp_lg_u32 s3, 0
	v_add3_u32 v14, v7, v14, v5
	v_add3_u32 v22, v11, v22, v3
	;; [unrolled: 1-line block ×3, first 2 shown]
	s_cbranch_scc1 .LBB71_133
; %bb.134:
	s_bitcmp1_b32 s2, 0
	s_cselect_b64 s[2:3], -1, 0
	s_and_b64 vcc, exec, s[2:3]
	s_cbranch_vccnz .LBB71_137
; %bb.135:
	s_load_dwordx2 s[2:3], s[0:1], 0x18
	s_load_dword s8, s[0:1], 0x20
	s_load_dword s9, s[0:1], 0xe0
	s_load_dwordx2 s[6:7], s[0:1], 0xd8
	s_waitcnt lgkmcnt(0)
	v_mul_hi_u32 v3, s3, v1
	v_add_u32_e32 v3, v1, v3
	v_lshrrev_b32_e32 v3, s8, v3
	v_mul_lo_u32 v3, v3, s2
	v_sub_u32_e32 v1, v1, v3
	v_mad_u64_u32 v[14:15], s[0:1], v1, s6, v[14:15]
	v_mad_u64_u32 v[20:21], s[0:1], v1, s7, v[20:21]
	;; [unrolled: 1-line block ×3, first 2 shown]
	s_cbranch_execz .LBB71_138
	s_branch .LBB71_140
.LBB71_136:
                                        ; implicit-def: $vgpr22
                                        ; implicit-def: $vgpr20
                                        ; implicit-def: $vgpr14
	s_branch .LBB71_138
.LBB71_137:
	s_cbranch_execnz .LBB71_140
.LBB71_138:
	s_load_dwordx4 s[0:3], s[4:5], 0x4
	s_load_dwordx4 s[8:11], s[4:5], 0xc4
	s_cmp_lt_u32 s33, 2
	s_waitcnt lgkmcnt(0)
	v_mul_hi_u32 v1, s1, v24
	v_add_u32_e32 v1, v24, v1
	v_lshrrev_b32_e32 v1, s2, v1
	v_mul_lo_u32 v3, v1, s0
	v_sub_u32_e32 v3, v24, v3
	v_mul_lo_u32 v14, v3, s8
	v_mul_lo_u32 v22, v3, s10
	;; [unrolled: 1-line block ×3, first 2 shown]
	s_cbranch_scc1 .LBB71_140
; %bb.139:
	s_load_dwordx4 s[0:3], s[4:5], 0x10
	s_load_dwordx4 s[8:11], s[4:5], 0xd0
	s_waitcnt lgkmcnt(0)
	v_mul_hi_u32 v3, s1, v1
	v_add_u32_e32 v3, v1, v3
	v_lshrrev_b32_e32 v3, s2, v3
	v_mul_lo_u32 v3, v3, s0
	v_sub_u32_e32 v1, v1, v3
	v_mad_u64_u32 v[14:15], s[0:1], v1, s8, v[14:15]
	v_mad_u64_u32 v[20:21], s[0:1], v1, s9, v[20:21]
	;; [unrolled: 1-line block ×3, first 2 shown]
.LBB71_140:
	s_load_dwordx2 s[6:7], s[4:5], 0x198
	s_mov_b32 s0, 0x2f800000
	s_mov_b32 s1, 0xcf800000
	s_waitcnt lgkmcnt(0)
	global_load_dword v1, v8, s[6:7]
	s_waitcnt vmcnt(0)
	v_trunc_f32_e32 v1, v1
	v_mul_f32_e64 v3, |v1|, s0
	v_floor_f32_e32 v3, v3
	v_fma_f32 v5, v3, s1, |v1|
	v_cvt_u32_f32_e32 v5, v5
	v_cvt_u32_f32_e32 v3, v3
	s_load_dwordx4 s[0:3], s[4:5], 0x188
	v_ashrrev_i32_e32 v1, 31, v1
	v_xor_b32_e32 v5, v5, v1
	v_xor_b32_e32 v3, v3, v1
	v_sub_co_u32_e32 v8, vcc, v5, v1
	v_subb_co_u32_e32 v9, vcc, v3, v1, vcc
	v_cmp_lt_i64_e32 vcc, -1, v[8:9]
	v_mov_b32_e32 v1, 0
	s_and_saveexec_b64 s[4:5], vcc
	s_cbranch_execz .LBB71_152
; %bb.141:
	v_cmp_lt_i64_e32 vcc, 0, v[8:9]
	v_mov_b32_e32 v1, 1.0
	s_and_saveexec_b64 s[8:9], vcc
	s_cbranch_execz .LBB71_151
; %bb.142:
	s_waitcnt lgkmcnt(0)
	global_load_ushort v1, v6, s[2:3]
	v_cmp_ne_u64_e32 vcc, 1, v[8:9]
	s_waitcnt vmcnt(0)
	v_cvt_f32_f16_e32 v3, v1
                                        ; implicit-def: $vgpr1
	s_and_saveexec_b64 s[10:11], vcc
	s_xor_b64 s[10:11], exec, s[10:11]
	s_cbranch_execz .LBB71_148
; %bb.143:
	s_mov_b64 s[12:13], 0x81
	v_cmp_gt_u64_e32 vcc, s[12:13], v[8:9]
	v_mov_b32_e32 v1, 0x7fc00000
	s_and_saveexec_b64 s[12:13], vcc
	s_cbranch_execz .LBB71_147
; %bb.144:
	s_mov_b64 s[16:17], 1
	s_mov_b64 s[14:15], 0
	v_mov_b32_e32 v5, 1.0
	v_mov_b32_e32 v1, v3
.LBB71_145:                             ; =>This Inner Loop Header: Depth=1
	s_flbit_i32_b32 s18, s17
	s_min_u32 s20, s18, 32
	s_lshl_b64 s[18:19], s[16:17], s20
	s_min_u32 s18, s18, 1
	s_or_b32 s18, s19, s18
	v_cvt_f32_u32_e32 v6, s18
	s_sub_i32 s20, 32, s20
	s_add_u32 s16, s16, 1
	s_addc_u32 s17, s17, 0
	v_ldexp_f32 v6, v6, s20
	v_cmp_eq_u64_e32 vcc, s[16:17], v[8:9]
	v_mul_f32_e32 v6, v5, v6
	s_or_b64 s[14:15], vcc, s[14:15]
	v_mov_b32_e32 v5, v1
	v_fma_f32 v1, v1, v3, -v6
	s_andn2_b64 exec, exec, s[14:15]
	s_cbranch_execnz .LBB71_145
; %bb.146:
	s_or_b64 exec, exec, s[14:15]
.LBB71_147:
	s_or_b64 exec, exec, s[12:13]
                                        ; implicit-def: $vgpr3
.LBB71_148:
	s_andn2_saveexec_b64 s[10:11], s[10:11]
; %bb.149:
	v_mov_b32_e32 v1, v3
; %bb.150:
	s_or_b64 exec, exec, s[10:11]
.LBB71_151:
	s_or_b64 exec, exec, s[8:9]
.LBB71_152:
	s_or_b64 exec, exec, s[4:5]
	global_load_dword v3, v12, s[6:7]
	s_mov_b32 s4, 0x2f800000
	s_mov_b32 s5, 0xcf800000
	s_waitcnt vmcnt(0)
	v_trunc_f32_e32 v3, v3
	v_mul_f32_e64 v5, |v3|, s4
	v_floor_f32_e32 v5, v5
	v_fma_f32 v6, v5, s5, |v3|
	v_cvt_u32_f32_e32 v6, v6
	v_cvt_u32_f32_e32 v5, v5
	v_ashrrev_i32_e32 v3, 31, v3
	v_xor_b32_e32 v6, v6, v3
	v_xor_b32_e32 v5, v5, v3
	v_sub_co_u32_e32 v6, vcc, v6, v3
	v_subb_co_u32_e32 v7, vcc, v5, v3, vcc
	v_cmp_lt_i64_e32 vcc, -1, v[6:7]
	v_mov_b32_e32 v3, 0
	s_and_saveexec_b64 s[4:5], vcc
	s_cbranch_execz .LBB71_164
; %bb.153:
	v_cmp_lt_i64_e32 vcc, 0, v[6:7]
	v_mov_b32_e32 v3, 1.0
	s_and_saveexec_b64 s[8:9], vcc
	s_cbranch_execz .LBB71_163
; %bb.154:
	s_waitcnt lgkmcnt(0)
	global_load_ushort v3, v10, s[2:3]
	v_cmp_ne_u64_e32 vcc, 1, v[6:7]
	s_waitcnt vmcnt(0)
	v_cvt_f32_f16_e32 v5, v3
                                        ; implicit-def: $vgpr3
	s_and_saveexec_b64 s[10:11], vcc
	s_xor_b64 s[10:11], exec, s[10:11]
	s_cbranch_execz .LBB71_160
; %bb.155:
	s_mov_b64 s[12:13], 0x81
	v_cmp_gt_u64_e32 vcc, s[12:13], v[6:7]
	v_mov_b32_e32 v3, 0x7fc00000
	s_and_saveexec_b64 s[12:13], vcc
	s_cbranch_execz .LBB71_159
; %bb.156:
	s_mov_b64 s[16:17], 1
	s_mov_b64 s[14:15], 0
	v_mov_b32_e32 v8, 1.0
	v_mov_b32_e32 v3, v5
.LBB71_157:                             ; =>This Inner Loop Header: Depth=1
	s_flbit_i32_b32 s18, s17
	s_min_u32 s20, s18, 32
	s_lshl_b64 s[18:19], s[16:17], s20
	s_min_u32 s18, s18, 1
	s_or_b32 s18, s19, s18
	v_cvt_f32_u32_e32 v9, s18
	s_sub_i32 s20, 32, s20
	s_add_u32 s16, s16, 1
	s_addc_u32 s17, s17, 0
	v_ldexp_f32 v9, v9, s20
	v_cmp_eq_u64_e32 vcc, s[16:17], v[6:7]
	v_mul_f32_e32 v9, v8, v9
	s_or_b64 s[14:15], vcc, s[14:15]
	v_mov_b32_e32 v8, v3
	v_fma_f32 v3, v3, v5, -v9
	s_andn2_b64 exec, exec, s[14:15]
	s_cbranch_execnz .LBB71_157
; %bb.158:
	s_or_b64 exec, exec, s[14:15]
.LBB71_159:
	s_or_b64 exec, exec, s[12:13]
                                        ; implicit-def: $vgpr5
.LBB71_160:
	s_andn2_saveexec_b64 s[10:11], s[10:11]
; %bb.161:
	v_mov_b32_e32 v3, v5
; %bb.162:
	s_or_b64 exec, exec, s[10:11]
.LBB71_163:
	s_or_b64 exec, exec, s[8:9]
.LBB71_164:
	s_or_b64 exec, exec, s[4:5]
	global_load_dword v5, v18, s[6:7]
	s_mov_b32 s4, 0x2f800000
	s_mov_b32 s5, 0xcf800000
	s_waitcnt vmcnt(0)
	v_trunc_f32_e32 v5, v5
	v_mul_f32_e64 v6, |v5|, s4
	v_floor_f32_e32 v6, v6
	v_fma_f32 v7, v6, s5, |v5|
	v_cvt_u32_f32_e32 v6, v6
	v_cvt_u32_f32_e32 v7, v7
	v_ashrrev_i32_e32 v5, 31, v5
	v_xor_b32_e32 v8, v6, v5
	v_xor_b32_e32 v6, v7, v5
	v_sub_co_u32_e32 v6, vcc, v6, v5
	v_subb_co_u32_e32 v7, vcc, v8, v5, vcc
	v_cmp_lt_i64_e32 vcc, -1, v[6:7]
	v_mov_b32_e32 v5, 0
	s_and_saveexec_b64 s[4:5], vcc
	s_cbranch_execz .LBB71_176
; %bb.165:
	v_cmp_lt_i64_e32 vcc, 0, v[6:7]
	v_mov_b32_e32 v5, 1.0
	s_and_saveexec_b64 s[8:9], vcc
	s_cbranch_execz .LBB71_175
; %bb.166:
	s_waitcnt lgkmcnt(0)
	global_load_ushort v5, v16, s[2:3]
	v_cmp_ne_u64_e32 vcc, 1, v[6:7]
	s_waitcnt vmcnt(0)
	v_cvt_f32_f16_e32 v8, v5
                                        ; implicit-def: $vgpr5
	s_and_saveexec_b64 s[10:11], vcc
	s_xor_b64 s[10:11], exec, s[10:11]
	s_cbranch_execz .LBB71_172
; %bb.167:
	s_mov_b64 s[12:13], 0x81
	v_cmp_gt_u64_e32 vcc, s[12:13], v[6:7]
	v_mov_b32_e32 v5, 0x7fc00000
	s_and_saveexec_b64 s[12:13], vcc
	s_cbranch_execz .LBB71_171
; %bb.168:
	s_mov_b64 s[16:17], 1
	s_mov_b64 s[14:15], 0
	v_mov_b32_e32 v9, 1.0
	v_mov_b32_e32 v5, v8
.LBB71_169:                             ; =>This Inner Loop Header: Depth=1
	s_flbit_i32_b32 s18, s17
	s_min_u32 s20, s18, 32
	s_lshl_b64 s[18:19], s[16:17], s20
	s_min_u32 s18, s18, 1
	s_or_b32 s18, s19, s18
	v_cvt_f32_u32_e32 v10, s18
	s_sub_i32 s20, 32, s20
	s_add_u32 s16, s16, 1
	s_addc_u32 s17, s17, 0
	v_ldexp_f32 v10, v10, s20
	v_cmp_eq_u64_e32 vcc, s[16:17], v[6:7]
	v_mul_f32_e32 v10, v9, v10
	s_or_b64 s[14:15], vcc, s[14:15]
	v_mov_b32_e32 v9, v5
	v_fma_f32 v5, v5, v8, -v10
	s_andn2_b64 exec, exec, s[14:15]
	s_cbranch_execnz .LBB71_169
; %bb.170:
	s_or_b64 exec, exec, s[14:15]
.LBB71_171:
	s_or_b64 exec, exec, s[12:13]
                                        ; implicit-def: $vgpr8
.LBB71_172:
	s_andn2_saveexec_b64 s[10:11], s[10:11]
; %bb.173:
	v_mov_b32_e32 v5, v8
; %bb.174:
	s_or_b64 exec, exec, s[10:11]
.LBB71_175:
	s_or_b64 exec, exec, s[8:9]
.LBB71_176:
	s_or_b64 exec, exec, s[4:5]
	global_load_dword v6, v22, s[6:7]
	s_mov_b32 s4, 0x2f800000
	s_mov_b32 s5, 0xcf800000
	s_waitcnt vmcnt(0)
	v_trunc_f32_e32 v6, v6
	v_mul_f32_e64 v7, |v6|, s4
	v_floor_f32_e32 v7, v7
	v_fma_f32 v8, v7, s5, |v6|
	v_cvt_u32_f32_e32 v8, v8
	v_cvt_u32_f32_e32 v7, v7
	v_ashrrev_i32_e32 v9, 31, v6
	v_xor_b32_e32 v6, v8, v9
	v_xor_b32_e32 v7, v7, v9
	v_sub_co_u32_e32 v6, vcc, v6, v9
	v_subb_co_u32_e32 v7, vcc, v7, v9, vcc
	v_cmp_lt_i64_e32 vcc, -1, v[6:7]
	v_mov_b32_e32 v8, 0
	s_and_saveexec_b64 s[4:5], vcc
	s_cbranch_execz .LBB71_188
; %bb.177:
	v_cmp_lt_i64_e32 vcc, 0, v[6:7]
	v_mov_b32_e32 v8, 1.0
	s_and_saveexec_b64 s[6:7], vcc
	s_cbranch_execz .LBB71_187
; %bb.178:
	s_waitcnt lgkmcnt(0)
	global_load_ushort v8, v20, s[2:3]
	v_cmp_ne_u64_e32 vcc, 1, v[6:7]
	s_waitcnt vmcnt(0)
	v_cvt_f32_f16_e32 v9, v8
                                        ; implicit-def: $vgpr8
	s_and_saveexec_b64 s[2:3], vcc
	s_xor_b64 s[2:3], exec, s[2:3]
	s_cbranch_execz .LBB71_184
; %bb.179:
	s_mov_b64 s[8:9], 0x81
	v_cmp_gt_u64_e32 vcc, s[8:9], v[6:7]
	v_mov_b32_e32 v8, 0x7fc00000
	s_and_saveexec_b64 s[8:9], vcc
	s_cbranch_execz .LBB71_183
; %bb.180:
	s_mov_b64 s[12:13], 1
	s_mov_b64 s[10:11], 0
	v_mov_b32_e32 v10, 1.0
	v_mov_b32_e32 v8, v9
.LBB71_181:                             ; =>This Inner Loop Header: Depth=1
	s_flbit_i32_b32 s14, s13
	s_min_u32 s16, s14, 32
	s_lshl_b64 s[14:15], s[12:13], s16
	s_min_u32 s14, s14, 1
	s_or_b32 s14, s15, s14
	v_cvt_f32_u32_e32 v11, s14
	s_sub_i32 s16, 32, s16
	s_add_u32 s12, s12, 1
	s_addc_u32 s13, s13, 0
	v_ldexp_f32 v11, v11, s16
	v_cmp_eq_u64_e32 vcc, s[12:13], v[6:7]
	v_mul_f32_e32 v11, v10, v11
	s_or_b64 s[10:11], vcc, s[10:11]
	v_mov_b32_e32 v10, v8
	v_fma_f32 v8, v8, v9, -v11
	s_andn2_b64 exec, exec, s[10:11]
	s_cbranch_execnz .LBB71_181
; %bb.182:
	s_or_b64 exec, exec, s[10:11]
.LBB71_183:
	s_or_b64 exec, exec, s[8:9]
                                        ; implicit-def: $vgpr9
.LBB71_184:
	s_andn2_saveexec_b64 s[2:3], s[2:3]
; %bb.185:
	v_mov_b32_e32 v8, v9
; %bb.186:
	s_or_b64 exec, exec, s[2:3]
.LBB71_187:
	s_or_b64 exec, exec, s[6:7]
.LBB71_188:
	s_or_b64 exec, exec, s[4:5]
	s_waitcnt lgkmcnt(0)
	global_store_dword v0, v1, s[0:1]
	global_store_dword v2, v3, s[0:1]
	;; [unrolled: 1-line block ×4, first 2 shown]
	s_endpgm
	.section	.rodata,"a",@progbits
	.p2align	6, 0x0
	.amdhsa_kernel _ZN2at6native32elementwise_kernel_manual_unrollILi128ELi4EZNS0_12_GLOBAL__N_142type_specialized_broadcast_kernel_launcherILi4EE5applyINS0_13BinaryFunctorIfffZZZNS2_33hermite_polynomial_he_kernel_cudaERNS_18TensorIteratorBaseEENKUlvE_clEvENKUlvE0_clEvEUlffE_EESt5arrayIPcLm3EESD_IN3c1010ScalarTypeELm3EE16OffsetCalculatorILi3EjLb0EEEEvlT_T0_T1_T2_EUlibE_EEviSN_
		.amdhsa_group_segment_fixed_size 0
		.amdhsa_private_segment_fixed_size 0
		.amdhsa_kernarg_size 432
		.amdhsa_user_sgpr_count 6
		.amdhsa_user_sgpr_private_segment_buffer 1
		.amdhsa_user_sgpr_dispatch_ptr 0
		.amdhsa_user_sgpr_queue_ptr 0
		.amdhsa_user_sgpr_kernarg_segment_ptr 1
		.amdhsa_user_sgpr_dispatch_id 0
		.amdhsa_user_sgpr_flat_scratch_init 0
		.amdhsa_user_sgpr_kernarg_preload_length 0
		.amdhsa_user_sgpr_kernarg_preload_offset 0
		.amdhsa_user_sgpr_private_segment_size 0
		.amdhsa_uses_dynamic_stack 0
		.amdhsa_system_sgpr_private_segment_wavefront_offset 0
		.amdhsa_system_sgpr_workgroup_id_x 1
		.amdhsa_system_sgpr_workgroup_id_y 0
		.amdhsa_system_sgpr_workgroup_id_z 0
		.amdhsa_system_sgpr_workgroup_info 0
		.amdhsa_system_vgpr_workitem_id 0
		.amdhsa_next_free_vgpr 25
		.amdhsa_next_free_sgpr 54
		.amdhsa_accum_offset 28
		.amdhsa_reserve_vcc 1
		.amdhsa_reserve_flat_scratch 0
		.amdhsa_float_round_mode_32 0
		.amdhsa_float_round_mode_16_64 0
		.amdhsa_float_denorm_mode_32 3
		.amdhsa_float_denorm_mode_16_64 3
		.amdhsa_dx10_clamp 1
		.amdhsa_ieee_mode 1
		.amdhsa_fp16_overflow 0
		.amdhsa_tg_split 0
		.amdhsa_exception_fp_ieee_invalid_op 0
		.amdhsa_exception_fp_denorm_src 0
		.amdhsa_exception_fp_ieee_div_zero 0
		.amdhsa_exception_fp_ieee_overflow 0
		.amdhsa_exception_fp_ieee_underflow 0
		.amdhsa_exception_fp_ieee_inexact 0
		.amdhsa_exception_int_div_zero 0
	.end_amdhsa_kernel
	.section	.text._ZN2at6native32elementwise_kernel_manual_unrollILi128ELi4EZNS0_12_GLOBAL__N_142type_specialized_broadcast_kernel_launcherILi4EE5applyINS0_13BinaryFunctorIfffZZZNS2_33hermite_polynomial_he_kernel_cudaERNS_18TensorIteratorBaseEENKUlvE_clEvENKUlvE0_clEvEUlffE_EESt5arrayIPcLm3EESD_IN3c1010ScalarTypeELm3EE16OffsetCalculatorILi3EjLb0EEEEvlT_T0_T1_T2_EUlibE_EEviSN_,"axG",@progbits,_ZN2at6native32elementwise_kernel_manual_unrollILi128ELi4EZNS0_12_GLOBAL__N_142type_specialized_broadcast_kernel_launcherILi4EE5applyINS0_13BinaryFunctorIfffZZZNS2_33hermite_polynomial_he_kernel_cudaERNS_18TensorIteratorBaseEENKUlvE_clEvENKUlvE0_clEvEUlffE_EESt5arrayIPcLm3EESD_IN3c1010ScalarTypeELm3EE16OffsetCalculatorILi3EjLb0EEEEvlT_T0_T1_T2_EUlibE_EEviSN_,comdat
.Lfunc_end71:
	.size	_ZN2at6native32elementwise_kernel_manual_unrollILi128ELi4EZNS0_12_GLOBAL__N_142type_specialized_broadcast_kernel_launcherILi4EE5applyINS0_13BinaryFunctorIfffZZZNS2_33hermite_polynomial_he_kernel_cudaERNS_18TensorIteratorBaseEENKUlvE_clEvENKUlvE0_clEvEUlffE_EESt5arrayIPcLm3EESD_IN3c1010ScalarTypeELm3EE16OffsetCalculatorILi3EjLb0EEEEvlT_T0_T1_T2_EUlibE_EEviSN_, .Lfunc_end71-_ZN2at6native32elementwise_kernel_manual_unrollILi128ELi4EZNS0_12_GLOBAL__N_142type_specialized_broadcast_kernel_launcherILi4EE5applyINS0_13BinaryFunctorIfffZZZNS2_33hermite_polynomial_he_kernel_cudaERNS_18TensorIteratorBaseEENKUlvE_clEvENKUlvE0_clEvEUlffE_EESt5arrayIPcLm3EESD_IN3c1010ScalarTypeELm3EE16OffsetCalculatorILi3EjLb0EEEEvlT_T0_T1_T2_EUlibE_EEviSN_
                                        ; -- End function
	.section	.AMDGPU.csdata,"",@progbits
; Kernel info:
; codeLenInByte = 6816
; NumSgprs: 58
; NumVgprs: 25
; NumAgprs: 0
; TotalNumVgprs: 25
; ScratchSize: 0
; MemoryBound: 0
; FloatMode: 240
; IeeeMode: 1
; LDSByteSize: 0 bytes/workgroup (compile time only)
; SGPRBlocks: 7
; VGPRBlocks: 3
; NumSGPRsForWavesPerEU: 58
; NumVGPRsForWavesPerEU: 25
; AccumOffset: 28
; Occupancy: 8
; WaveLimiterHint : 1
; COMPUTE_PGM_RSRC2:SCRATCH_EN: 0
; COMPUTE_PGM_RSRC2:USER_SGPR: 6
; COMPUTE_PGM_RSRC2:TRAP_HANDLER: 0
; COMPUTE_PGM_RSRC2:TGID_X_EN: 1
; COMPUTE_PGM_RSRC2:TGID_Y_EN: 0
; COMPUTE_PGM_RSRC2:TGID_Z_EN: 0
; COMPUTE_PGM_RSRC2:TIDIG_COMP_CNT: 0
; COMPUTE_PGM_RSRC3_GFX90A:ACCUM_OFFSET: 6
; COMPUTE_PGM_RSRC3_GFX90A:TG_SPLIT: 0
	.section	.text._ZN2at6native32elementwise_kernel_manual_unrollILi128ELi4EZNS0_12_GLOBAL__N_142type_specialized_broadcast_kernel_launcherILi5EE5applyINS0_13BinaryFunctorIfffZZZNS2_33hermite_polynomial_he_kernel_cudaERNS_18TensorIteratorBaseEENKUlvE_clEvENKUlvE0_clEvEUlffE_EESt5arrayIPcLm3EESD_IN3c1010ScalarTypeELm3EE16OffsetCalculatorILi3EjLb0EEEEvlT_T0_T1_T2_EUlibE_EEviSN_,"axG",@progbits,_ZN2at6native32elementwise_kernel_manual_unrollILi128ELi4EZNS0_12_GLOBAL__N_142type_specialized_broadcast_kernel_launcherILi5EE5applyINS0_13BinaryFunctorIfffZZZNS2_33hermite_polynomial_he_kernel_cudaERNS_18TensorIteratorBaseEENKUlvE_clEvENKUlvE0_clEvEUlffE_EESt5arrayIPcLm3EESD_IN3c1010ScalarTypeELm3EE16OffsetCalculatorILi3EjLb0EEEEvlT_T0_T1_T2_EUlibE_EEviSN_,comdat
	.globl	_ZN2at6native32elementwise_kernel_manual_unrollILi128ELi4EZNS0_12_GLOBAL__N_142type_specialized_broadcast_kernel_launcherILi5EE5applyINS0_13BinaryFunctorIfffZZZNS2_33hermite_polynomial_he_kernel_cudaERNS_18TensorIteratorBaseEENKUlvE_clEvENKUlvE0_clEvEUlffE_EESt5arrayIPcLm3EESD_IN3c1010ScalarTypeELm3EE16OffsetCalculatorILi3EjLb0EEEEvlT_T0_T1_T2_EUlibE_EEviSN_ ; -- Begin function _ZN2at6native32elementwise_kernel_manual_unrollILi128ELi4EZNS0_12_GLOBAL__N_142type_specialized_broadcast_kernel_launcherILi5EE5applyINS0_13BinaryFunctorIfffZZZNS2_33hermite_polynomial_he_kernel_cudaERNS_18TensorIteratorBaseEENKUlvE_clEvENKUlvE0_clEvEUlffE_EESt5arrayIPcLm3EESD_IN3c1010ScalarTypeELm3EE16OffsetCalculatorILi3EjLb0EEEEvlT_T0_T1_T2_EUlibE_EEviSN_
	.p2align	8
	.type	_ZN2at6native32elementwise_kernel_manual_unrollILi128ELi4EZNS0_12_GLOBAL__N_142type_specialized_broadcast_kernel_launcherILi5EE5applyINS0_13BinaryFunctorIfffZZZNS2_33hermite_polynomial_he_kernel_cudaERNS_18TensorIteratorBaseEENKUlvE_clEvENKUlvE0_clEvEUlffE_EESt5arrayIPcLm3EESD_IN3c1010ScalarTypeELm3EE16OffsetCalculatorILi3EjLb0EEEEvlT_T0_T1_T2_EUlibE_EEviSN_,@function
_ZN2at6native32elementwise_kernel_manual_unrollILi128ELi4EZNS0_12_GLOBAL__N_142type_specialized_broadcast_kernel_launcherILi5EE5applyINS0_13BinaryFunctorIfffZZZNS2_33hermite_polynomial_he_kernel_cudaERNS_18TensorIteratorBaseEENKUlvE_clEvENKUlvE0_clEvEUlffE_EESt5arrayIPcLm3EESD_IN3c1010ScalarTypeELm3EE16OffsetCalculatorILi3EjLb0EEEEvlT_T0_T1_T2_EUlibE_EEviSN_: ; @_ZN2at6native32elementwise_kernel_manual_unrollILi128ELi4EZNS0_12_GLOBAL__N_142type_specialized_broadcast_kernel_launcherILi5EE5applyINS0_13BinaryFunctorIfffZZZNS2_33hermite_polynomial_he_kernel_cudaERNS_18TensorIteratorBaseEENKUlvE_clEvENKUlvE0_clEvEUlffE_EESt5arrayIPcLm3EESD_IN3c1010ScalarTypeELm3EE16OffsetCalculatorILi3EjLb0EEEEvlT_T0_T1_T2_EUlibE_EEviSN_
; %bb.0:
	s_load_dword s46, s[4:5], 0x0
	s_load_dword s33, s[4:5], 0x8
	s_or_b32 s4, s4, 8
	v_lshl_or_b32 v14, s6, 9, v0
	v_or_b32_e32 v24, 0x180, v14
	s_waitcnt lgkmcnt(0)
	v_cmp_le_i32_e32 vcc, s46, v24
	s_add_i32 s44, s33, -1
	s_cmp_gt_u32 s44, 1
	s_cselect_b64 s[6:7], -1, 0
	s_and_saveexec_b64 s[0:1], vcc
	s_xor_b64 s[16:17], exec, s[0:1]
	s_cbranch_execz .LBB72_98
; %bb.1:
	s_load_dwordx4 s[12:15], s[4:5], 0x4
	s_load_dwordx2 s[22:23], s[4:5], 0x14
	s_load_dwordx4 s[8:11], s[4:5], 0xc4
	s_load_dwordx2 s[20:21], s[4:5], 0xd4
	s_load_dwordx2 s[18:19], s[4:5], 0x198
	s_load_dwordx4 s[0:3], s[4:5], 0x188
	s_cmp_lg_u32 s33, 0
	s_cselect_b64 s[26:27], -1, 0
	s_min_u32 s45, s44, 15
	s_cmp_gt_u32 s33, 1
	s_cselect_b64 s[24:25], -1, 0
	v_cmp_gt_i32_e32 vcc, s46, v14
	s_and_saveexec_b64 s[28:29], vcc
	s_cbranch_execnz .LBB72_5
; %bb.2:
	s_or_b64 exec, exec, s[28:29]
	v_cmp_gt_i32_e32 vcc, s46, v14
	s_and_saveexec_b64 s[28:29], vcc
	s_cbranch_execnz .LBB72_28
.LBB72_3:
	s_or_b64 exec, exec, s[28:29]
	v_cmp_gt_i32_e32 vcc, s46, v14
	s_and_saveexec_b64 s[28:29], vcc
	s_cbranch_execnz .LBB72_51
.LBB72_4:
	s_or_b64 exec, exec, s[28:29]
	v_cmp_gt_i32_e32 vcc, s46, v14
	s_and_saveexec_b64 s[28:29], vcc
	s_cbranch_execnz .LBB72_74
	s_branch .LBB72_97
.LBB72_5:
	s_andn2_b64 vcc, exec, s[6:7]
	s_cbranch_vccnz .LBB72_12
; %bb.6:
	s_andn2_b64 vcc, exec, s[26:27]
	v_mov_b32_e32 v4, 0
	v_mov_b32_e32 v2, 0
	;; [unrolled: 1-line block ×3, first 2 shown]
	s_cbranch_vccnz .LBB72_11
; %bb.7:
	s_add_i32 s30, s45, 1
	s_and_b32 s34, s30, 30
	s_add_u32 s30, s4, 0xffffffec
	s_addc_u32 s31, s5, -1
	v_mov_b32_e32 v0, 0
	v_mov_b32_e32 v1, v14
	;; [unrolled: 1-line block ×4, first 2 shown]
.LBB72_8:                               ; =>This Inner Loop Header: Depth=1
	s_mov_b64 s[48:49], s[30:31]
	s_load_dwordx4 s[36:39], s[48:49], 0x18
	s_load_dwordx2 s[50:51], s[48:49], 0x28
	s_load_dwordx2 s[52:53], s[48:49], 0xe8
	s_load_dwordx4 s[40:43], s[48:49], 0xd8
	s_add_u32 s30, s48, 24
	s_waitcnt lgkmcnt(0)
	v_mul_hi_u32 v3, s37, v1
	v_add_u32_e32 v3, v1, v3
	v_lshrrev_b32_e32 v3, s38, v3
	v_mul_lo_u32 v5, v3, s36
	v_mul_hi_u32 v6, s50, v3
	v_sub_u32_e32 v1, v1, v5
	v_add_u32_e32 v5, v3, v6
	v_mul_lo_u32 v6, v1, s40
	v_mul_lo_u32 v7, v1, s41
	;; [unrolled: 1-line block ×3, first 2 shown]
	v_lshrrev_b32_e32 v1, s51, v5
	v_mul_lo_u32 v5, v1, s39
	v_sub_u32_e32 v3, v3, v5
	s_addc_u32 s31, s49, 0
	s_add_i32 s34, s34, -2
	v_mul_lo_u32 v5, v3, s43
	v_mul_lo_u32 v9, v3, s52
	;; [unrolled: 1-line block ×3, first 2 shown]
	s_cmp_lg_u32 s34, 0
	v_add3_u32 v0, v6, v0, v5
	v_add3_u32 v4, v8, v4, v3
	;; [unrolled: 1-line block ×3, first 2 shown]
	s_cbranch_scc1 .LBB72_8
; %bb.9:
	s_bitcmp1_b32 s45, 0
	s_cselect_b64 s[34:35], -1, 0
	s_and_b64 vcc, exec, s[34:35]
	s_cbranch_vccnz .LBB72_11
; %bb.10:
	s_load_dwordx2 s[34:35], s[30:31], 0x18
	s_load_dword s38, s[30:31], 0x20
	s_load_dword s39, s[30:31], 0xe0
	s_load_dwordx2 s[36:37], s[30:31], 0xd8
	s_waitcnt lgkmcnt(0)
	v_mul_hi_u32 v3, s35, v1
	v_add_u32_e32 v3, v1, v3
	v_lshrrev_b32_e32 v3, s38, v3
	v_mul_lo_u32 v3, v3, s34
	v_sub_u32_e32 v5, v1, v3
	v_mad_u64_u32 v[0:1], s[30:31], v5, s36, v[0:1]
	v_mad_u64_u32 v[2:3], s[30:31], v5, s37, v[2:3]
	;; [unrolled: 1-line block ×3, first 2 shown]
.LBB72_11:
	s_cbranch_execz .LBB72_13
	s_branch .LBB72_15
.LBB72_12:
                                        ; implicit-def: $vgpr4
                                        ; implicit-def: $vgpr2
                                        ; implicit-def: $vgpr0
.LBB72_13:
	s_waitcnt lgkmcnt(0)
	v_mul_hi_u32 v0, s13, v14
	v_add_u32_e32 v0, v14, v0
	v_lshrrev_b32_e32 v1, s14, v0
	v_mul_lo_u32 v0, v1, s12
	v_sub_u32_e32 v2, v14, v0
	v_mul_lo_u32 v0, v2, s8
	v_mul_lo_u32 v4, v2, s10
	s_andn2_b64 vcc, exec, s[24:25]
	v_mul_lo_u32 v2, v2, s9
	s_cbranch_vccnz .LBB72_15
; %bb.14:
	v_mul_hi_u32 v3, s22, v1
	v_add_u32_e32 v3, v1, v3
	v_lshrrev_b32_e32 v3, s23, v3
	v_mul_lo_u32 v3, v3, s15
	v_sub_u32_e32 v5, v1, v3
	v_mad_u64_u32 v[0:1], s[30:31], v5, s11, v[0:1]
	v_mad_u64_u32 v[2:3], s[30:31], v5, s20, v[2:3]
	v_mad_u64_u32 v[4:5], s[30:31], v5, s21, v[4:5]
.LBB72_15:
	s_waitcnt lgkmcnt(0)
	global_load_dword v1, v4, s[18:19]
	s_mov_b32 s30, 0x2f800000
	s_mov_b32 s31, 0xcf800000
	s_waitcnt vmcnt(0)
	v_trunc_f32_e32 v1, v1
	v_mul_f32_e64 v3, |v1|, s30
	v_floor_f32_e32 v3, v3
	v_fma_f32 v4, v3, s31, |v1|
	v_cvt_u32_f32_e32 v4, v4
	v_cvt_u32_f32_e32 v3, v3
	v_ashrrev_i32_e32 v1, 31, v1
	v_xor_b32_e32 v4, v4, v1
	v_xor_b32_e32 v3, v3, v1
	v_sub_co_u32_e32 v4, vcc, v4, v1
	v_subb_co_u32_e32 v5, vcc, v3, v1, vcc
	v_cmp_lt_i64_e32 vcc, -1, v[4:5]
	v_mov_b32_e32 v1, 0
	s_and_saveexec_b64 s[30:31], vcc
	s_cbranch_execz .LBB72_27
; %bb.16:
	v_cmp_lt_i64_e32 vcc, 0, v[4:5]
	v_mov_b32_e32 v1, 0x3c00
	s_and_saveexec_b64 s[34:35], vcc
	s_cbranch_execz .LBB72_26
; %bb.17:
	global_load_ushort v2, v2, s[2:3]
	v_cmp_ne_u64_e32 vcc, 1, v[4:5]
                                        ; implicit-def: $vgpr1
	s_and_saveexec_b64 s[36:37], vcc
	s_xor_b64 s[36:37], exec, s[36:37]
	s_cbranch_execz .LBB72_23
; %bb.18:
	s_mov_b64 s[38:39], 0x81
	v_cmp_gt_u64_e32 vcc, s[38:39], v[4:5]
	v_mov_b32_e32 v1, 0x7e00
	s_and_saveexec_b64 s[38:39], vcc
	s_cbranch_execz .LBB72_22
; %bb.19:
	s_waitcnt vmcnt(0)
	v_cvt_f32_f16_e32 v1, v2
	s_mov_b64 s[42:43], 1
	s_mov_b64 s[40:41], 0
	v_mov_b32_e32 v2, 1.0
	v_mov_b32_e32 v3, v1
.LBB72_20:                              ; =>This Inner Loop Header: Depth=1
	s_flbit_i32_b32 s47, s43
	s_min_u32 s47, s47, 32
	s_lshl_b64 s[48:49], s[42:43], s47
	s_min_u32 s48, s48, 1
	s_or_b32 s48, s49, s48
	v_cvt_f32_u32_e32 v6, s48
	s_sub_i32 s47, 32, s47
	s_add_u32 s42, s42, 1
	s_addc_u32 s43, s43, 0
	v_ldexp_f32 v6, v6, s47
	v_cmp_eq_u64_e32 vcc, s[42:43], v[4:5]
	v_mul_f32_e32 v6, v2, v6
	s_or_b64 s[40:41], vcc, s[40:41]
	v_mov_b32_e32 v2, v3
	v_fma_f32 v3, v3, v1, -v6
	s_andn2_b64 exec, exec, s[40:41]
	s_cbranch_execnz .LBB72_20
; %bb.21:
	s_or_b64 exec, exec, s[40:41]
	v_cvt_f16_f32_e32 v1, v3
.LBB72_22:
	s_or_b64 exec, exec, s[38:39]
                                        ; implicit-def: $vgpr2
.LBB72_23:
	s_andn2_saveexec_b64 s[36:37], s[36:37]
	s_cbranch_execz .LBB72_25
; %bb.24:
	s_waitcnt vmcnt(0)
	v_mov_b32_e32 v1, v2
.LBB72_25:
	s_or_b64 exec, exec, s[36:37]
.LBB72_26:
	s_or_b64 exec, exec, s[34:35]
.LBB72_27:
	s_or_b64 exec, exec, s[30:31]
	v_add_u32_e32 v14, 0x80, v14
	global_store_short v0, v1, s[0:1]
	s_or_b64 exec, exec, s[28:29]
	v_cmp_gt_i32_e32 vcc, s46, v14
	s_and_saveexec_b64 s[28:29], vcc
	s_cbranch_execz .LBB72_3
.LBB72_28:
	s_andn2_b64 vcc, exec, s[6:7]
	s_cbranch_vccnz .LBB72_35
; %bb.29:
	s_andn2_b64 vcc, exec, s[26:27]
	v_mov_b32_e32 v4, 0
	s_waitcnt vmcnt(1)
	v_mov_b32_e32 v2, 0
	v_mov_b32_e32 v0, 0
	s_cbranch_vccnz .LBB72_34
; %bb.30:
	s_add_i32 s30, s45, 1
	s_and_b32 s34, s30, 30
	s_add_u32 s30, s4, 0xffffffec
	s_addc_u32 s31, s5, -1
	v_mov_b32_e32 v0, 0
	v_mov_b32_e32 v1, v14
	;; [unrolled: 1-line block ×4, first 2 shown]
.LBB72_31:                              ; =>This Inner Loop Header: Depth=1
	s_mov_b64 s[48:49], s[30:31]
	s_load_dwordx4 s[36:39], s[48:49], 0x18
	s_load_dwordx2 s[50:51], s[48:49], 0x28
	s_load_dwordx2 s[52:53], s[48:49], 0xe8
	s_load_dwordx4 s[40:43], s[48:49], 0xd8
	s_add_u32 s30, s48, 24
	s_waitcnt lgkmcnt(0)
	v_mul_hi_u32 v3, s37, v1
	v_add_u32_e32 v3, v1, v3
	v_lshrrev_b32_e32 v3, s38, v3
	v_mul_lo_u32 v5, v3, s36
	v_mul_hi_u32 v6, s50, v3
	v_sub_u32_e32 v1, v1, v5
	v_add_u32_e32 v5, v3, v6
	v_mul_lo_u32 v6, v1, s40
	v_mul_lo_u32 v7, v1, s41
	;; [unrolled: 1-line block ×3, first 2 shown]
	v_lshrrev_b32_e32 v1, s51, v5
	v_mul_lo_u32 v5, v1, s39
	v_sub_u32_e32 v3, v3, v5
	s_addc_u32 s31, s49, 0
	s_add_i32 s34, s34, -2
	v_mul_lo_u32 v5, v3, s43
	v_mul_lo_u32 v9, v3, s52
	v_mul_lo_u32 v3, v3, s53
	s_cmp_eq_u32 s34, 0
	v_add3_u32 v0, v6, v0, v5
	v_add3_u32 v4, v8, v4, v3
	;; [unrolled: 1-line block ×3, first 2 shown]
	s_cbranch_scc0 .LBB72_31
; %bb.32:
	s_bitcmp1_b32 s45, 0
	s_cselect_b64 s[34:35], -1, 0
	s_and_b64 vcc, exec, s[34:35]
	s_cbranch_vccnz .LBB72_34
; %bb.33:
	s_load_dwordx2 s[34:35], s[30:31], 0x18
	s_load_dword s38, s[30:31], 0x20
	s_load_dword s39, s[30:31], 0xe0
	s_load_dwordx2 s[36:37], s[30:31], 0xd8
	s_waitcnt lgkmcnt(0)
	v_mul_hi_u32 v3, s35, v1
	v_add_u32_e32 v3, v1, v3
	v_lshrrev_b32_e32 v3, s38, v3
	v_mul_lo_u32 v3, v3, s34
	v_sub_u32_e32 v5, v1, v3
	v_mad_u64_u32 v[0:1], s[30:31], v5, s36, v[0:1]
	v_mad_u64_u32 v[2:3], s[30:31], v5, s37, v[2:3]
	v_mad_u64_u32 v[4:5], s[30:31], v5, s39, v[4:5]
.LBB72_34:
	s_cbranch_execz .LBB72_36
	s_branch .LBB72_38
.LBB72_35:
                                        ; implicit-def: $vgpr4
                                        ; implicit-def: $vgpr2
                                        ; implicit-def: $vgpr0
.LBB72_36:
	s_waitcnt lgkmcnt(0)
	v_mul_hi_u32 v0, s13, v14
	v_add_u32_e32 v0, v14, v0
	v_lshrrev_b32_e32 v1, s14, v0
	v_mul_lo_u32 v0, v1, s12
	s_waitcnt vmcnt(1)
	v_sub_u32_e32 v2, v14, v0
	v_mul_lo_u32 v0, v2, s8
	v_mul_lo_u32 v4, v2, s10
	s_andn2_b64 vcc, exec, s[24:25]
	v_mul_lo_u32 v2, v2, s9
	s_cbranch_vccnz .LBB72_38
; %bb.37:
	v_mul_hi_u32 v3, s22, v1
	v_add_u32_e32 v3, v1, v3
	v_lshrrev_b32_e32 v3, s23, v3
	v_mul_lo_u32 v3, v3, s15
	v_sub_u32_e32 v5, v1, v3
	v_mad_u64_u32 v[0:1], s[30:31], v5, s11, v[0:1]
	v_mad_u64_u32 v[2:3], s[30:31], v5, s20, v[2:3]
	;; [unrolled: 1-line block ×3, first 2 shown]
.LBB72_38:
	s_waitcnt lgkmcnt(0)
	global_load_dword v1, v4, s[18:19]
	s_mov_b32 s30, 0x2f800000
	s_mov_b32 s31, 0xcf800000
	s_waitcnt vmcnt(0)
	v_trunc_f32_e32 v1, v1
	v_mul_f32_e64 v3, |v1|, s30
	v_floor_f32_e32 v3, v3
	v_fma_f32 v4, v3, s31, |v1|
	v_cvt_u32_f32_e32 v4, v4
	v_cvt_u32_f32_e32 v3, v3
	v_ashrrev_i32_e32 v1, 31, v1
	v_xor_b32_e32 v4, v4, v1
	v_xor_b32_e32 v3, v3, v1
	v_sub_co_u32_e32 v4, vcc, v4, v1
	v_subb_co_u32_e32 v5, vcc, v3, v1, vcc
	v_cmp_lt_i64_e32 vcc, -1, v[4:5]
	v_mov_b32_e32 v1, 0
	s_and_saveexec_b64 s[30:31], vcc
	s_cbranch_execz .LBB72_50
; %bb.39:
	v_cmp_lt_i64_e32 vcc, 0, v[4:5]
	v_mov_b32_e32 v1, 0x3c00
	s_and_saveexec_b64 s[34:35], vcc
	s_cbranch_execz .LBB72_49
; %bb.40:
	global_load_ushort v2, v2, s[2:3]
	v_cmp_ne_u64_e32 vcc, 1, v[4:5]
                                        ; implicit-def: $vgpr1
	s_and_saveexec_b64 s[36:37], vcc
	s_xor_b64 s[36:37], exec, s[36:37]
	s_cbranch_execz .LBB72_46
; %bb.41:
	s_mov_b64 s[38:39], 0x81
	v_cmp_gt_u64_e32 vcc, s[38:39], v[4:5]
	v_mov_b32_e32 v1, 0x7e00
	s_and_saveexec_b64 s[38:39], vcc
	s_cbranch_execz .LBB72_45
; %bb.42:
	s_waitcnt vmcnt(0)
	v_cvt_f32_f16_e32 v1, v2
	s_mov_b64 s[42:43], 1
	s_mov_b64 s[40:41], 0
	v_mov_b32_e32 v2, 1.0
	v_mov_b32_e32 v3, v1
.LBB72_43:                              ; =>This Inner Loop Header: Depth=1
	s_flbit_i32_b32 s47, s43
	s_min_u32 s47, s47, 32
	s_lshl_b64 s[48:49], s[42:43], s47
	s_min_u32 s48, s48, 1
	s_or_b32 s48, s49, s48
	v_cvt_f32_u32_e32 v6, s48
	s_sub_i32 s47, 32, s47
	s_add_u32 s42, s42, 1
	s_addc_u32 s43, s43, 0
	v_ldexp_f32 v6, v6, s47
	v_cmp_eq_u64_e32 vcc, s[42:43], v[4:5]
	v_mul_f32_e32 v6, v2, v6
	s_or_b64 s[40:41], vcc, s[40:41]
	v_mov_b32_e32 v2, v3
	v_fma_f32 v3, v3, v1, -v6
	s_andn2_b64 exec, exec, s[40:41]
	s_cbranch_execnz .LBB72_43
; %bb.44:
	s_or_b64 exec, exec, s[40:41]
	v_cvt_f16_f32_e32 v1, v3
.LBB72_45:
	s_or_b64 exec, exec, s[38:39]
                                        ; implicit-def: $vgpr2
.LBB72_46:
	s_andn2_saveexec_b64 s[36:37], s[36:37]
	s_cbranch_execz .LBB72_48
; %bb.47:
	s_waitcnt vmcnt(0)
	v_mov_b32_e32 v1, v2
.LBB72_48:
	s_or_b64 exec, exec, s[36:37]
.LBB72_49:
	s_or_b64 exec, exec, s[34:35]
.LBB72_50:
	s_or_b64 exec, exec, s[30:31]
	v_add_u32_e32 v14, 0x80, v14
	global_store_short v0, v1, s[0:1]
	s_or_b64 exec, exec, s[28:29]
	v_cmp_gt_i32_e32 vcc, s46, v14
	s_and_saveexec_b64 s[28:29], vcc
	s_cbranch_execz .LBB72_4
.LBB72_51:
	s_andn2_b64 vcc, exec, s[6:7]
	s_cbranch_vccnz .LBB72_58
; %bb.52:
	s_andn2_b64 vcc, exec, s[26:27]
	v_mov_b32_e32 v4, 0
	s_waitcnt vmcnt(1)
	v_mov_b32_e32 v2, 0
	v_mov_b32_e32 v0, 0
	s_cbranch_vccnz .LBB72_57
; %bb.53:
	s_add_i32 s30, s45, 1
	s_and_b32 s34, s30, 30
	s_add_u32 s30, s4, 0xffffffec
	s_addc_u32 s31, s5, -1
	v_mov_b32_e32 v0, 0
	v_mov_b32_e32 v1, v14
	;; [unrolled: 1-line block ×4, first 2 shown]
.LBB72_54:                              ; =>This Inner Loop Header: Depth=1
	s_mov_b64 s[48:49], s[30:31]
	s_load_dwordx4 s[36:39], s[48:49], 0x18
	s_load_dwordx2 s[50:51], s[48:49], 0x28
	s_load_dwordx2 s[52:53], s[48:49], 0xe8
	s_load_dwordx4 s[40:43], s[48:49], 0xd8
	s_add_u32 s30, s48, 24
	s_waitcnt lgkmcnt(0)
	v_mul_hi_u32 v3, s37, v1
	v_add_u32_e32 v3, v1, v3
	v_lshrrev_b32_e32 v3, s38, v3
	v_mul_lo_u32 v5, v3, s36
	v_mul_hi_u32 v6, s50, v3
	v_sub_u32_e32 v1, v1, v5
	v_add_u32_e32 v5, v3, v6
	v_mul_lo_u32 v6, v1, s40
	v_mul_lo_u32 v7, v1, s41
	;; [unrolled: 1-line block ×3, first 2 shown]
	v_lshrrev_b32_e32 v1, s51, v5
	v_mul_lo_u32 v5, v1, s39
	v_sub_u32_e32 v3, v3, v5
	s_addc_u32 s31, s49, 0
	s_add_i32 s34, s34, -2
	v_mul_lo_u32 v5, v3, s43
	v_mul_lo_u32 v9, v3, s52
	;; [unrolled: 1-line block ×3, first 2 shown]
	s_cmp_eq_u32 s34, 0
	v_add3_u32 v0, v6, v0, v5
	v_add3_u32 v4, v8, v4, v3
	;; [unrolled: 1-line block ×3, first 2 shown]
	s_cbranch_scc0 .LBB72_54
; %bb.55:
	s_bitcmp1_b32 s45, 0
	s_cselect_b64 s[34:35], -1, 0
	s_and_b64 vcc, exec, s[34:35]
	s_cbranch_vccnz .LBB72_57
; %bb.56:
	s_load_dwordx2 s[34:35], s[30:31], 0x18
	s_load_dword s38, s[30:31], 0x20
	s_load_dword s39, s[30:31], 0xe0
	s_load_dwordx2 s[36:37], s[30:31], 0xd8
	s_waitcnt lgkmcnt(0)
	v_mul_hi_u32 v3, s35, v1
	v_add_u32_e32 v3, v1, v3
	v_lshrrev_b32_e32 v3, s38, v3
	v_mul_lo_u32 v3, v3, s34
	v_sub_u32_e32 v5, v1, v3
	v_mad_u64_u32 v[0:1], s[30:31], v5, s36, v[0:1]
	v_mad_u64_u32 v[2:3], s[30:31], v5, s37, v[2:3]
	;; [unrolled: 1-line block ×3, first 2 shown]
.LBB72_57:
	s_cbranch_execz .LBB72_59
	s_branch .LBB72_61
.LBB72_58:
                                        ; implicit-def: $vgpr4
                                        ; implicit-def: $vgpr2
                                        ; implicit-def: $vgpr0
.LBB72_59:
	s_waitcnt lgkmcnt(0)
	v_mul_hi_u32 v0, s13, v14
	v_add_u32_e32 v0, v14, v0
	v_lshrrev_b32_e32 v1, s14, v0
	v_mul_lo_u32 v0, v1, s12
	s_waitcnt vmcnt(1)
	v_sub_u32_e32 v2, v14, v0
	v_mul_lo_u32 v0, v2, s8
	v_mul_lo_u32 v4, v2, s10
	s_andn2_b64 vcc, exec, s[24:25]
	v_mul_lo_u32 v2, v2, s9
	s_cbranch_vccnz .LBB72_61
; %bb.60:
	v_mul_hi_u32 v3, s22, v1
	v_add_u32_e32 v3, v1, v3
	v_lshrrev_b32_e32 v3, s23, v3
	v_mul_lo_u32 v3, v3, s15
	v_sub_u32_e32 v5, v1, v3
	v_mad_u64_u32 v[0:1], s[30:31], v5, s11, v[0:1]
	v_mad_u64_u32 v[2:3], s[30:31], v5, s20, v[2:3]
	;; [unrolled: 1-line block ×3, first 2 shown]
.LBB72_61:
	s_waitcnt lgkmcnt(0)
	global_load_dword v1, v4, s[18:19]
	s_mov_b32 s30, 0x2f800000
	s_mov_b32 s31, 0xcf800000
	s_waitcnt vmcnt(0)
	v_trunc_f32_e32 v1, v1
	v_mul_f32_e64 v3, |v1|, s30
	v_floor_f32_e32 v3, v3
	v_fma_f32 v4, v3, s31, |v1|
	v_cvt_u32_f32_e32 v4, v4
	v_cvt_u32_f32_e32 v3, v3
	v_ashrrev_i32_e32 v1, 31, v1
	v_xor_b32_e32 v4, v4, v1
	v_xor_b32_e32 v3, v3, v1
	v_sub_co_u32_e32 v4, vcc, v4, v1
	v_subb_co_u32_e32 v5, vcc, v3, v1, vcc
	v_cmp_lt_i64_e32 vcc, -1, v[4:5]
	v_mov_b32_e32 v1, 0
	s_and_saveexec_b64 s[30:31], vcc
	s_cbranch_execz .LBB72_73
; %bb.62:
	v_cmp_lt_i64_e32 vcc, 0, v[4:5]
	v_mov_b32_e32 v1, 0x3c00
	s_and_saveexec_b64 s[34:35], vcc
	s_cbranch_execz .LBB72_72
; %bb.63:
	global_load_ushort v2, v2, s[2:3]
	v_cmp_ne_u64_e32 vcc, 1, v[4:5]
                                        ; implicit-def: $vgpr1
	s_and_saveexec_b64 s[36:37], vcc
	s_xor_b64 s[36:37], exec, s[36:37]
	s_cbranch_execz .LBB72_69
; %bb.64:
	s_mov_b64 s[38:39], 0x81
	v_cmp_gt_u64_e32 vcc, s[38:39], v[4:5]
	v_mov_b32_e32 v1, 0x7e00
	s_and_saveexec_b64 s[38:39], vcc
	s_cbranch_execz .LBB72_68
; %bb.65:
	s_waitcnt vmcnt(0)
	v_cvt_f32_f16_e32 v1, v2
	s_mov_b64 s[42:43], 1
	s_mov_b64 s[40:41], 0
	v_mov_b32_e32 v2, 1.0
	v_mov_b32_e32 v3, v1
.LBB72_66:                              ; =>This Inner Loop Header: Depth=1
	s_flbit_i32_b32 s47, s43
	s_min_u32 s47, s47, 32
	s_lshl_b64 s[48:49], s[42:43], s47
	s_min_u32 s48, s48, 1
	s_or_b32 s48, s49, s48
	v_cvt_f32_u32_e32 v6, s48
	s_sub_i32 s47, 32, s47
	s_add_u32 s42, s42, 1
	s_addc_u32 s43, s43, 0
	v_ldexp_f32 v6, v6, s47
	v_cmp_eq_u64_e32 vcc, s[42:43], v[4:5]
	v_mul_f32_e32 v6, v2, v6
	s_or_b64 s[40:41], vcc, s[40:41]
	v_mov_b32_e32 v2, v3
	v_fma_f32 v3, v3, v1, -v6
	s_andn2_b64 exec, exec, s[40:41]
	s_cbranch_execnz .LBB72_66
; %bb.67:
	s_or_b64 exec, exec, s[40:41]
	v_cvt_f16_f32_e32 v1, v3
.LBB72_68:
	s_or_b64 exec, exec, s[38:39]
                                        ; implicit-def: $vgpr2
.LBB72_69:
	s_andn2_saveexec_b64 s[36:37], s[36:37]
	s_cbranch_execz .LBB72_71
; %bb.70:
	s_waitcnt vmcnt(0)
	v_mov_b32_e32 v1, v2
.LBB72_71:
	s_or_b64 exec, exec, s[36:37]
.LBB72_72:
	s_or_b64 exec, exec, s[34:35]
.LBB72_73:
	s_or_b64 exec, exec, s[30:31]
	v_add_u32_e32 v14, 0x80, v14
	global_store_short v0, v1, s[0:1]
	s_or_b64 exec, exec, s[28:29]
	v_cmp_gt_i32_e32 vcc, s46, v14
	s_and_saveexec_b64 s[28:29], vcc
	s_cbranch_execz .LBB72_97
.LBB72_74:
	s_andn2_b64 vcc, exec, s[6:7]
	s_cbranch_vccnz .LBB72_81
; %bb.75:
	s_andn2_b64 vcc, exec, s[26:27]
	v_mov_b32_e32 v4, 0
	s_waitcnt vmcnt(1)
	v_mov_b32_e32 v2, 0
	v_mov_b32_e32 v0, 0
	s_cbranch_vccnz .LBB72_80
; %bb.76:
	s_add_i32 s26, s45, 1
	s_and_b32 s30, s26, 30
	s_add_u32 s26, s4, 0xffffffec
	s_addc_u32 s27, s5, -1
	v_mov_b32_e32 v0, 0
	v_mov_b32_e32 v1, v14
	;; [unrolled: 1-line block ×4, first 2 shown]
.LBB72_77:                              ; =>This Inner Loop Header: Depth=1
	s_mov_b64 s[34:35], s[26:27]
	s_load_dwordx4 s[36:39], s[34:35], 0x18
	s_load_dwordx2 s[46:47], s[34:35], 0x28
	s_load_dwordx2 s[48:49], s[34:35], 0xe8
	s_load_dwordx4 s[40:43], s[34:35], 0xd8
	s_add_u32 s26, s34, 24
	s_waitcnt lgkmcnt(0)
	v_mul_hi_u32 v3, s37, v1
	v_add_u32_e32 v3, v1, v3
	v_lshrrev_b32_e32 v3, s38, v3
	v_mul_lo_u32 v5, v3, s36
	v_mul_hi_u32 v6, s46, v3
	v_sub_u32_e32 v1, v1, v5
	v_add_u32_e32 v5, v3, v6
	v_mul_lo_u32 v6, v1, s40
	v_mul_lo_u32 v7, v1, s41
	;; [unrolled: 1-line block ×3, first 2 shown]
	v_lshrrev_b32_e32 v1, s47, v5
	v_mul_lo_u32 v5, v1, s39
	v_sub_u32_e32 v3, v3, v5
	s_addc_u32 s27, s35, 0
	s_add_i32 s30, s30, -2
	v_mul_lo_u32 v5, v3, s43
	v_mul_lo_u32 v9, v3, s48
	;; [unrolled: 1-line block ×3, first 2 shown]
	s_cmp_eq_u32 s30, 0
	v_add3_u32 v0, v6, v0, v5
	v_add3_u32 v4, v8, v4, v3
	;; [unrolled: 1-line block ×3, first 2 shown]
	s_cbranch_scc0 .LBB72_77
; %bb.78:
	s_bitcmp1_b32 s45, 0
	s_cselect_b64 s[30:31], -1, 0
	s_and_b64 vcc, exec, s[30:31]
	s_cbranch_vccnz .LBB72_80
; %bb.79:
	s_load_dwordx2 s[30:31], s[26:27], 0x18
	s_load_dword s36, s[26:27], 0x20
	s_load_dword s37, s[26:27], 0xe0
	s_load_dwordx2 s[34:35], s[26:27], 0xd8
	s_waitcnt lgkmcnt(0)
	v_mul_hi_u32 v3, s31, v1
	v_add_u32_e32 v3, v1, v3
	v_lshrrev_b32_e32 v3, s36, v3
	v_mul_lo_u32 v3, v3, s30
	v_sub_u32_e32 v5, v1, v3
	v_mad_u64_u32 v[0:1], s[26:27], v5, s34, v[0:1]
	v_mad_u64_u32 v[2:3], s[26:27], v5, s35, v[2:3]
	;; [unrolled: 1-line block ×3, first 2 shown]
.LBB72_80:
	s_cbranch_execz .LBB72_82
	s_branch .LBB72_84
.LBB72_81:
                                        ; implicit-def: $vgpr4
                                        ; implicit-def: $vgpr2
                                        ; implicit-def: $vgpr0
.LBB72_82:
	s_waitcnt lgkmcnt(0)
	v_mul_hi_u32 v0, s13, v14
	v_add_u32_e32 v0, v14, v0
	v_lshrrev_b32_e32 v1, s14, v0
	v_mul_lo_u32 v0, v1, s12
	s_waitcnt vmcnt(1)
	v_sub_u32_e32 v2, v14, v0
	v_mul_lo_u32 v0, v2, s8
	v_mul_lo_u32 v4, v2, s10
	s_andn2_b64 vcc, exec, s[24:25]
	v_mul_lo_u32 v2, v2, s9
	s_cbranch_vccnz .LBB72_84
; %bb.83:
	v_mul_hi_u32 v3, s22, v1
	v_add_u32_e32 v3, v1, v3
	v_lshrrev_b32_e32 v3, s23, v3
	v_mul_lo_u32 v3, v3, s15
	v_sub_u32_e32 v5, v1, v3
	v_mad_u64_u32 v[0:1], s[8:9], v5, s11, v[0:1]
	v_mad_u64_u32 v[2:3], s[8:9], v5, s20, v[2:3]
	;; [unrolled: 1-line block ×3, first 2 shown]
.LBB72_84:
	s_waitcnt lgkmcnt(0)
	global_load_dword v1, v4, s[18:19]
	s_mov_b32 s8, 0x2f800000
	s_mov_b32 s9, 0xcf800000
	s_waitcnt vmcnt(0)
	v_trunc_f32_e32 v1, v1
	v_mul_f32_e64 v3, |v1|, s8
	v_floor_f32_e32 v3, v3
	v_fma_f32 v4, v3, s9, |v1|
	v_cvt_u32_f32_e32 v4, v4
	v_cvt_u32_f32_e32 v3, v3
	v_ashrrev_i32_e32 v1, 31, v1
	v_xor_b32_e32 v4, v4, v1
	v_xor_b32_e32 v3, v3, v1
	v_sub_co_u32_e32 v4, vcc, v4, v1
	v_subb_co_u32_e32 v5, vcc, v3, v1, vcc
	v_cmp_lt_i64_e32 vcc, -1, v[4:5]
	v_mov_b32_e32 v1, 0
	s_and_saveexec_b64 s[8:9], vcc
	s_cbranch_execz .LBB72_96
; %bb.85:
	v_cmp_lt_i64_e32 vcc, 0, v[4:5]
	v_mov_b32_e32 v1, 0x3c00
	s_and_saveexec_b64 s[10:11], vcc
	s_cbranch_execz .LBB72_95
; %bb.86:
	global_load_ushort v2, v2, s[2:3]
	v_cmp_ne_u64_e32 vcc, 1, v[4:5]
                                        ; implicit-def: $vgpr1
	s_and_saveexec_b64 s[2:3], vcc
	s_xor_b64 s[2:3], exec, s[2:3]
	s_cbranch_execz .LBB72_92
; %bb.87:
	s_mov_b64 s[12:13], 0x81
	v_cmp_gt_u64_e32 vcc, s[12:13], v[4:5]
	v_mov_b32_e32 v1, 0x7e00
	s_and_saveexec_b64 s[12:13], vcc
	s_cbranch_execz .LBB72_91
; %bb.88:
	s_waitcnt vmcnt(0)
	v_cvt_f32_f16_e32 v1, v2
	s_mov_b64 s[18:19], 1
	s_mov_b64 s[14:15], 0
	v_mov_b32_e32 v2, 1.0
	v_mov_b32_e32 v3, v1
.LBB72_89:                              ; =>This Inner Loop Header: Depth=1
	s_flbit_i32_b32 s20, s19
	s_min_u32 s22, s20, 32
	s_lshl_b64 s[20:21], s[18:19], s22
	s_min_u32 s20, s20, 1
	s_or_b32 s20, s21, s20
	v_cvt_f32_u32_e32 v6, s20
	s_sub_i32 s22, 32, s22
	s_add_u32 s18, s18, 1
	s_addc_u32 s19, s19, 0
	v_ldexp_f32 v6, v6, s22
	v_cmp_eq_u64_e32 vcc, s[18:19], v[4:5]
	v_mul_f32_e32 v6, v2, v6
	s_or_b64 s[14:15], vcc, s[14:15]
	v_mov_b32_e32 v2, v3
	v_fma_f32 v3, v3, v1, -v6
	s_andn2_b64 exec, exec, s[14:15]
	s_cbranch_execnz .LBB72_89
; %bb.90:
	s_or_b64 exec, exec, s[14:15]
	v_cvt_f16_f32_e32 v1, v3
.LBB72_91:
	s_or_b64 exec, exec, s[12:13]
                                        ; implicit-def: $vgpr2
.LBB72_92:
	s_andn2_saveexec_b64 s[2:3], s[2:3]
	s_cbranch_execz .LBB72_94
; %bb.93:
	s_waitcnt vmcnt(0)
	v_mov_b32_e32 v1, v2
.LBB72_94:
	s_or_b64 exec, exec, s[2:3]
.LBB72_95:
	s_or_b64 exec, exec, s[10:11]
.LBB72_96:
	s_or_b64 exec, exec, s[8:9]
	global_store_short v0, v1, s[0:1]
.LBB72_97:
	s_or_b64 exec, exec, s[28:29]
                                        ; implicit-def: $vgpr24
                                        ; implicit-def: $vgpr14
.LBB72_98:
	s_waitcnt lgkmcnt(0)
	s_andn2_saveexec_b64 s[0:1], s[16:17]
	s_cbranch_execz .LBB72_105
; %bb.99:
	v_cndmask_b32_e64 v0, 0, 1, s[6:7]
	v_cmp_ne_u32_e64 s[0:1], 1, v0
	s_andn2_b64 vcc, exec, s[6:7]
	s_cbranch_vccnz .LBB72_106
; %bb.100:
	s_cmp_lg_u32 s33, 0
	v_mov_b32_e32 v8, 0
	v_mov_b32_e32 v6, 0
	v_mov_b32_e32 v0, 0
	s_cbranch_scc0 .LBB72_107
; %bb.101:
	s_min_u32 s6, s44, 15
	s_add_i32 s2, s6, 1
	s_and_b32 s7, s2, 30
	s_add_u32 s2, s4, 0xffffffec
	s_addc_u32 s3, s5, -1
	v_mov_b32_e32 v0, 0
	v_mov_b32_e32 v1, v14
	;; [unrolled: 1-line block ×4, first 2 shown]
.LBB72_102:                             ; =>This Inner Loop Header: Depth=1
	s_mov_b64 s[16:17], s[2:3]
	s_load_dwordx4 s[8:11], s[16:17], 0x18
	s_load_dwordx2 s[18:19], s[16:17], 0x28
	s_load_dwordx2 s[20:21], s[16:17], 0xe8
	s_load_dwordx4 s[12:15], s[16:17], 0xd8
	s_add_u32 s2, s16, 24
	s_waitcnt vmcnt(1) lgkmcnt(0)
	v_mul_hi_u32 v2, s9, v1
	v_add_u32_e32 v2, v1, v2
	v_lshrrev_b32_e32 v2, s10, v2
	v_mul_lo_u32 v3, v2, s8
	v_mul_hi_u32 v4, s18, v2
	v_sub_u32_e32 v1, v1, v3
	v_add_u32_e32 v3, v2, v4
	v_mul_lo_u32 v4, v1, s12
	v_mul_lo_u32 v5, v1, s13
	;; [unrolled: 1-line block ×3, first 2 shown]
	v_lshrrev_b32_e32 v1, s19, v3
	v_mul_lo_u32 v3, v1, s11
	v_sub_u32_e32 v2, v2, v3
	s_addc_u32 s3, s17, 0
	s_add_i32 s7, s7, -2
	v_mul_lo_u32 v3, v2, s15
	v_mul_lo_u32 v9, v2, s20
	;; [unrolled: 1-line block ×3, first 2 shown]
	s_cmp_lg_u32 s7, 0
	v_add3_u32 v0, v4, v0, v3
	v_add3_u32 v8, v7, v8, v2
	;; [unrolled: 1-line block ×3, first 2 shown]
	s_cbranch_scc1 .LBB72_102
; %bb.103:
	s_bitcmp1_b32 s6, 0
	s_cselect_b64 s[6:7], -1, 0
	s_and_b64 vcc, exec, s[6:7]
	s_cbranch_vccnz .LBB72_107
; %bb.104:
	s_load_dwordx2 s[6:7], s[2:3], 0x18
	s_load_dword s10, s[2:3], 0x20
	s_load_dword s11, s[2:3], 0xe0
	s_load_dwordx2 s[8:9], s[2:3], 0xd8
	s_waitcnt lgkmcnt(0)
	v_mul_hi_u32 v2, s7, v1
	v_add_u32_e32 v2, v1, v2
	v_lshrrev_b32_e32 v2, s10, v2
	v_mul_lo_u32 v2, v2, s6
	v_sub_u32_e32 v2, v1, v2
	v_mad_u64_u32 v[0:1], s[2:3], v2, s8, v[0:1]
	v_mad_u64_u32 v[6:7], s[2:3], v2, s9, v[6:7]
	;; [unrolled: 1-line block ×3, first 2 shown]
	s_cbranch_execz .LBB72_108
	s_branch .LBB72_110
.LBB72_105:
	s_endpgm
.LBB72_106:
                                        ; implicit-def: $vgpr8
                                        ; implicit-def: $vgpr6
                                        ; implicit-def: $vgpr0
	s_branch .LBB72_108
.LBB72_107:
	s_cbranch_execnz .LBB72_110
.LBB72_108:
	s_load_dwordx4 s[8:11], s[4:5], 0x4
	s_load_dwordx4 s[12:15], s[4:5], 0xc4
	s_cmp_lt_u32 s33, 2
	s_waitcnt lgkmcnt(0)
	v_mul_hi_u32 v0, s9, v14
	v_add_u32_e32 v0, v14, v0
	v_lshrrev_b32_e32 v1, s10, v0
	v_mul_lo_u32 v0, v1, s8
	s_waitcnt vmcnt(1)
	v_sub_u32_e32 v2, v14, v0
	v_mul_lo_u32 v0, v2, s12
	v_mul_lo_u32 v8, v2, s14
	;; [unrolled: 1-line block ×3, first 2 shown]
	s_cbranch_scc1 .LBB72_110
; %bb.109:
	s_load_dwordx4 s[8:11], s[4:5], 0x10
	s_load_dwordx4 s[12:15], s[4:5], 0xd0
	s_waitcnt lgkmcnt(0)
	v_mul_hi_u32 v2, s9, v1
	v_add_u32_e32 v2, v1, v2
	v_lshrrev_b32_e32 v2, s10, v2
	v_mul_lo_u32 v2, v2, s8
	v_sub_u32_e32 v2, v1, v2
	v_mad_u64_u32 v[0:1], s[2:3], v2, s12, v[0:1]
	v_mad_u64_u32 v[6:7], s[2:3], v2, s13, v[6:7]
	;; [unrolled: 1-line block ×3, first 2 shown]
.LBB72_110:
	s_and_b64 vcc, exec, s[0:1]
	v_add_u32_e32 v1, 0x80, v14
	s_cbranch_vccnz .LBB72_116
; %bb.111:
	s_cmp_lg_u32 s33, 0
	v_mov_b32_e32 v12, 0
	v_mov_b32_e32 v10, 0
	s_waitcnt vmcnt(1)
	v_mov_b32_e32 v2, 0
	s_cbranch_scc0 .LBB72_117
; %bb.112:
	s_min_u32 s6, s44, 15
	s_add_i32 s2, s6, 1
	s_and_b32 s7, s2, 30
	s_add_u32 s2, s4, 0xffffffec
	s_addc_u32 s3, s5, -1
	v_mov_b32_e32 v2, 0
	v_mov_b32_e32 v3, v1
	;; [unrolled: 1-line block ×4, first 2 shown]
.LBB72_113:                             ; =>This Inner Loop Header: Depth=1
	s_mov_b64 s[16:17], s[2:3]
	s_load_dwordx4 s[8:11], s[16:17], 0x18
	s_load_dwordx2 s[18:19], s[16:17], 0x28
	s_load_dwordx2 s[20:21], s[16:17], 0xe8
	s_load_dwordx4 s[12:15], s[16:17], 0xd8
	s_add_u32 s2, s16, 24
	s_waitcnt lgkmcnt(0)
	v_mul_hi_u32 v4, s9, v3
	v_add_u32_e32 v4, v3, v4
	v_lshrrev_b32_e32 v4, s10, v4
	v_mul_lo_u32 v5, v4, s8
	v_mul_hi_u32 v7, s18, v4
	v_sub_u32_e32 v3, v3, v5
	v_add_u32_e32 v5, v4, v7
	v_mul_lo_u32 v7, v3, s12
	v_mul_lo_u32 v9, v3, s13
	v_mul_lo_u32 v11, v3, s14
	v_lshrrev_b32_e32 v3, s19, v5
	v_mul_lo_u32 v5, v3, s11
	v_sub_u32_e32 v4, v4, v5
	s_addc_u32 s3, s17, 0
	s_add_i32 s7, s7, -2
	v_mul_lo_u32 v5, v4, s15
	v_mul_lo_u32 v13, v4, s20
	;; [unrolled: 1-line block ×3, first 2 shown]
	s_cmp_lg_u32 s7, 0
	v_add3_u32 v2, v7, v2, v5
	v_add3_u32 v12, v11, v12, v4
	;; [unrolled: 1-line block ×3, first 2 shown]
	s_cbranch_scc1 .LBB72_113
; %bb.114:
	s_bitcmp1_b32 s6, 0
	s_cselect_b64 s[6:7], -1, 0
	s_and_b64 vcc, exec, s[6:7]
	s_cbranch_vccnz .LBB72_117
; %bb.115:
	s_load_dwordx2 s[6:7], s[2:3], 0x18
	s_load_dword s10, s[2:3], 0x20
	s_load_dword s11, s[2:3], 0xe0
	s_load_dwordx2 s[8:9], s[2:3], 0xd8
	s_waitcnt lgkmcnt(0)
	v_mul_hi_u32 v4, s7, v3
	v_add_u32_e32 v4, v3, v4
	v_lshrrev_b32_e32 v4, s10, v4
	v_mul_lo_u32 v4, v4, s6
	v_sub_u32_e32 v4, v3, v4
	v_mad_u64_u32 v[2:3], s[2:3], v4, s8, v[2:3]
	v_mad_u64_u32 v[10:11], s[2:3], v4, s9, v[10:11]
	v_mad_u64_u32 v[12:13], s[2:3], v4, s11, v[12:13]
	s_cbranch_execz .LBB72_118
	s_branch .LBB72_120
.LBB72_116:
                                        ; implicit-def: $vgpr12
                                        ; implicit-def: $vgpr10
                                        ; implicit-def: $vgpr2
	s_branch .LBB72_118
.LBB72_117:
	s_cbranch_execnz .LBB72_120
.LBB72_118:
	s_load_dwordx4 s[8:11], s[4:5], 0x4
	s_load_dwordx4 s[12:15], s[4:5], 0xc4
	s_cmp_lt_u32 s33, 2
	s_waitcnt vmcnt(1) lgkmcnt(0)
	v_mul_hi_u32 v2, s9, v1
	v_add_u32_e32 v2, v1, v2
	v_lshrrev_b32_e32 v3, s10, v2
	v_mul_lo_u32 v2, v3, s8
	v_sub_u32_e32 v1, v1, v2
	v_mul_lo_u32 v2, v1, s12
	v_mul_lo_u32 v12, v1, s14
	;; [unrolled: 1-line block ×3, first 2 shown]
	s_cbranch_scc1 .LBB72_120
; %bb.119:
	s_load_dwordx4 s[8:11], s[4:5], 0x10
	s_load_dwordx4 s[12:15], s[4:5], 0xd0
	s_waitcnt lgkmcnt(0)
	v_mul_hi_u32 v1, s9, v3
	v_add_u32_e32 v1, v3, v1
	v_lshrrev_b32_e32 v1, s10, v1
	v_mul_lo_u32 v1, v1, s8
	v_sub_u32_e32 v1, v3, v1
	v_mad_u64_u32 v[2:3], s[2:3], v1, s12, v[2:3]
	v_mad_u64_u32 v[10:11], s[2:3], v1, s13, v[10:11]
	;; [unrolled: 1-line block ×3, first 2 shown]
.LBB72_120:
	s_and_b64 vcc, exec, s[0:1]
	v_add_u32_e32 v1, 0x100, v14
	s_cbranch_vccnz .LBB72_126
; %bb.121:
	s_cmp_lg_u32 s33, 0
	v_mov_b32_e32 v18, 0
	v_mov_b32_e32 v16, 0
	;; [unrolled: 1-line block ×3, first 2 shown]
	s_cbranch_scc0 .LBB72_127
; %bb.122:
	s_min_u32 s6, s44, 15
	s_add_i32 s2, s6, 1
	s_and_b32 s7, s2, 30
	s_add_u32 s2, s4, 0xffffffec
	s_addc_u32 s3, s5, -1
	v_mov_b32_e32 v4, 0
	v_mov_b32_e32 v3, v1
	;; [unrolled: 1-line block ×4, first 2 shown]
.LBB72_123:                             ; =>This Inner Loop Header: Depth=1
	s_mov_b64 s[16:17], s[2:3]
	s_load_dwordx4 s[8:11], s[16:17], 0x18
	s_load_dwordx2 s[18:19], s[16:17], 0x28
	s_load_dwordx2 s[20:21], s[16:17], 0xe8
	s_load_dwordx4 s[12:15], s[16:17], 0xd8
	s_add_u32 s2, s16, 24
	s_waitcnt lgkmcnt(0)
	v_mul_hi_u32 v5, s9, v3
	v_add_u32_e32 v5, v3, v5
	v_lshrrev_b32_e32 v5, s10, v5
	v_mul_lo_u32 v7, v5, s8
	v_mul_hi_u32 v9, s18, v5
	v_sub_u32_e32 v3, v3, v7
	v_add_u32_e32 v7, v5, v9
	v_mul_lo_u32 v9, v3, s12
	v_mul_lo_u32 v11, v3, s13
	;; [unrolled: 1-line block ×3, first 2 shown]
	v_lshrrev_b32_e32 v3, s19, v7
	v_mul_lo_u32 v7, v3, s11
	v_sub_u32_e32 v5, v5, v7
	s_addc_u32 s3, s17, 0
	s_add_i32 s7, s7, -2
	v_mul_lo_u32 v7, v5, s15
	v_mul_lo_u32 v14, v5, s20
	;; [unrolled: 1-line block ×3, first 2 shown]
	s_cmp_lg_u32 s7, 0
	v_add3_u32 v4, v9, v4, v7
	v_add3_u32 v18, v13, v18, v5
	;; [unrolled: 1-line block ×3, first 2 shown]
	s_cbranch_scc1 .LBB72_123
; %bb.124:
	s_bitcmp1_b32 s6, 0
	s_cselect_b64 s[6:7], -1, 0
	s_and_b64 vcc, exec, s[6:7]
	s_cbranch_vccnz .LBB72_127
; %bb.125:
	s_load_dwordx2 s[6:7], s[2:3], 0x18
	s_load_dword s10, s[2:3], 0x20
	s_load_dword s11, s[2:3], 0xe0
	s_load_dwordx2 s[8:9], s[2:3], 0xd8
	s_waitcnt lgkmcnt(0)
	v_mul_hi_u32 v5, s7, v3
	v_add_u32_e32 v5, v3, v5
	v_lshrrev_b32_e32 v5, s10, v5
	v_mul_lo_u32 v5, v5, s6
	v_sub_u32_e32 v3, v3, v5
	v_mad_u64_u32 v[4:5], s[2:3], v3, s8, v[4:5]
	v_mad_u64_u32 v[16:17], s[2:3], v3, s9, v[16:17]
	;; [unrolled: 1-line block ×3, first 2 shown]
	s_cbranch_execz .LBB72_128
	s_branch .LBB72_130
.LBB72_126:
                                        ; implicit-def: $vgpr18
                                        ; implicit-def: $vgpr16
                                        ; implicit-def: $vgpr4
	s_branch .LBB72_128
.LBB72_127:
	s_cbranch_execnz .LBB72_130
.LBB72_128:
	s_load_dwordx4 s[8:11], s[4:5], 0x4
	s_load_dwordx4 s[12:15], s[4:5], 0xc4
	s_cmp_lt_u32 s33, 2
	s_waitcnt lgkmcnt(0)
	v_mul_hi_u32 v3, s9, v1
	v_add_u32_e32 v3, v1, v3
	v_lshrrev_b32_e32 v3, s10, v3
	v_mul_lo_u32 v4, v3, s8
	v_sub_u32_e32 v1, v1, v4
	v_mul_lo_u32 v4, v1, s12
	v_mul_lo_u32 v18, v1, s14
	;; [unrolled: 1-line block ×3, first 2 shown]
	s_cbranch_scc1 .LBB72_130
; %bb.129:
	s_load_dwordx4 s[8:11], s[4:5], 0x10
	s_load_dwordx4 s[12:15], s[4:5], 0xd0
	s_waitcnt lgkmcnt(0)
	v_mul_hi_u32 v1, s9, v3
	v_add_u32_e32 v1, v3, v1
	v_lshrrev_b32_e32 v1, s10, v1
	v_mul_lo_u32 v1, v1, s8
	v_sub_u32_e32 v1, v3, v1
	v_mad_u64_u32 v[4:5], s[2:3], v1, s12, v[4:5]
	v_mad_u64_u32 v[16:17], s[2:3], v1, s13, v[16:17]
	;; [unrolled: 1-line block ×3, first 2 shown]
.LBB72_130:
	s_and_b64 vcc, exec, s[0:1]
	s_cbranch_vccnz .LBB72_136
; %bb.131:
	s_cmp_lg_u32 s33, 0
	v_mov_b32_e32 v22, 0
	v_mov_b32_e32 v20, 0
	;; [unrolled: 1-line block ×3, first 2 shown]
	s_cbranch_scc0 .LBB72_137
; %bb.132:
	s_min_u32 s2, s44, 15
	s_add_i32 s0, s2, 1
	s_and_b32 s3, s0, 30
	s_add_u32 s0, s4, 0xffffffec
	s_addc_u32 s1, s5, -1
	v_mov_b32_e32 v14, 0
	v_mov_b32_e32 v1, v24
	;; [unrolled: 1-line block ×4, first 2 shown]
.LBB72_133:                             ; =>This Inner Loop Header: Depth=1
	s_mov_b64 s[6:7], s[0:1]
	s_load_dwordx4 s[8:11], s[6:7], 0x18
	s_load_dwordx2 s[16:17], s[6:7], 0x28
	s_load_dwordx2 s[18:19], s[6:7], 0xe8
	s_load_dwordx4 s[12:15], s[6:7], 0xd8
	s_add_u32 s0, s6, 24
	s_waitcnt lgkmcnt(0)
	v_mul_hi_u32 v3, s9, v1
	v_add_u32_e32 v3, v1, v3
	v_lshrrev_b32_e32 v3, s10, v3
	v_mul_lo_u32 v5, v3, s8
	v_mul_hi_u32 v7, s16, v3
	v_sub_u32_e32 v1, v1, v5
	v_add_u32_e32 v5, v3, v7
	v_mul_lo_u32 v7, v1, s12
	v_mul_lo_u32 v9, v1, s13
	;; [unrolled: 1-line block ×3, first 2 shown]
	v_lshrrev_b32_e32 v1, s17, v5
	v_mul_lo_u32 v5, v1, s11
	v_sub_u32_e32 v3, v3, v5
	s_addc_u32 s1, s7, 0
	s_add_i32 s3, s3, -2
	v_mul_lo_u32 v5, v3, s15
	v_mul_lo_u32 v13, v3, s18
	;; [unrolled: 1-line block ×3, first 2 shown]
	s_cmp_lg_u32 s3, 0
	v_add3_u32 v14, v7, v14, v5
	v_add3_u32 v22, v11, v22, v3
	;; [unrolled: 1-line block ×3, first 2 shown]
	s_cbranch_scc1 .LBB72_133
; %bb.134:
	s_bitcmp1_b32 s2, 0
	s_cselect_b64 s[2:3], -1, 0
	s_and_b64 vcc, exec, s[2:3]
	s_cbranch_vccnz .LBB72_137
; %bb.135:
	s_load_dwordx2 s[2:3], s[0:1], 0x18
	s_load_dword s8, s[0:1], 0x20
	s_load_dword s9, s[0:1], 0xe0
	s_load_dwordx2 s[6:7], s[0:1], 0xd8
	s_waitcnt lgkmcnt(0)
	v_mul_hi_u32 v3, s3, v1
	v_add_u32_e32 v3, v1, v3
	v_lshrrev_b32_e32 v3, s8, v3
	v_mul_lo_u32 v3, v3, s2
	v_sub_u32_e32 v1, v1, v3
	v_mad_u64_u32 v[14:15], s[0:1], v1, s6, v[14:15]
	v_mad_u64_u32 v[20:21], s[0:1], v1, s7, v[20:21]
	;; [unrolled: 1-line block ×3, first 2 shown]
	s_cbranch_execz .LBB72_138
	s_branch .LBB72_140
.LBB72_136:
                                        ; implicit-def: $vgpr22
                                        ; implicit-def: $vgpr20
                                        ; implicit-def: $vgpr14
	s_branch .LBB72_138
.LBB72_137:
	s_cbranch_execnz .LBB72_140
.LBB72_138:
	s_load_dwordx4 s[0:3], s[4:5], 0x4
	s_load_dwordx4 s[8:11], s[4:5], 0xc4
	s_cmp_lt_u32 s33, 2
	s_waitcnt lgkmcnt(0)
	v_mul_hi_u32 v1, s1, v24
	v_add_u32_e32 v1, v24, v1
	v_lshrrev_b32_e32 v1, s2, v1
	v_mul_lo_u32 v3, v1, s0
	v_sub_u32_e32 v3, v24, v3
	v_mul_lo_u32 v14, v3, s8
	v_mul_lo_u32 v22, v3, s10
	;; [unrolled: 1-line block ×3, first 2 shown]
	s_cbranch_scc1 .LBB72_140
; %bb.139:
	s_load_dwordx4 s[0:3], s[4:5], 0x10
	s_load_dwordx4 s[8:11], s[4:5], 0xd0
	s_waitcnt lgkmcnt(0)
	v_mul_hi_u32 v3, s1, v1
	v_add_u32_e32 v3, v1, v3
	v_lshrrev_b32_e32 v3, s2, v3
	v_mul_lo_u32 v3, v3, s0
	v_sub_u32_e32 v1, v1, v3
	v_mad_u64_u32 v[14:15], s[0:1], v1, s8, v[14:15]
	v_mad_u64_u32 v[20:21], s[0:1], v1, s9, v[20:21]
	;; [unrolled: 1-line block ×3, first 2 shown]
.LBB72_140:
	s_load_dwordx2 s[6:7], s[4:5], 0x198
	s_mov_b32 s0, 0x2f800000
	s_mov_b32 s1, 0xcf800000
	s_waitcnt lgkmcnt(0)
	global_load_dword v1, v8, s[6:7]
	s_waitcnt vmcnt(0)
	v_trunc_f32_e32 v1, v1
	v_mul_f32_e64 v3, |v1|, s0
	v_floor_f32_e32 v3, v3
	v_fma_f32 v5, v3, s1, |v1|
	v_cvt_u32_f32_e32 v5, v5
	v_cvt_u32_f32_e32 v3, v3
	s_load_dwordx4 s[0:3], s[4:5], 0x188
	v_ashrrev_i32_e32 v1, 31, v1
	v_xor_b32_e32 v5, v5, v1
	v_xor_b32_e32 v3, v3, v1
	v_sub_co_u32_e32 v8, vcc, v5, v1
	v_subb_co_u32_e32 v9, vcc, v3, v1, vcc
	v_cmp_lt_i64_e32 vcc, -1, v[8:9]
	v_mov_b32_e32 v1, 0
	s_and_saveexec_b64 s[4:5], vcc
	s_cbranch_execz .LBB72_152
; %bb.141:
	v_cmp_lt_i64_e32 vcc, 0, v[8:9]
	v_mov_b32_e32 v1, 0x3c00
	s_and_saveexec_b64 s[8:9], vcc
	s_cbranch_execz .LBB72_151
; %bb.142:
	s_waitcnt lgkmcnt(0)
	global_load_ushort v3, v6, s[2:3]
	v_cmp_ne_u64_e32 vcc, 1, v[8:9]
                                        ; implicit-def: $vgpr1
	s_and_saveexec_b64 s[10:11], vcc
	s_xor_b64 s[10:11], exec, s[10:11]
	s_cbranch_execz .LBB72_148
; %bb.143:
	s_mov_b64 s[12:13], 0x81
	v_cmp_gt_u64_e32 vcc, s[12:13], v[8:9]
	v_mov_b32_e32 v1, 0x7e00
	s_and_saveexec_b64 s[12:13], vcc
	s_cbranch_execz .LBB72_147
; %bb.144:
	s_waitcnt vmcnt(0)
	v_cvt_f32_f16_e32 v1, v3
	s_mov_b64 s[16:17], 1
	s_mov_b64 s[14:15], 0
	v_mov_b32_e32 v3, 1.0
	v_mov_b32_e32 v5, v1
.LBB72_145:                             ; =>This Inner Loop Header: Depth=1
	s_flbit_i32_b32 s18, s17
	s_min_u32 s20, s18, 32
	s_lshl_b64 s[18:19], s[16:17], s20
	s_min_u32 s18, s18, 1
	s_or_b32 s18, s19, s18
	v_cvt_f32_u32_e32 v6, s18
	s_sub_i32 s20, 32, s20
	s_add_u32 s16, s16, 1
	s_addc_u32 s17, s17, 0
	v_ldexp_f32 v6, v6, s20
	v_cmp_eq_u64_e32 vcc, s[16:17], v[8:9]
	v_mul_f32_e32 v6, v3, v6
	s_or_b64 s[14:15], vcc, s[14:15]
	v_mov_b32_e32 v3, v5
	v_fma_f32 v5, v5, v1, -v6
	s_andn2_b64 exec, exec, s[14:15]
	s_cbranch_execnz .LBB72_145
; %bb.146:
	s_or_b64 exec, exec, s[14:15]
	v_cvt_f16_f32_e32 v1, v5
.LBB72_147:
	s_or_b64 exec, exec, s[12:13]
                                        ; implicit-def: $vgpr3
.LBB72_148:
	s_andn2_saveexec_b64 s[10:11], s[10:11]
	s_cbranch_execz .LBB72_150
; %bb.149:
	s_waitcnt vmcnt(0)
	v_mov_b32_e32 v1, v3
.LBB72_150:
	s_or_b64 exec, exec, s[10:11]
.LBB72_151:
	s_or_b64 exec, exec, s[8:9]
.LBB72_152:
	s_or_b64 exec, exec, s[4:5]
	global_load_dword v3, v12, s[6:7]
	s_mov_b32 s4, 0x2f800000
	s_mov_b32 s5, 0xcf800000
	s_waitcnt vmcnt(0)
	v_trunc_f32_e32 v3, v3
	v_mul_f32_e64 v5, |v3|, s4
	v_floor_f32_e32 v5, v5
	v_fma_f32 v6, v5, s5, |v3|
	v_cvt_u32_f32_e32 v6, v6
	v_cvt_u32_f32_e32 v5, v5
	v_ashrrev_i32_e32 v3, 31, v3
	v_xor_b32_e32 v6, v6, v3
	v_xor_b32_e32 v5, v5, v3
	v_sub_co_u32_e32 v6, vcc, v6, v3
	v_subb_co_u32_e32 v7, vcc, v5, v3, vcc
	v_cmp_lt_i64_e32 vcc, -1, v[6:7]
	v_mov_b32_e32 v3, 0
	s_and_saveexec_b64 s[4:5], vcc
	s_cbranch_execz .LBB72_164
; %bb.153:
	v_cmp_lt_i64_e32 vcc, 0, v[6:7]
	v_mov_b32_e32 v3, 0x3c00
	s_and_saveexec_b64 s[8:9], vcc
	s_cbranch_execz .LBB72_163
; %bb.154:
	s_waitcnt lgkmcnt(0)
	global_load_ushort v5, v10, s[2:3]
	v_cmp_ne_u64_e32 vcc, 1, v[6:7]
                                        ; implicit-def: $vgpr3
	s_and_saveexec_b64 s[10:11], vcc
	s_xor_b64 s[10:11], exec, s[10:11]
	s_cbranch_execz .LBB72_160
; %bb.155:
	s_mov_b64 s[12:13], 0x81
	v_cmp_gt_u64_e32 vcc, s[12:13], v[6:7]
	v_mov_b32_e32 v3, 0x7e00
	s_and_saveexec_b64 s[12:13], vcc
	s_cbranch_execz .LBB72_159
; %bb.156:
	s_waitcnt vmcnt(0)
	v_cvt_f32_f16_e32 v3, v5
	s_mov_b64 s[16:17], 1
	s_mov_b64 s[14:15], 0
	v_mov_b32_e32 v5, 1.0
	v_mov_b32_e32 v8, v3
.LBB72_157:                             ; =>This Inner Loop Header: Depth=1
	s_flbit_i32_b32 s18, s17
	s_min_u32 s20, s18, 32
	s_lshl_b64 s[18:19], s[16:17], s20
	s_min_u32 s18, s18, 1
	s_or_b32 s18, s19, s18
	v_cvt_f32_u32_e32 v9, s18
	s_sub_i32 s20, 32, s20
	s_add_u32 s16, s16, 1
	s_addc_u32 s17, s17, 0
	v_ldexp_f32 v9, v9, s20
	v_cmp_eq_u64_e32 vcc, s[16:17], v[6:7]
	v_mul_f32_e32 v9, v5, v9
	s_or_b64 s[14:15], vcc, s[14:15]
	v_mov_b32_e32 v5, v8
	v_fma_f32 v8, v8, v3, -v9
	s_andn2_b64 exec, exec, s[14:15]
	s_cbranch_execnz .LBB72_157
; %bb.158:
	s_or_b64 exec, exec, s[14:15]
	v_cvt_f16_f32_e32 v3, v8
.LBB72_159:
	s_or_b64 exec, exec, s[12:13]
                                        ; implicit-def: $vgpr5
.LBB72_160:
	s_andn2_saveexec_b64 s[10:11], s[10:11]
	s_cbranch_execz .LBB72_162
; %bb.161:
	s_waitcnt vmcnt(0)
	v_mov_b32_e32 v3, v5
.LBB72_162:
	s_or_b64 exec, exec, s[10:11]
.LBB72_163:
	s_or_b64 exec, exec, s[8:9]
.LBB72_164:
	s_or_b64 exec, exec, s[4:5]
	global_load_dword v5, v18, s[6:7]
	s_mov_b32 s4, 0x2f800000
	s_mov_b32 s5, 0xcf800000
	s_waitcnt vmcnt(0)
	v_trunc_f32_e32 v5, v5
	v_mul_f32_e64 v6, |v5|, s4
	v_floor_f32_e32 v6, v6
	v_fma_f32 v7, v6, s5, |v5|
	v_cvt_u32_f32_e32 v6, v6
	v_cvt_u32_f32_e32 v7, v7
	v_ashrrev_i32_e32 v5, 31, v5
	v_xor_b32_e32 v8, v6, v5
	v_xor_b32_e32 v6, v7, v5
	v_sub_co_u32_e32 v6, vcc, v6, v5
	v_subb_co_u32_e32 v7, vcc, v8, v5, vcc
	v_cmp_lt_i64_e32 vcc, -1, v[6:7]
	v_mov_b32_e32 v5, 0
	s_and_saveexec_b64 s[4:5], vcc
	s_cbranch_execz .LBB72_176
; %bb.165:
	v_cmp_lt_i64_e32 vcc, 0, v[6:7]
	v_mov_b32_e32 v5, 0x3c00
	s_and_saveexec_b64 s[8:9], vcc
	s_cbranch_execz .LBB72_175
; %bb.166:
	s_waitcnt lgkmcnt(0)
	global_load_ushort v8, v16, s[2:3]
	v_cmp_ne_u64_e32 vcc, 1, v[6:7]
                                        ; implicit-def: $vgpr5
	s_and_saveexec_b64 s[10:11], vcc
	s_xor_b64 s[10:11], exec, s[10:11]
	s_cbranch_execz .LBB72_172
; %bb.167:
	s_mov_b64 s[12:13], 0x81
	v_cmp_gt_u64_e32 vcc, s[12:13], v[6:7]
	v_mov_b32_e32 v5, 0x7e00
	s_and_saveexec_b64 s[12:13], vcc
	s_cbranch_execz .LBB72_171
; %bb.168:
	s_waitcnt vmcnt(0)
	v_cvt_f32_f16_e32 v5, v8
	s_mov_b64 s[16:17], 1
	s_mov_b64 s[14:15], 0
	v_mov_b32_e32 v8, 1.0
	v_mov_b32_e32 v9, v5
.LBB72_169:                             ; =>This Inner Loop Header: Depth=1
	s_flbit_i32_b32 s18, s17
	s_min_u32 s20, s18, 32
	s_lshl_b64 s[18:19], s[16:17], s20
	s_min_u32 s18, s18, 1
	s_or_b32 s18, s19, s18
	v_cvt_f32_u32_e32 v10, s18
	s_sub_i32 s20, 32, s20
	s_add_u32 s16, s16, 1
	s_addc_u32 s17, s17, 0
	v_ldexp_f32 v10, v10, s20
	v_cmp_eq_u64_e32 vcc, s[16:17], v[6:7]
	v_mul_f32_e32 v10, v8, v10
	s_or_b64 s[14:15], vcc, s[14:15]
	v_mov_b32_e32 v8, v9
	v_fma_f32 v9, v9, v5, -v10
	s_andn2_b64 exec, exec, s[14:15]
	s_cbranch_execnz .LBB72_169
; %bb.170:
	s_or_b64 exec, exec, s[14:15]
	v_cvt_f16_f32_e32 v5, v9
.LBB72_171:
	s_or_b64 exec, exec, s[12:13]
                                        ; implicit-def: $vgpr8
.LBB72_172:
	s_andn2_saveexec_b64 s[10:11], s[10:11]
	s_cbranch_execz .LBB72_174
; %bb.173:
	s_waitcnt vmcnt(0)
	v_mov_b32_e32 v5, v8
.LBB72_174:
	s_or_b64 exec, exec, s[10:11]
.LBB72_175:
	s_or_b64 exec, exec, s[8:9]
.LBB72_176:
	s_or_b64 exec, exec, s[4:5]
	global_load_dword v6, v22, s[6:7]
	s_mov_b32 s4, 0x2f800000
	s_mov_b32 s5, 0xcf800000
	s_waitcnt vmcnt(0)
	v_trunc_f32_e32 v6, v6
	v_mul_f32_e64 v7, |v6|, s4
	v_floor_f32_e32 v7, v7
	v_fma_f32 v8, v7, s5, |v6|
	v_cvt_u32_f32_e32 v8, v8
	v_cvt_u32_f32_e32 v7, v7
	v_ashrrev_i32_e32 v9, 31, v6
	v_xor_b32_e32 v6, v8, v9
	v_xor_b32_e32 v7, v7, v9
	v_sub_co_u32_e32 v6, vcc, v6, v9
	v_subb_co_u32_e32 v7, vcc, v7, v9, vcc
	v_cmp_lt_i64_e32 vcc, -1, v[6:7]
	v_mov_b32_e32 v8, 0
	s_and_saveexec_b64 s[4:5], vcc
	s_cbranch_execz .LBB72_188
; %bb.177:
	v_cmp_lt_i64_e32 vcc, 0, v[6:7]
	v_mov_b32_e32 v8, 0x3c00
	s_and_saveexec_b64 s[6:7], vcc
	s_cbranch_execz .LBB72_187
; %bb.178:
	s_waitcnt lgkmcnt(0)
	global_load_ushort v9, v20, s[2:3]
	v_cmp_ne_u64_e32 vcc, 1, v[6:7]
                                        ; implicit-def: $vgpr8
	s_and_saveexec_b64 s[2:3], vcc
	s_xor_b64 s[2:3], exec, s[2:3]
	s_cbranch_execz .LBB72_184
; %bb.179:
	s_mov_b64 s[8:9], 0x81
	v_cmp_gt_u64_e32 vcc, s[8:9], v[6:7]
	v_mov_b32_e32 v8, 0x7e00
	s_and_saveexec_b64 s[8:9], vcc
	s_cbranch_execz .LBB72_183
; %bb.180:
	s_waitcnt vmcnt(0)
	v_cvt_f32_f16_e32 v8, v9
	s_mov_b64 s[12:13], 1
	s_mov_b64 s[10:11], 0
	v_mov_b32_e32 v9, 1.0
	v_mov_b32_e32 v10, v8
.LBB72_181:                             ; =>This Inner Loop Header: Depth=1
	s_flbit_i32_b32 s14, s13
	s_min_u32 s16, s14, 32
	s_lshl_b64 s[14:15], s[12:13], s16
	s_min_u32 s14, s14, 1
	s_or_b32 s14, s15, s14
	v_cvt_f32_u32_e32 v11, s14
	s_sub_i32 s16, 32, s16
	s_add_u32 s12, s12, 1
	s_addc_u32 s13, s13, 0
	v_ldexp_f32 v11, v11, s16
	v_cmp_eq_u64_e32 vcc, s[12:13], v[6:7]
	v_mul_f32_e32 v11, v9, v11
	s_or_b64 s[10:11], vcc, s[10:11]
	v_mov_b32_e32 v9, v10
	v_fma_f32 v10, v10, v8, -v11
	s_andn2_b64 exec, exec, s[10:11]
	s_cbranch_execnz .LBB72_181
; %bb.182:
	s_or_b64 exec, exec, s[10:11]
	v_cvt_f16_f32_e32 v8, v10
.LBB72_183:
	s_or_b64 exec, exec, s[8:9]
                                        ; implicit-def: $vgpr9
.LBB72_184:
	s_andn2_saveexec_b64 s[2:3], s[2:3]
	s_cbranch_execz .LBB72_186
; %bb.185:
	s_waitcnt vmcnt(0)
	v_mov_b32_e32 v8, v9
.LBB72_186:
	s_or_b64 exec, exec, s[2:3]
.LBB72_187:
	s_or_b64 exec, exec, s[6:7]
.LBB72_188:
	s_or_b64 exec, exec, s[4:5]
	s_waitcnt lgkmcnt(0)
	global_store_short v0, v1, s[0:1]
	global_store_short v2, v3, s[0:1]
	;; [unrolled: 1-line block ×4, first 2 shown]
	s_endpgm
	.section	.rodata,"a",@progbits
	.p2align	6, 0x0
	.amdhsa_kernel _ZN2at6native32elementwise_kernel_manual_unrollILi128ELi4EZNS0_12_GLOBAL__N_142type_specialized_broadcast_kernel_launcherILi5EE5applyINS0_13BinaryFunctorIfffZZZNS2_33hermite_polynomial_he_kernel_cudaERNS_18TensorIteratorBaseEENKUlvE_clEvENKUlvE0_clEvEUlffE_EESt5arrayIPcLm3EESD_IN3c1010ScalarTypeELm3EE16OffsetCalculatorILi3EjLb0EEEEvlT_T0_T1_T2_EUlibE_EEviSN_
		.amdhsa_group_segment_fixed_size 0
		.amdhsa_private_segment_fixed_size 0
		.amdhsa_kernarg_size 432
		.amdhsa_user_sgpr_count 6
		.amdhsa_user_sgpr_private_segment_buffer 1
		.amdhsa_user_sgpr_dispatch_ptr 0
		.amdhsa_user_sgpr_queue_ptr 0
		.amdhsa_user_sgpr_kernarg_segment_ptr 1
		.amdhsa_user_sgpr_dispatch_id 0
		.amdhsa_user_sgpr_flat_scratch_init 0
		.amdhsa_user_sgpr_kernarg_preload_length 0
		.amdhsa_user_sgpr_kernarg_preload_offset 0
		.amdhsa_user_sgpr_private_segment_size 0
		.amdhsa_uses_dynamic_stack 0
		.amdhsa_system_sgpr_private_segment_wavefront_offset 0
		.amdhsa_system_sgpr_workgroup_id_x 1
		.amdhsa_system_sgpr_workgroup_id_y 0
		.amdhsa_system_sgpr_workgroup_id_z 0
		.amdhsa_system_sgpr_workgroup_info 0
		.amdhsa_system_vgpr_workitem_id 0
		.amdhsa_next_free_vgpr 25
		.amdhsa_next_free_sgpr 54
		.amdhsa_accum_offset 28
		.amdhsa_reserve_vcc 1
		.amdhsa_reserve_flat_scratch 0
		.amdhsa_float_round_mode_32 0
		.amdhsa_float_round_mode_16_64 0
		.amdhsa_float_denorm_mode_32 3
		.amdhsa_float_denorm_mode_16_64 3
		.amdhsa_dx10_clamp 1
		.amdhsa_ieee_mode 1
		.amdhsa_fp16_overflow 0
		.amdhsa_tg_split 0
		.amdhsa_exception_fp_ieee_invalid_op 0
		.amdhsa_exception_fp_denorm_src 0
		.amdhsa_exception_fp_ieee_div_zero 0
		.amdhsa_exception_fp_ieee_overflow 0
		.amdhsa_exception_fp_ieee_underflow 0
		.amdhsa_exception_fp_ieee_inexact 0
		.amdhsa_exception_int_div_zero 0
	.end_amdhsa_kernel
	.section	.text._ZN2at6native32elementwise_kernel_manual_unrollILi128ELi4EZNS0_12_GLOBAL__N_142type_specialized_broadcast_kernel_launcherILi5EE5applyINS0_13BinaryFunctorIfffZZZNS2_33hermite_polynomial_he_kernel_cudaERNS_18TensorIteratorBaseEENKUlvE_clEvENKUlvE0_clEvEUlffE_EESt5arrayIPcLm3EESD_IN3c1010ScalarTypeELm3EE16OffsetCalculatorILi3EjLb0EEEEvlT_T0_T1_T2_EUlibE_EEviSN_,"axG",@progbits,_ZN2at6native32elementwise_kernel_manual_unrollILi128ELi4EZNS0_12_GLOBAL__N_142type_specialized_broadcast_kernel_launcherILi5EE5applyINS0_13BinaryFunctorIfffZZZNS2_33hermite_polynomial_he_kernel_cudaERNS_18TensorIteratorBaseEENKUlvE_clEvENKUlvE0_clEvEUlffE_EESt5arrayIPcLm3EESD_IN3c1010ScalarTypeELm3EE16OffsetCalculatorILi3EjLb0EEEEvlT_T0_T1_T2_EUlibE_EEviSN_,comdat
.Lfunc_end72:
	.size	_ZN2at6native32elementwise_kernel_manual_unrollILi128ELi4EZNS0_12_GLOBAL__N_142type_specialized_broadcast_kernel_launcherILi5EE5applyINS0_13BinaryFunctorIfffZZZNS2_33hermite_polynomial_he_kernel_cudaERNS_18TensorIteratorBaseEENKUlvE_clEvENKUlvE0_clEvEUlffE_EESt5arrayIPcLm3EESD_IN3c1010ScalarTypeELm3EE16OffsetCalculatorILi3EjLb0EEEEvlT_T0_T1_T2_EUlibE_EEviSN_, .Lfunc_end72-_ZN2at6native32elementwise_kernel_manual_unrollILi128ELi4EZNS0_12_GLOBAL__N_142type_specialized_broadcast_kernel_launcherILi5EE5applyINS0_13BinaryFunctorIfffZZZNS2_33hermite_polynomial_he_kernel_cudaERNS_18TensorIteratorBaseEENKUlvE_clEvENKUlvE0_clEvEUlffE_EESt5arrayIPcLm3EESD_IN3c1010ScalarTypeELm3EE16OffsetCalculatorILi3EjLb0EEEEvlT_T0_T1_T2_EUlibE_EEviSN_
                                        ; -- End function
	.section	.AMDGPU.csdata,"",@progbits
; Kernel info:
; codeLenInByte = 6976
; NumSgprs: 58
; NumVgprs: 25
; NumAgprs: 0
; TotalNumVgprs: 25
; ScratchSize: 0
; MemoryBound: 0
; FloatMode: 240
; IeeeMode: 1
; LDSByteSize: 0 bytes/workgroup (compile time only)
; SGPRBlocks: 7
; VGPRBlocks: 3
; NumSGPRsForWavesPerEU: 58
; NumVGPRsForWavesPerEU: 25
; AccumOffset: 28
; Occupancy: 8
; WaveLimiterHint : 1
; COMPUTE_PGM_RSRC2:SCRATCH_EN: 0
; COMPUTE_PGM_RSRC2:USER_SGPR: 6
; COMPUTE_PGM_RSRC2:TRAP_HANDLER: 0
; COMPUTE_PGM_RSRC2:TGID_X_EN: 1
; COMPUTE_PGM_RSRC2:TGID_Y_EN: 0
; COMPUTE_PGM_RSRC2:TGID_Z_EN: 0
; COMPUTE_PGM_RSRC2:TIDIG_COMP_CNT: 0
; COMPUTE_PGM_RSRC3_GFX90A:ACCUM_OFFSET: 6
; COMPUTE_PGM_RSRC3_GFX90A:TG_SPLIT: 0
	.section	.text._ZN2at6native32elementwise_kernel_manual_unrollILi128ELi4EZNS0_15gpu_kernel_implINS0_13BinaryFunctorIfffZZZNS0_12_GLOBAL__N_133hermite_polynomial_he_kernel_cudaERNS_18TensorIteratorBaseEENKUlvE_clEvENKUlvE0_clEvEUlffE_EEEEvS6_RKT_EUlibE0_EEviT1_,"axG",@progbits,_ZN2at6native32elementwise_kernel_manual_unrollILi128ELi4EZNS0_15gpu_kernel_implINS0_13BinaryFunctorIfffZZZNS0_12_GLOBAL__N_133hermite_polynomial_he_kernel_cudaERNS_18TensorIteratorBaseEENKUlvE_clEvENKUlvE0_clEvEUlffE_EEEEvS6_RKT_EUlibE0_EEviT1_,comdat
	.globl	_ZN2at6native32elementwise_kernel_manual_unrollILi128ELi4EZNS0_15gpu_kernel_implINS0_13BinaryFunctorIfffZZZNS0_12_GLOBAL__N_133hermite_polynomial_he_kernel_cudaERNS_18TensorIteratorBaseEENKUlvE_clEvENKUlvE0_clEvEUlffE_EEEEvS6_RKT_EUlibE0_EEviT1_ ; -- Begin function _ZN2at6native32elementwise_kernel_manual_unrollILi128ELi4EZNS0_15gpu_kernel_implINS0_13BinaryFunctorIfffZZZNS0_12_GLOBAL__N_133hermite_polynomial_he_kernel_cudaERNS_18TensorIteratorBaseEENKUlvE_clEvENKUlvE0_clEvEUlffE_EEEEvS6_RKT_EUlibE0_EEviT1_
	.p2align	8
	.type	_ZN2at6native32elementwise_kernel_manual_unrollILi128ELi4EZNS0_15gpu_kernel_implINS0_13BinaryFunctorIfffZZZNS0_12_GLOBAL__N_133hermite_polynomial_he_kernel_cudaERNS_18TensorIteratorBaseEENKUlvE_clEvENKUlvE0_clEvEUlffE_EEEEvS6_RKT_EUlibE0_EEviT1_,@function
_ZN2at6native32elementwise_kernel_manual_unrollILi128ELi4EZNS0_15gpu_kernel_implINS0_13BinaryFunctorIfffZZZNS0_12_GLOBAL__N_133hermite_polynomial_he_kernel_cudaERNS_18TensorIteratorBaseEENKUlvE_clEvENKUlvE0_clEvEUlffE_EEEEvS6_RKT_EUlibE0_EEviT1_: ; @_ZN2at6native32elementwise_kernel_manual_unrollILi128ELi4EZNS0_15gpu_kernel_implINS0_13BinaryFunctorIfffZZZNS0_12_GLOBAL__N_133hermite_polynomial_he_kernel_cudaERNS_18TensorIteratorBaseEENKUlvE_clEvENKUlvE0_clEvEUlffE_EEEEvS6_RKT_EUlibE0_EEviT1_
; %bb.0:
	s_load_dword s70, s[4:5], 0x0
	s_load_dword s33, s[4:5], 0x8
	s_or_b32 s2, s4, 8
	v_lshl_or_b32 v9, s6, 9, v0
	v_or_b32_e32 v24, 0x180, v9
	s_mov_b32 s3, s5
	s_waitcnt lgkmcnt(0)
	s_add_i32 s68, s33, -1
	s_cmp_gt_u32 s68, 1
	v_cmp_le_i32_e32 vcc, s70, v24
	s_cselect_b64 s[20:21], -1, 0
	s_mov_b64 s[6:7], 0
	s_mov_b64 s[12:13], 0
	s_and_saveexec_b64 s[0:1], vcc
	s_xor_b64 s[22:23], exec, s[0:1]
	s_cbranch_execz .LBB73_1633
; %bb.1:
	v_mov_b32_e32 v0, 0
	global_load_ushort v6, v0, s[2:3] offset:417
	global_load_sbyte v7, v0, s[2:3] offset:419
	s_load_dwordx4 s[16:19], s[2:3], 0x4
	s_load_dwordx2 s[28:29], s[2:3], 0x14
	s_load_dwordx4 s[12:15], s[2:3], 0xc4
	s_load_dwordx2 s[26:27], s[2:3], 0xd4
	s_load_dwordx2 s[24:25], s[2:3], 0x198
	s_load_dwordx4 s[8:11], s[2:3], 0x188
	s_cmp_lg_u32 s33, 0
	s_cselect_b64 s[34:35], -1, 0
	s_min_u32 s69, s68, 15
	s_cmp_gt_u32 s33, 1
	v_cmp_gt_i32_e32 vcc, s70, v9
	s_mov_b64 s[0:1], -1
	s_mov_b64 s[46:47], 0
	s_mov_b64 s[40:41], 0
	;; [unrolled: 1-line block ×3, first 2 shown]
	s_cselect_b64 s[30:31], -1, 0
	s_mov_b64 s[36:37], 0
	s_waitcnt vmcnt(1)
	v_lshrrev_b32_e32 v8, 8, v6
	s_and_saveexec_b64 s[42:43], vcc
	s_cbranch_execz .LBB73_405
; %bb.2:
	s_andn2_b64 vcc, exec, s[20:21]
	s_cbranch_vccnz .LBB73_9
; %bb.3:
	s_andn2_b64 vcc, exec, s[34:35]
	v_mov_b32_e32 v2, 0
	v_mov_b32_e32 v4, 0
	;; [unrolled: 1-line block ×3, first 2 shown]
	s_cbranch_vccnz .LBB73_8
; %bb.4:
	s_add_i32 s0, s69, 1
	s_and_b32 s36, s0, 30
	s_add_u32 s0, s2, 0xffffffec
	s_addc_u32 s1, s3, -1
	v_mov_b32_e32 v0, 0
	v_mov_b32_e32 v1, v9
	;; [unrolled: 1-line block ×4, first 2 shown]
.LBB73_5:                               ; =>This Inner Loop Header: Depth=1
	s_mov_b64 s[38:39], s[0:1]
	s_load_dwordx4 s[48:51], s[38:39], 0x18
	s_load_dwordx2 s[40:41], s[38:39], 0x28
	s_load_dwordx2 s[44:45], s[38:39], 0xe8
	s_load_dwordx4 s[52:55], s[38:39], 0xd8
	s_add_u32 s0, s38, 24
	s_waitcnt lgkmcnt(0)
	v_mul_hi_u32 v3, s49, v1
	v_add_u32_e32 v3, v1, v3
	v_lshrrev_b32_e32 v3, s50, v3
	v_mul_lo_u32 v5, v3, s48
	v_mul_hi_u32 v10, s40, v3
	v_sub_u32_e32 v1, v1, v5
	v_add_u32_e32 v5, v3, v10
	v_mul_lo_u32 v10, v1, s52
	v_mul_lo_u32 v11, v1, s53
	;; [unrolled: 1-line block ×3, first 2 shown]
	v_lshrrev_b32_e32 v1, s41, v5
	v_mul_lo_u32 v5, v1, s51
	v_sub_u32_e32 v3, v3, v5
	s_addc_u32 s1, s39, 0
	s_add_i32 s36, s36, -2
	v_mul_lo_u32 v5, v3, s55
	v_mul_lo_u32 v13, v3, s44
	;; [unrolled: 1-line block ×3, first 2 shown]
	s_cmp_lg_u32 s36, 0
	v_add3_u32 v0, v10, v0, v5
	v_add3_u32 v2, v12, v2, v3
	;; [unrolled: 1-line block ×3, first 2 shown]
	s_cbranch_scc1 .LBB73_5
; %bb.6:
	s_bitcmp1_b32 s69, 0
	s_cselect_b64 s[36:37], -1, 0
	s_and_b64 vcc, exec, s[36:37]
	s_cbranch_vccnz .LBB73_8
; %bb.7:
	s_load_dwordx2 s[36:37], s[0:1], 0x18
	s_load_dword s38, s[0:1], 0x20
	s_load_dword s39, s[0:1], 0xe0
	s_nop 0
	s_load_dwordx2 s[0:1], s[0:1], 0xd8
	s_waitcnt lgkmcnt(0)
	v_mul_hi_u32 v3, s37, v1
	v_add_u32_e32 v3, v1, v3
	v_lshrrev_b32_e32 v3, s38, v3
	v_mul_lo_u32 v3, v3, s36
	v_sub_u32_e32 v3, v1, v3
	v_mad_u64_u32 v[0:1], s[36:37], v3, s0, v[0:1]
	v_mad_u64_u32 v[4:5], s[0:1], v3, s1, v[4:5]
	;; [unrolled: 1-line block ×3, first 2 shown]
.LBB73_8:
	s_cbranch_execz .LBB73_10
	s_branch .LBB73_12
.LBB73_9:
                                        ; implicit-def: $vgpr2
                                        ; implicit-def: $vgpr4
                                        ; implicit-def: $vgpr0
	s_andn2_b64 vcc, exec, s[0:1]
	s_cbranch_vccnz .LBB73_12
.LBB73_10:
	s_waitcnt lgkmcnt(0)
	v_mul_hi_u32 v0, s17, v9
	v_add_u32_e32 v0, v9, v0
	v_lshrrev_b32_e32 v1, s18, v0
	v_mul_lo_u32 v0, v1, s16
	v_sub_u32_e32 v3, v9, v0
	v_mul_lo_u32 v0, v3, s12
	v_mul_lo_u32 v2, v3, s14
	s_andn2_b64 vcc, exec, s[30:31]
	v_mul_lo_u32 v4, v3, s13
	s_cbranch_vccnz .LBB73_12
; %bb.11:
	v_mul_hi_u32 v3, s28, v1
	v_add_u32_e32 v3, v1, v3
	v_lshrrev_b32_e32 v3, s29, v3
	v_mul_lo_u32 v3, v3, s19
	v_sub_u32_e32 v3, v1, v3
	v_mad_u64_u32 v[0:1], s[0:1], v3, s15, v[0:1]
	v_mad_u64_u32 v[4:5], s[0:1], v3, s26, v[4:5]
	;; [unrolled: 1-line block ×3, first 2 shown]
.LBB73_12:
	s_waitcnt lgkmcnt(0)
	v_mov_b32_e32 v1, s11
	v_add_co_u32_e32 v4, vcc, s10, v4
	v_addc_co_u32_e32 v5, vcc, 0, v1, vcc
	v_mov_b32_e32 v1, 11
	v_cmp_lt_i16_sdwa s[0:1], v8, v1 src0_sel:BYTE_0 src1_sel:DWORD
	s_and_b64 vcc, exec, s[0:1]
	s_cbranch_vccnz .LBB73_19
; %bb.13:
	v_mov_b32_e32 v1, 25
	v_cmp_gt_i16_sdwa s[0:1], v8, v1 src0_sel:BYTE_0 src1_sel:DWORD
	s_and_b64 vcc, exec, s[0:1]
	s_cbranch_vccz .LBB73_28
; %bb.14:
	v_mov_b32_e32 v1, 28
	v_cmp_gt_i16_sdwa s[0:1], v8, v1 src0_sel:BYTE_0 src1_sel:DWORD
	s_and_b64 vcc, exec, s[0:1]
	s_cbranch_vccz .LBB73_50
	;; [unrolled: 5-line block ×4, first 2 shown]
; %bb.17:
	v_mov_b32_e32 v1, 46
	v_cmp_eq_u16_sdwa s[0:1], v8, v1 src0_sel:BYTE_0 src1_sel:DWORD
	s_mov_b64 s[36:37], 0
	s_and_b64 vcc, exec, s[0:1]
	s_cbranch_vccz .LBB73_59
; %bb.18:
	global_load_dword v1, v[4:5], off
	s_mov_b64 s[0:1], -1
	s_mov_b64 s[40:41], 0
	s_waitcnt vmcnt(0)
	v_lshlrev_b32_e32 v1, 16, v1
	s_branch .LBB73_61
.LBB73_19:
	s_mov_b64 s[40:41], 0
                                        ; implicit-def: $vgpr1
	s_mov_b64 s[0:1], 0
	s_cbranch_execnz .LBB73_127
.LBB73_20:
	s_andn2_b64 vcc, exec, s[0:1]
	s_cbranch_vccnz .LBB73_174
.LBB73_21:
	v_mov_b32_e32 v3, s25
	v_add_co_u32_e32 v2, vcc, s24, v2
	v_mov_b32_e32 v4, 11
	v_addc_co_u32_e32 v3, vcc, 0, v3, vcc
	s_waitcnt vmcnt(0)
	v_cmp_lt_i16_sdwa s[0:1], v7, v4 src0_sel:BYTE_0 src1_sel:DWORD
	s_and_b64 vcc, exec, s[0:1]
	s_cbranch_vccnz .LBB73_29
; %bb.22:
	v_mov_b32_e32 v4, 25
	v_cmp_gt_i16_sdwa s[0:1], v7, v4 src0_sel:BYTE_0 src1_sel:DWORD
	s_and_b64 vcc, exec, s[0:1]
	s_cbranch_vccz .LBB73_51
; %bb.23:
	v_mov_b32_e32 v4, 28
	v_cmp_gt_i16_sdwa s[0:1], v7, v4 src0_sel:BYTE_0 src1_sel:DWORD
	s_and_b64 vcc, exec, s[0:1]
	s_cbranch_vccz .LBB73_54
	;; [unrolled: 5-line block ×4, first 2 shown]
; %bb.26:
	v_mov_b32_e32 v4, 46
	v_cmp_eq_u16_sdwa s[0:1], v7, v4 src0_sel:BYTE_0 src1_sel:DWORD
	s_mov_b64 s[36:37], 0
	s_and_b64 vcc, exec, s[0:1]
	s_cbranch_vccz .LBB73_175
; %bb.27:
	global_load_dword v4, v[2:3], off
	s_mov_b64 s[0:1], -1
	s_mov_b64 s[38:39], 0
	s_waitcnt vmcnt(0)
	v_lshlrev_b32_e32 v4, 16, v4
	s_branch .LBB73_177
.LBB73_28:
	s_mov_b64 s[40:41], 0
	s_mov_b64 s[0:1], 0
                                        ; implicit-def: $vgpr1
	s_cbranch_execnz .LBB73_92
	s_branch .LBB73_126
.LBB73_29:
	s_mov_b64 s[38:39], 0
                                        ; implicit-def: $vgpr4
	s_mov_b64 s[0:1], 0
	s_cbranch_execnz .LBB73_354
.LBB73_30:
	s_andn2_b64 vcc, exec, s[0:1]
	s_cbranch_vccnz .LBB73_402
.LBB73_31:
	s_waitcnt vmcnt(0)
	v_trunc_f32_e32 v2, v4
	s_mov_b32 s0, 0x2f800000
	v_mul_f32_e64 v3, |v2|, s0
	v_floor_f32_e32 v3, v3
	s_mov_b32 s0, 0xcf800000
	v_cvt_u32_f32_e32 v4, v3
	v_fma_f32 v3, v3, s0, |v2|
	v_cvt_u32_f32_e32 v3, v3
	v_ashrrev_i32_e32 v2, 31, v2
	v_xor_b32_e32 v5, v4, v2
	v_xor_b32_e32 v3, v3, v2
	v_sub_co_u32_e32 v4, vcc, v3, v2
	v_subb_co_u32_e32 v5, vcc, v5, v2, vcc
	v_cmp_lt_i64_e32 vcc, -1, v[4:5]
	v_mov_b32_e32 v2, 0
	s_and_saveexec_b64 s[0:1], vcc
	s_cbranch_execz .LBB73_43
; %bb.32:
	v_cmp_lt_i64_e32 vcc, 0, v[4:5]
	v_mov_b32_e32 v2, 1.0
	s_and_saveexec_b64 s[36:37], vcc
	s_cbranch_execz .LBB73_42
; %bb.33:
	v_cmp_ne_u64_e32 vcc, 1, v[4:5]
                                        ; implicit-def: $vgpr2
	s_and_saveexec_b64 s[44:45], vcc
	s_xor_b64 s[44:45], exec, s[44:45]
	s_cbranch_execz .LBB73_39
; %bb.34:
	s_mov_b64 s[48:49], 0x81
	v_cmp_gt_u64_e32 vcc, s[48:49], v[4:5]
	v_mov_b32_e32 v2, 0x7fc00000
	s_and_saveexec_b64 s[48:49], vcc
	s_cbranch_execz .LBB73_38
; %bb.35:
	s_mov_b64 s[52:53], 1
	s_mov_b64 s[50:51], 0
	v_mov_b32_e32 v3, 1.0
	v_mov_b32_e32 v2, v1
.LBB73_36:                              ; =>This Inner Loop Header: Depth=1
	s_flbit_i32_b32 s54, s53
	s_min_u32 s56, s54, 32
	s_lshl_b64 s[54:55], s[52:53], s56
	s_min_u32 s54, s54, 1
	s_or_b32 s54, s55, s54
	v_cvt_f32_u32_e32 v10, s54
	s_sub_i32 s56, 32, s56
	s_add_u32 s52, s52, 1
	s_addc_u32 s53, s53, 0
	v_ldexp_f32 v10, v10, s56
	v_cmp_eq_u64_e32 vcc, s[52:53], v[4:5]
	v_mul_f32_e32 v10, v3, v10
	s_or_b64 s[50:51], vcc, s[50:51]
	v_mov_b32_e32 v3, v2
	v_fma_f32 v2, v1, v2, -v10
	s_andn2_b64 exec, exec, s[50:51]
	s_cbranch_execnz .LBB73_36
; %bb.37:
	s_or_b64 exec, exec, s[50:51]
.LBB73_38:
	s_or_b64 exec, exec, s[48:49]
                                        ; implicit-def: $vgpr1
.LBB73_39:
	s_andn2_saveexec_b64 s[44:45], s[44:45]
; %bb.40:
	v_mov_b32_e32 v2, v1
; %bb.41:
	s_or_b64 exec, exec, s[44:45]
.LBB73_42:
	s_or_b64 exec, exec, s[36:37]
.LBB73_43:
	s_or_b64 exec, exec, s[0:1]
	v_mov_b32_e32 v1, s9
	v_add_co_u32_e32 v0, vcc, s8, v0
	v_mov_b32_e32 v3, 11
	v_addc_co_u32_e32 v1, vcc, 0, v1, vcc
	v_cmp_lt_i16_sdwa s[0:1], v6, v3 src0_sel:BYTE_0 src1_sel:DWORD
	s_and_b64 vcc, exec, s[0:1]
	s_cbranch_vccnz .LBB73_52
; %bb.44:
	v_mov_b32_e32 v3, 25
	v_cmp_gt_i16_sdwa s[0:1], v6, v3 src0_sel:BYTE_0 src1_sel:DWORD
	s_and_b64 vcc, exec, s[0:1]
	s_cbranch_vccz .LBB73_55
; %bb.45:
	v_mov_b32_e32 v3, 28
	v_cmp_gt_i16_sdwa s[0:1], v6, v3 src0_sel:BYTE_0 src1_sel:DWORD
	s_and_b64 vcc, exec, s[0:1]
	s_cbranch_vccz .LBB73_58
	;; [unrolled: 5-line block ×4, first 2 shown]
; %bb.48:
	v_mov_b32_e32 v3, 46
	v_cmp_eq_u16_sdwa s[36:37], v6, v3 src0_sel:BYTE_0 src1_sel:DWORD
	s_mov_b64 s[44:45], 0
	s_mov_b64 s[0:1], -1
	s_and_b64 vcc, exec, s[36:37]
	s_mov_b64 s[36:37], 0
	s_cbranch_vccz .LBB73_181
; %bb.49:
	v_bfe_u32 v3, v2, 16, 1
	s_movk_i32 s0, 0x7fff
	v_add3_u32 v3, v2, v3, s0
	v_lshrrev_b32_e32 v3, 16, v3
	v_mov_b32_e32 v4, 0x7fc0
	v_cmp_o_f32_e32 vcc, v2, v2
	v_cndmask_b32_e32 v3, v4, v3, vcc
	global_store_dword v[0:1], v3, off
	s_mov_b64 s[36:37], -1
	s_mov_b64 s[0:1], 0
	s_branch .LBB73_181
.LBB73_50:
	s_mov_b64 s[36:37], -1
	s_mov_b64 s[40:41], 0
	s_mov_b64 s[0:1], 0
                                        ; implicit-def: $vgpr1
	s_branch .LBB73_73
.LBB73_51:
	s_mov_b64 s[36:37], -1
	s_mov_b64 s[38:39], 0
	s_mov_b64 s[0:1], 0
                                        ; implicit-def: $vgpr4
	s_branch .LBB73_318
.LBB73_52:
	s_mov_b64 s[44:45], -1
	s_mov_b64 s[0:1], 0
	s_mov_b64 s[36:37], 0
	s_branch .LBB73_250
.LBB73_53:
	s_mov_b64 s[36:37], -1
	s_mov_b64 s[40:41], 0
	s_mov_b64 s[0:1], 0
                                        ; implicit-def: $vgpr1
	s_branch .LBB73_68
.LBB73_54:
	s_mov_b64 s[36:37], -1
	s_mov_b64 s[38:39], 0
	s_mov_b64 s[0:1], 0
                                        ; implicit-def: $vgpr4
	s_branch .LBB73_299
.LBB73_55:
	s_mov_b64 s[44:45], -1
	s_mov_b64 s[0:1], 0
	s_mov_b64 s[36:37], 0
	s_branch .LBB73_208
.LBB73_56:
	s_mov_b64 s[36:37], -1
	s_mov_b64 s[40:41], 0
	s_branch .LBB73_60
.LBB73_57:
	s_mov_b64 s[36:37], -1
	s_mov_b64 s[38:39], 0
	s_mov_b64 s[0:1], 0
                                        ; implicit-def: $vgpr4
	s_branch .LBB73_294
.LBB73_58:
	s_mov_b64 s[44:45], -1
	s_mov_b64 s[0:1], 0
	s_mov_b64 s[36:37], 0
	s_branch .LBB73_191
.LBB73_59:
	s_mov_b64 s[40:41], -1
.LBB73_60:
	s_mov_b64 s[0:1], 0
                                        ; implicit-def: $vgpr1
.LBB73_61:
	s_and_b64 vcc, exec, s[36:37]
	s_cbranch_vccz .LBB73_67
; %bb.62:
	v_mov_b32_e32 v1, 44
	v_cmp_eq_u16_sdwa s[36:37], v8, v1 src0_sel:BYTE_0 src1_sel:DWORD
	s_and_b64 vcc, exec, s[36:37]
	s_cbranch_vccz .LBB73_66
; %bb.63:
	global_load_ubyte v1, v[4:5], off
	s_movk_i32 s36, 0xff
	v_mov_b32_e32 v3, 0x7f800001
	v_mov_b32_e32 v10, 0x400000
	s_mov_b64 s[0:1], -1
	s_mov_b64 s[40:41], 0
	s_waitcnt vmcnt(0)
	v_lshlrev_b32_e32 v11, 23, v1
	v_cmp_ne_u32_e32 vcc, s36, v1
	v_cndmask_b32_e32 v3, v3, v11, vcc
	v_cmp_ne_u32_e32 vcc, 0, v1
	v_cndmask_b32_e32 v1, v10, v3, vcc
	s_branch .LBB73_67
.LBB73_64:
	s_mov_b64 s[36:37], -1
	s_mov_b64 s[38:39], 0
	s_branch .LBB73_176
.LBB73_65:
	s_mov_b64 s[44:45], -1
	s_mov_b64 s[0:1], 0
	s_mov_b64 s[36:37], 0
	s_branch .LBB73_187
.LBB73_66:
	s_mov_b64 s[40:41], -1
                                        ; implicit-def: $vgpr1
.LBB73_67:
	s_mov_b64 s[36:37], 0
.LBB73_68:
	s_and_b64 vcc, exec, s[36:37]
	s_cbranch_vccz .LBB73_72
; %bb.69:
	v_mov_b32_e32 v1, 29
	v_cmp_eq_u16_sdwa s[36:37], v8, v1 src0_sel:BYTE_0 src1_sel:DWORD
	s_and_b64 vcc, exec, s[36:37]
	s_cbranch_vccz .LBB73_71
; %bb.70:
	global_load_dwordx2 v[10:11], v[4:5], off
	s_mov_b64 s[0:1], -1
	s_mov_b64 s[40:41], 0
	s_mov_b64 s[36:37], 0
	s_waitcnt vmcnt(0)
	v_ffbh_u32_e32 v1, v11
	v_min_u32_e32 v1, 32, v1
	v_lshlrev_b64 v[10:11], v1, v[10:11]
	v_min_u32_e32 v3, 1, v10
	v_or_b32_e32 v3, v11, v3
	v_cvt_f32_u32_e32 v3, v3
	v_sub_u32_e32 v1, 32, v1
	v_ldexp_f32 v1, v3, v1
	s_branch .LBB73_73
.LBB73_71:
	s_mov_b64 s[40:41], -1
                                        ; implicit-def: $vgpr1
.LBB73_72:
	s_mov_b64 s[36:37], 0
.LBB73_73:
	s_and_b64 vcc, exec, s[36:37]
	s_cbranch_vccz .LBB73_91
; %bb.74:
	v_mov_b32_e32 v1, 27
	v_cmp_lt_i16_sdwa s[0:1], v8, v1 src0_sel:BYTE_0 src1_sel:DWORD
	s_and_b64 vcc, exec, s[0:1]
	s_cbranch_vccnz .LBB73_77
; %bb.75:
	v_cmp_gt_i16_sdwa s[0:1], v8, v1 src0_sel:BYTE_0 src1_sel:DWORD
	s_and_b64 vcc, exec, s[0:1]
	s_cbranch_vccz .LBB73_78
; %bb.76:
	global_load_dword v1, v[4:5], off
	s_mov_b64 s[0:1], 0
	s_waitcnt vmcnt(0)
	v_cvt_f32_u32_e32 v1, v1
	s_branch .LBB73_79
.LBB73_77:
	s_mov_b64 s[0:1], -1
                                        ; implicit-def: $vgpr1
	s_branch .LBB73_82
.LBB73_78:
	s_mov_b64 s[0:1], -1
                                        ; implicit-def: $vgpr1
.LBB73_79:
	s_andn2_b64 vcc, exec, s[0:1]
	s_cbranch_vccnz .LBB73_81
; %bb.80:
	global_load_ushort v1, v[4:5], off
	s_waitcnt vmcnt(0)
	v_cvt_f32_u32_e32 v1, v1
.LBB73_81:
	s_mov_b64 s[0:1], 0
.LBB73_82:
	s_andn2_b64 vcc, exec, s[0:1]
	s_cbranch_vccnz .LBB73_90
; %bb.83:
	global_load_ubyte v3, v[4:5], off
	s_movk_i32 s0, 0x7f
                                        ; implicit-def: $sgpr44
	s_waitcnt vmcnt(0)
	v_cmp_lt_i16_e32 vcc, s0, v3
	s_mov_b64 s[0:1], 0
	s_and_saveexec_b64 s[36:37], vcc
	s_xor_b64 s[36:37], exec, s[36:37]
	s_cbranch_execz .LBB73_103
; %bb.84:
	s_movk_i32 s0, 0x80
	v_cmp_eq_u16_e32 vcc, s0, v3
	s_mov_b64 s[0:1], -1
                                        ; implicit-def: $sgpr44
	s_and_saveexec_b64 s[38:39], vcc
; %bb.85:
	s_mov_b32 s44, 0x7f800001
	s_xor_b64 s[0:1], exec, -1
; %bb.86:
	s_or_b64 exec, exec, s[38:39]
	s_and_b64 s[0:1], s[0:1], exec
	s_or_saveexec_b64 s[36:37], s[36:37]
	v_mov_b32_e32 v1, s44
	s_xor_b64 exec, exec, s[36:37]
	s_cbranch_execnz .LBB73_104
.LBB73_87:
	s_or_b64 exec, exec, s[36:37]
	s_and_saveexec_b64 s[36:37], s[0:1]
	s_cbranch_execz .LBB73_89
.LBB73_88:
	v_lshlrev_b32_e32 v1, 24, v3
	v_and_b32_e32 v3, 0xffff, v3
	v_and_b32_e32 v10, 7, v3
	v_ffbh_u32_e32 v12, v10
	v_min_u32_e32 v12, 32, v12
	v_subrev_u32_e32 v13, 28, v12
	v_bfe_u32 v11, v3, 3, 4
	v_lshlrev_b32_e32 v3, v13, v3
	v_sub_u32_e32 v12, 29, v12
	v_and_b32_e32 v3, 7, v3
	v_cmp_eq_u32_e32 vcc, 0, v11
	v_cndmask_b32_e32 v11, v11, v12, vcc
	v_cndmask_b32_e32 v3, v10, v3, vcc
	v_mov_b32_e32 v10, 0x3b800000
	v_lshlrev_b32_e32 v3, 20, v3
	v_and_b32_e32 v1, 0x80000000, v1
	v_lshl_add_u32 v10, v11, 23, v10
	v_or3_b32 v1, v1, v10, v3
.LBB73_89:
	s_or_b64 exec, exec, s[36:37]
.LBB73_90:
	s_mov_b64 s[0:1], -1
.LBB73_91:
	s_branch .LBB73_126
.LBB73_92:
	v_mov_b32_e32 v1, 22
	v_cmp_gt_i16_sdwa s[36:37], v8, v1 src0_sel:BYTE_0 src1_sel:DWORD
	s_and_b64 vcc, exec, s[36:37]
	s_cbranch_vccz .LBB73_102
; %bb.93:
	v_mov_b32_e32 v1, 24
	v_cmp_lt_i16_sdwa s[0:1], v8, v1 src0_sel:BYTE_0 src1_sel:DWORD
	s_and_b64 vcc, exec, s[0:1]
	s_cbranch_vccnz .LBB73_105
; %bb.94:
	v_cmp_gt_i16_sdwa s[0:1], v8, v1 src0_sel:BYTE_0 src1_sel:DWORD
	s_and_b64 vcc, exec, s[0:1]
	s_cbranch_vccz .LBB73_106
; %bb.95:
	global_load_ubyte v3, v[4:5], off
	s_movk_i32 s0, 0x7f
                                        ; implicit-def: $sgpr44
	s_waitcnt vmcnt(0)
	v_cmp_lt_i16_e32 vcc, s0, v3
	s_mov_b64 s[0:1], 0
	s_and_saveexec_b64 s[36:37], vcc
	s_xor_b64 s[36:37], exec, s[36:37]
	s_cbranch_execz .LBB73_118
; %bb.96:
	s_movk_i32 s0, 0x80
	v_cmp_eq_u16_e32 vcc, s0, v3
	s_mov_b64 s[0:1], -1
                                        ; implicit-def: $sgpr44
	s_and_saveexec_b64 s[38:39], vcc
; %bb.97:
	s_mov_b32 s44, 0x7f800001
	s_xor_b64 s[0:1], exec, -1
; %bb.98:
	s_or_b64 exec, exec, s[38:39]
	s_and_b64 s[0:1], s[0:1], exec
	s_or_saveexec_b64 s[36:37], s[36:37]
	v_mov_b32_e32 v1, s44
	s_xor_b64 exec, exec, s[36:37]
	s_cbranch_execnz .LBB73_119
.LBB73_99:
	s_or_b64 exec, exec, s[36:37]
	s_and_saveexec_b64 s[36:37], s[0:1]
	s_cbranch_execz .LBB73_101
.LBB73_100:
	v_lshlrev_b32_e32 v1, 24, v3
	v_and_b32_e32 v3, 0xffff, v3
	v_and_b32_e32 v10, 3, v3
	v_ffbh_u32_e32 v12, v10
	v_min_u32_e32 v12, 32, v12
	v_subrev_u32_e32 v13, 29, v12
	v_bfe_u32 v11, v3, 2, 5
	v_lshlrev_b32_e32 v3, v13, v3
	v_sub_u32_e32 v12, 30, v12
	v_and_b32_e32 v3, 3, v3
	v_cmp_eq_u32_e32 vcc, 0, v11
	v_cndmask_b32_e32 v11, v11, v12, vcc
	v_cndmask_b32_e32 v3, v10, v3, vcc
	v_mov_b32_e32 v10, 0x37800000
	v_lshlrev_b32_e32 v3, 21, v3
	v_and_b32_e32 v1, 0x80000000, v1
	v_lshl_add_u32 v10, v11, 23, v10
	v_or3_b32 v1, v1, v10, v3
.LBB73_101:
	s_or_b64 exec, exec, s[36:37]
	s_mov_b64 s[0:1], 0
	s_branch .LBB73_107
.LBB73_102:
	s_mov_b64 s[36:37], -1
                                        ; implicit-def: $vgpr1
	s_branch .LBB73_113
.LBB73_103:
	s_or_saveexec_b64 s[36:37], s[36:37]
	v_mov_b32_e32 v1, s44
	s_xor_b64 exec, exec, s[36:37]
	s_cbranch_execz .LBB73_87
.LBB73_104:
	v_cmp_ne_u16_e32 vcc, 0, v3
	s_andn2_b64 s[0:1], s[0:1], exec
	s_and_b64 s[38:39], vcc, exec
	v_mov_b32_e32 v1, 0
	s_or_b64 s[0:1], s[0:1], s[38:39]
	s_or_b64 exec, exec, s[36:37]
	s_and_saveexec_b64 s[36:37], s[0:1]
	s_cbranch_execnz .LBB73_88
	s_branch .LBB73_89
.LBB73_105:
	s_mov_b64 s[0:1], -1
                                        ; implicit-def: $vgpr1
	s_branch .LBB73_110
.LBB73_106:
	s_mov_b64 s[0:1], -1
                                        ; implicit-def: $vgpr1
.LBB73_107:
	s_and_b64 vcc, exec, s[0:1]
	s_cbranch_vccz .LBB73_109
; %bb.108:
	global_load_ubyte v1, v[4:5], off
	s_mov_b32 s0, 0x7f800000
	s_waitcnt vmcnt(0)
	v_lshlrev_b32_e32 v1, 24, v1
	v_and_b32_e32 v3, 0x7f000000, v1
	v_ffbh_u32_e32 v10, v3
	v_min_u32_e32 v10, 32, v10
	v_sub_u32_e64 v10, v10, 4 clamp
	v_lshlrev_b32_e32 v12, v10, v3
	v_lshlrev_b32_e32 v10, 23, v10
	v_lshrrev_b32_e32 v12, 4, v12
	v_add_u32_e32 v11, 0x1000000, v3
	v_sub_u32_e32 v10, v12, v10
	v_ashrrev_i32_e32 v11, 8, v11
	v_add_u32_e32 v10, 0x3c000000, v10
	v_and_or_b32 v10, v11, s0, v10
	v_cmp_ne_u32_e32 vcc, 0, v3
	v_cndmask_b32_e32 v3, 0, v10, vcc
	s_brev_b32 s0, 1
	v_and_or_b32 v1, v1, s0, v3
.LBB73_109:
	s_mov_b64 s[0:1], 0
.LBB73_110:
	s_andn2_b64 vcc, exec, s[0:1]
	s_cbranch_vccnz .LBB73_112
; %bb.111:
	global_load_ubyte v1, v[4:5], off
	s_movk_i32 s0, 0x7f00
	s_brev_b32 s1, 16
	s_waitcnt vmcnt(0)
	v_lshlrev_b16_e32 v3, 8, v1
	v_lshlrev_b32_e32 v1, 25, v1
	v_lshrrev_b32_e32 v10, 4, v1
	v_and_or_b32 v11, v3, s0, 0.5
	v_or_b32_e32 v10, 0x70000000, v10
	v_add_f32_e32 v11, -0.5, v11
	v_mul_f32_e32 v10, 0x7800000, v10
	v_cmp_gt_u32_e32 vcc, s1, v1
	v_bfe_i32 v3, v3, 0, 16
	v_cndmask_b32_e32 v1, v10, v11, vcc
	s_brev_b32 s0, 1
	v_and_or_b32 v1, v3, s0, v1
.LBB73_112:
	s_mov_b64 s[36:37], 0
	s_mov_b64 s[0:1], -1
.LBB73_113:
	s_andn2_b64 vcc, exec, s[36:37]
	s_cbranch_vccnz .LBB73_126
; %bb.114:
	v_mov_b32_e32 v1, 14
	v_cmp_gt_i16_sdwa s[36:37], v8, v1 src0_sel:BYTE_0 src1_sel:DWORD
	s_and_b64 vcc, exec, s[36:37]
	s_cbranch_vccz .LBB73_117
; %bb.115:
	v_mov_b32_e32 v1, 15
	v_cmp_eq_u16_sdwa s[36:37], v8, v1 src0_sel:BYTE_0 src1_sel:DWORD
	s_and_b64 vcc, exec, s[36:37]
	s_cbranch_vccz .LBB73_120
; %bb.116:
	global_load_ushort v1, v[4:5], off
	s_mov_b64 s[0:1], -1
	s_mov_b64 s[40:41], 0
	s_waitcnt vmcnt(0)
	v_lshlrev_b32_e32 v1, 16, v1
	s_branch .LBB73_121
.LBB73_117:
	s_mov_b64 s[36:37], -1
                                        ; implicit-def: $vgpr1
	s_branch .LBB73_122
.LBB73_118:
	s_or_saveexec_b64 s[36:37], s[36:37]
	v_mov_b32_e32 v1, s44
	s_xor_b64 exec, exec, s[36:37]
	s_cbranch_execz .LBB73_99
.LBB73_119:
	v_cmp_ne_u16_e32 vcc, 0, v3
	s_andn2_b64 s[0:1], s[0:1], exec
	s_and_b64 s[38:39], vcc, exec
	v_mov_b32_e32 v1, 0
	s_or_b64 s[0:1], s[0:1], s[38:39]
	s_or_b64 exec, exec, s[36:37]
	s_and_saveexec_b64 s[36:37], s[0:1]
	s_cbranch_execnz .LBB73_100
	s_branch .LBB73_101
.LBB73_120:
	s_mov_b64 s[40:41], -1
                                        ; implicit-def: $vgpr1
.LBB73_121:
	s_mov_b64 s[36:37], 0
.LBB73_122:
	s_and_b64 vcc, exec, s[36:37]
	s_cbranch_vccz .LBB73_126
; %bb.123:
	v_mov_b32_e32 v1, 11
	v_cmp_eq_u16_sdwa s[36:37], v8, v1 src0_sel:BYTE_0 src1_sel:DWORD
	s_and_b64 vcc, exec, s[36:37]
	s_cbranch_vccz .LBB73_125
; %bb.124:
	global_load_ubyte v1, v[4:5], off
	s_mov_b64 s[0:1], -1
	s_mov_b64 s[40:41], 0
	s_waitcnt vmcnt(0)
	v_cmp_ne_u16_e32 vcc, 0, v1
	v_cndmask_b32_e64 v1, 0, 1.0, vcc
	s_branch .LBB73_126
.LBB73_125:
	s_mov_b64 s[40:41], -1
                                        ; implicit-def: $vgpr1
.LBB73_126:
	s_branch .LBB73_20
.LBB73_127:
	v_mov_b32_e32 v1, 5
	v_cmp_lt_i16_sdwa s[0:1], v8, v1 src0_sel:BYTE_0 src1_sel:DWORD
	s_and_b64 vcc, exec, s[0:1]
	s_cbranch_vccnz .LBB73_132
; %bb.128:
	v_mov_b32_e32 v1, 8
	v_cmp_lt_i16_sdwa s[0:1], v8, v1 src0_sel:BYTE_0 src1_sel:DWORD
	s_and_b64 vcc, exec, s[0:1]
	s_cbranch_vccnz .LBB73_133
; %bb.129:
	;; [unrolled: 5-line block ×3, first 2 shown]
	v_cmp_gt_i16_sdwa s[0:1], v8, v1 src0_sel:BYTE_0 src1_sel:DWORD
	s_and_b64 vcc, exec, s[0:1]
	s_cbranch_vccz .LBB73_135
; %bb.131:
	global_load_dwordx2 v[10:11], v[4:5], off
	s_mov_b64 s[0:1], 0
	s_waitcnt vmcnt(0)
	v_cvt_f32_f64_e32 v1, v[10:11]
	s_branch .LBB73_136
.LBB73_132:
                                        ; implicit-def: $vgpr1
	s_branch .LBB73_154
.LBB73_133:
	s_mov_b64 s[0:1], -1
                                        ; implicit-def: $vgpr1
	s_branch .LBB73_142
.LBB73_134:
	s_mov_b64 s[0:1], -1
                                        ; implicit-def: $vgpr1
	s_branch .LBB73_139
.LBB73_135:
	s_mov_b64 s[0:1], -1
                                        ; implicit-def: $vgpr1
.LBB73_136:
	s_andn2_b64 vcc, exec, s[0:1]
	s_cbranch_vccnz .LBB73_138
; %bb.137:
	global_load_dword v1, v[4:5], off
.LBB73_138:
	s_mov_b64 s[0:1], 0
.LBB73_139:
	s_andn2_b64 vcc, exec, s[0:1]
	s_cbranch_vccnz .LBB73_141
; %bb.140:
	global_load_dword v1, v[4:5], off
	s_waitcnt vmcnt(0)
	v_cvt_f32_f16_e32 v1, v1
.LBB73_141:
	s_mov_b64 s[0:1], 0
.LBB73_142:
	s_andn2_b64 vcc, exec, s[0:1]
	s_cbranch_vccnz .LBB73_153
; %bb.143:
	s_waitcnt vmcnt(0)
	v_mov_b32_e32 v1, 6
	v_cmp_lt_i16_sdwa s[0:1], v8, v1 src0_sel:BYTE_0 src1_sel:DWORD
	s_and_b64 vcc, exec, s[0:1]
	s_cbranch_vccnz .LBB73_146
; %bb.144:
	v_cmp_gt_i16_sdwa s[0:1], v8, v1 src0_sel:BYTE_0 src1_sel:DWORD
	s_and_b64 vcc, exec, s[0:1]
	s_cbranch_vccz .LBB73_147
; %bb.145:
	global_load_dwordx2 v[10:11], v[4:5], off
	s_mov_b64 s[0:1], 0
	s_waitcnt vmcnt(0)
	v_cvt_f32_f64_e32 v1, v[10:11]
	s_branch .LBB73_148
.LBB73_146:
	s_mov_b64 s[0:1], -1
                                        ; implicit-def: $vgpr1
	s_branch .LBB73_151
.LBB73_147:
	s_mov_b64 s[0:1], -1
                                        ; implicit-def: $vgpr1
.LBB73_148:
	s_andn2_b64 vcc, exec, s[0:1]
	s_cbranch_vccnz .LBB73_150
; %bb.149:
	global_load_dword v1, v[4:5], off
.LBB73_150:
	s_mov_b64 s[0:1], 0
.LBB73_151:
	s_andn2_b64 vcc, exec, s[0:1]
	s_cbranch_vccnz .LBB73_153
; %bb.152:
	global_load_ushort v1, v[4:5], off
	s_waitcnt vmcnt(0)
	v_cvt_f32_f16_e32 v1, v1
.LBB73_153:
	s_cbranch_execnz .LBB73_173
.LBB73_154:
	s_waitcnt vmcnt(0)
	v_mov_b32_e32 v1, 2
	v_cmp_lt_i16_sdwa s[0:1], v8, v1 src0_sel:BYTE_0 src1_sel:DWORD
	s_and_b64 vcc, exec, s[0:1]
	s_cbranch_vccnz .LBB73_158
; %bb.155:
	v_mov_b32_e32 v1, 3
	v_cmp_lt_i16_sdwa s[0:1], v8, v1 src0_sel:BYTE_0 src1_sel:DWORD
	s_and_b64 vcc, exec, s[0:1]
	s_cbranch_vccnz .LBB73_159
; %bb.156:
	v_cmp_gt_i16_sdwa s[0:1], v8, v1 src0_sel:BYTE_0 src1_sel:DWORD
	s_and_b64 vcc, exec, s[0:1]
	s_cbranch_vccz .LBB73_160
; %bb.157:
	global_load_dwordx2 v[10:11], v[4:5], off
	s_mov_b64 s[0:1], 0
	s_waitcnt vmcnt(0)
	v_xor_b32_e32 v3, v10, v11
	v_ffbh_i32_e32 v1, v11
	v_ashrrev_i32_e32 v3, 31, v3
	v_add_u32_e32 v1, -1, v1
	v_add_u32_e32 v3, 32, v3
	v_min_u32_e32 v1, v1, v3
	v_lshlrev_b64 v[10:11], v1, v[10:11]
	v_min_u32_e32 v3, 1, v10
	v_or_b32_e32 v3, v11, v3
	v_cvt_f32_i32_e32 v3, v3
	v_sub_u32_e32 v1, 32, v1
	v_ldexp_f32 v1, v3, v1
	s_branch .LBB73_161
.LBB73_158:
	s_mov_b64 s[0:1], -1
                                        ; implicit-def: $vgpr1
	s_branch .LBB73_167
.LBB73_159:
	s_mov_b64 s[0:1], -1
                                        ; implicit-def: $vgpr1
	s_branch .LBB73_164
.LBB73_160:
	s_mov_b64 s[0:1], -1
                                        ; implicit-def: $vgpr1
.LBB73_161:
	s_andn2_b64 vcc, exec, s[0:1]
	s_cbranch_vccnz .LBB73_163
; %bb.162:
	global_load_dword v1, v[4:5], off
	s_waitcnt vmcnt(0)
	v_cvt_f32_i32_e32 v1, v1
.LBB73_163:
	s_mov_b64 s[0:1], 0
.LBB73_164:
	s_andn2_b64 vcc, exec, s[0:1]
	s_cbranch_vccnz .LBB73_166
; %bb.165:
	global_load_sshort v1, v[4:5], off
	s_waitcnt vmcnt(0)
	v_cvt_f32_i32_e32 v1, v1
.LBB73_166:
	s_mov_b64 s[0:1], 0
.LBB73_167:
	s_andn2_b64 vcc, exec, s[0:1]
	s_cbranch_vccnz .LBB73_173
; %bb.168:
	v_mov_b32_e32 v1, 0
	v_cmp_gt_i16_sdwa s[0:1], v8, v1 src0_sel:BYTE_0 src1_sel:DWORD
	s_and_b64 vcc, exec, s[0:1]
	s_cbranch_vccz .LBB73_170
; %bb.169:
	global_load_sbyte v1, v[4:5], off
	s_mov_b64 s[0:1], 0
	s_waitcnt vmcnt(0)
	v_cvt_f32_i32_e32 v1, v1
	s_branch .LBB73_171
.LBB73_170:
	s_mov_b64 s[0:1], -1
                                        ; implicit-def: $vgpr1
.LBB73_171:
	s_andn2_b64 vcc, exec, s[0:1]
	s_cbranch_vccnz .LBB73_173
; %bb.172:
	global_load_ubyte v1, v[4:5], off
	s_waitcnt vmcnt(0)
	v_cvt_f32_ubyte0_e32 v1, v1
.LBB73_173:
	s_branch .LBB73_21
.LBB73_174:
	s_mov_b64 s[0:1], 0
	s_mov_b64 s[38:39], 0
	s_branch .LBB73_403
.LBB73_175:
	s_mov_b64 s[38:39], -1
.LBB73_176:
	s_mov_b64 s[0:1], 0
                                        ; implicit-def: $vgpr4
.LBB73_177:
	s_and_b64 vcc, exec, s[36:37]
	s_cbranch_vccz .LBB73_293
; %bb.178:
	v_mov_b32_e32 v4, 44
	v_cmp_eq_u16_sdwa s[36:37], v7, v4 src0_sel:BYTE_0 src1_sel:DWORD
	s_and_b64 vcc, exec, s[36:37]
	s_cbranch_vccz .LBB73_292
; %bb.179:
	global_load_ubyte v4, v[2:3], off
	s_movk_i32 s36, 0xff
	v_mov_b32_e32 v5, 0x7f800001
	v_mov_b32_e32 v10, 0x400000
	s_mov_b64 s[0:1], -1
	s_mov_b64 s[38:39], 0
	s_waitcnt vmcnt(0)
	v_lshlrev_b32_e32 v11, 23, v4
	v_cmp_ne_u32_e32 vcc, s36, v4
	v_cndmask_b32_e32 v5, v5, v11, vcc
	v_cmp_ne_u32_e32 vcc, 0, v4
	v_cndmask_b32_e32 v4, v10, v5, vcc
	s_branch .LBB73_293
.LBB73_180:
	s_mov_b64 s[44:45], -1
	s_mov_b64 s[0:1], 0
	s_mov_b64 s[36:37], 0
.LBB73_181:
	s_and_b64 vcc, exec, s[44:45]
	s_cbranch_vccz .LBB73_186
; %bb.182:
	v_mov_b32_e32 v3, 44
	v_cmp_eq_u16_sdwa s[44:45], v6, v3 src0_sel:BYTE_0 src1_sel:DWORD
	s_mov_b64 s[0:1], -1
	s_and_b64 vcc, exec, s[44:45]
	s_cbranch_vccz .LBB73_186
; %bb.183:
	v_bfe_u32 v3, v2, 23, 8
	s_movk_i32 s0, 0xff
	v_cmp_ne_u32_e32 vcc, s0, v3
	v_mov_b32_e32 v4, 0xff
	s_and_saveexec_b64 s[36:37], vcc
; %bb.184:
	s_mov_b32 s0, 0x3fffff
	v_and_b32_e32 v5, 0x400000, v2
	v_and_or_b32 v3, v2, s0, v3
	v_cmp_ne_u32_e32 vcc, 0, v5
	v_cmp_ne_u32_e64 s[0:1], 0, v3
	s_and_b64 s[0:1], vcc, s[0:1]
	v_lshrrev_b32_e32 v4, 23, v2
	v_cndmask_b32_e64 v3, 0, 1, s[0:1]
	v_add_u32_e32 v4, v4, v3
; %bb.185:
	s_or_b64 exec, exec, s[36:37]
	s_mov_b64 s[36:37], -1
	s_mov_b64 s[0:1], 0
	global_store_byte v[0:1], v4, off
.LBB73_186:
	s_mov_b64 s[44:45], 0
.LBB73_187:
	s_and_b64 vcc, exec, s[44:45]
	s_cbranch_vccz .LBB73_190
; %bb.188:
	v_mov_b32_e32 v3, 29
	v_cmp_eq_u16_sdwa s[44:45], v6, v3 src0_sel:BYTE_0 src1_sel:DWORD
	s_mov_b64 s[0:1], -1
	s_and_b64 vcc, exec, s[44:45]
	s_cbranch_vccz .LBB73_190
; %bb.189:
	v_trunc_f32_e32 v3, v2
	v_mul_f32_e32 v4, 0x2f800000, v3
	v_floor_f32_e32 v4, v4
	v_fmac_f32_e32 v3, 0xcf800000, v4
	v_cvt_u32_f32_e32 v5, v4
	v_cvt_u32_f32_e32 v4, v3
	s_mov_b64 s[36:37], -1
	s_mov_b64 s[0:1], 0
	s_mov_b64 s[44:45], 0
	global_store_dwordx2 v[0:1], v[4:5], off
	s_branch .LBB73_191
.LBB73_190:
	s_mov_b64 s[44:45], 0
.LBB73_191:
	s_and_b64 vcc, exec, s[44:45]
	s_cbranch_vccz .LBB73_207
; %bb.192:
	v_mov_b32_e32 v3, 27
	v_cmp_lt_i16_sdwa s[44:45], v6, v3 src0_sel:BYTE_0 src1_sel:DWORD
	s_mov_b64 s[36:37], -1
	s_and_b64 vcc, exec, s[44:45]
	s_cbranch_vccnz .LBB73_198
; %bb.193:
	v_cmp_gt_i16_sdwa s[44:45], v6, v3 src0_sel:BYTE_0 src1_sel:DWORD
	v_cvt_u32_f32_e32 v3, v2
	s_and_b64 vcc, exec, s[44:45]
	s_cbranch_vccz .LBB73_195
; %bb.194:
	s_mov_b64 s[36:37], 0
	global_store_dword v[0:1], v3, off
.LBB73_195:
	s_andn2_b64 vcc, exec, s[36:37]
	s_cbranch_vccnz .LBB73_197
; %bb.196:
	global_store_short v[0:1], v3, off
.LBB73_197:
	s_mov_b64 s[36:37], 0
.LBB73_198:
	s_andn2_b64 vcc, exec, s[36:37]
	s_cbranch_vccnz .LBB73_206
; %bb.199:
	v_and_b32_e32 v3, 0x7fffffff, v2
	s_mov_b32 s36, 0x43800000
	v_cmp_gt_u32_e32 vcc, s36, v3
	v_mov_b32_e32 v4, 0x80
	s_and_saveexec_b64 s[36:37], vcc
	s_cbranch_execz .LBB73_205
; %bb.200:
	s_mov_b32 s44, 0x3bffffff
	v_cmp_lt_u32_e32 vcc, s44, v3
	s_mov_b64 s[44:45], 0
                                        ; implicit-def: $vgpr3
	s_and_saveexec_b64 s[48:49], vcc
	s_xor_b64 s[48:49], exec, s[48:49]
	s_cbranch_execz .LBB73_444
; %bb.201:
	v_bfe_u32 v3, v2, 20, 1
	s_mov_b32 s50, 0x487ffff
	v_add3_u32 v3, v2, v3, s50
	s_mov_b64 s[44:45], exec
	v_lshrrev_b32_e32 v3, 20, v3
	s_or_saveexec_b64 s[48:49], s[48:49]
                                        ; implicit-def: $sgpr50
	s_xor_b64 exec, exec, s[48:49]
	s_cbranch_execnz .LBB73_445
.LBB73_202:
	s_or_b64 exec, exec, s[48:49]
	v_mov_b32_e32 v4, s50
	s_and_saveexec_b64 s[48:49], s[44:45]
.LBB73_203:
	v_lshrrev_b32_e32 v4, 24, v2
	s_movk_i32 s44, 0x80
	v_and_or_b32 v4, v4, s44, v3
.LBB73_204:
	s_or_b64 exec, exec, s[48:49]
.LBB73_205:
	s_or_b64 exec, exec, s[36:37]
	global_store_byte v[0:1], v4, off
.LBB73_206:
	s_mov_b64 s[36:37], -1
.LBB73_207:
	s_mov_b64 s[44:45], 0
.LBB73_208:
	s_and_b64 vcc, exec, s[44:45]
	s_cbranch_vccz .LBB73_249
; %bb.209:
	v_mov_b32_e32 v3, 22
	v_cmp_gt_i16_sdwa s[48:49], v6, v3 src0_sel:BYTE_0 src1_sel:DWORD
	s_mov_b64 s[44:45], -1
	s_and_b64 vcc, exec, s[48:49]
	s_cbranch_vccz .LBB73_241
; %bb.210:
	v_mov_b32_e32 v3, 24
	v_cmp_lt_i16_sdwa s[44:45], v6, v3 src0_sel:BYTE_0 src1_sel:DWORD
	s_mov_b64 s[36:37], -1
	s_and_b64 vcc, exec, s[44:45]
	s_cbranch_vccnz .LBB73_230
; %bb.211:
	v_cmp_gt_i16_sdwa s[44:45], v6, v3 src0_sel:BYTE_0 src1_sel:DWORD
	s_and_b64 vcc, exec, s[44:45]
	s_cbranch_vccz .LBB73_219
; %bb.212:
	v_and_b32_e32 v3, 0x7fffffff, v2
	s_mov_b32 s36, 0x47800000
	v_cmp_gt_u32_e32 vcc, s36, v3
	v_mov_b32_e32 v4, 0x80
	s_and_saveexec_b64 s[36:37], vcc
	s_cbranch_execz .LBB73_218
; %bb.213:
	s_mov_b32 s44, 0x37ffffff
	v_cmp_lt_u32_e32 vcc, s44, v3
	s_mov_b64 s[44:45], 0
                                        ; implicit-def: $vgpr3
	s_and_saveexec_b64 s[48:49], vcc
	s_xor_b64 s[48:49], exec, s[48:49]
	s_cbranch_execz .LBB73_563
; %bb.214:
	v_bfe_u32 v3, v2, 21, 1
	s_mov_b32 s50, 0x88fffff
	v_add3_u32 v3, v2, v3, s50
	s_mov_b64 s[44:45], exec
	v_lshrrev_b32_e32 v3, 21, v3
	s_or_saveexec_b64 s[48:49], s[48:49]
                                        ; implicit-def: $sgpr50
	s_xor_b64 exec, exec, s[48:49]
	s_cbranch_execnz .LBB73_564
.LBB73_215:
	s_or_b64 exec, exec, s[48:49]
	v_mov_b32_e32 v4, s50
	s_and_saveexec_b64 s[48:49], s[44:45]
.LBB73_216:
	v_lshrrev_b32_e32 v4, 24, v2
	s_movk_i32 s44, 0x80
	v_and_or_b32 v4, v4, s44, v3
.LBB73_217:
	s_or_b64 exec, exec, s[48:49]
.LBB73_218:
	s_or_b64 exec, exec, s[36:37]
	s_mov_b64 s[36:37], 0
	global_store_byte v[0:1], v4, off
.LBB73_219:
	s_and_b64 vcc, exec, s[36:37]
	s_cbranch_vccz .LBB73_229
; %bb.220:
	v_and_b32_e32 v4, 0x7fffffff, v2
	s_mov_b32 s36, 0x43f00000
	v_cmp_gt_u32_e32 vcc, s36, v4
                                        ; implicit-def: $vgpr3
	s_and_saveexec_b64 s[36:37], vcc
	s_xor_b64 s[36:37], exec, s[36:37]
	s_cbranch_execz .LBB73_226
; %bb.221:
	s_mov_b32 s44, 0x3c7fffff
	v_cmp_lt_u32_e32 vcc, s44, v4
                                        ; implicit-def: $vgpr3
	s_and_saveexec_b64 s[44:45], vcc
	s_xor_b64 s[44:45], exec, s[44:45]
; %bb.222:
	v_bfe_u32 v3, v2, 20, 1
	s_mov_b32 s48, 0x407ffff
	v_add3_u32 v3, v2, v3, s48
	v_lshrrev_b32_e32 v4, 20, v3
	v_and_b32_e32 v3, 0xff00000, v3
	s_mov_b32 s48, 0x7f00000
	v_mov_b32_e32 v5, 0x7e
	v_cmp_ne_u32_e32 vcc, s48, v3
	v_cndmask_b32_e32 v3, v5, v4, vcc
; %bb.223:
	s_andn2_saveexec_b64 s[44:45], s[44:45]
; %bb.224:
	s_mov_b32 s48, 0x46800000
	v_add_f32_e64 v3, |v2|, s48
; %bb.225:
	s_or_b64 exec, exec, s[44:45]
                                        ; implicit-def: $vgpr4
.LBB73_226:
	s_andn2_saveexec_b64 s[36:37], s[36:37]
; %bb.227:
	s_mov_b32 s44, 0x7f800000
	v_mov_b32_e32 v3, 0x7e
	v_mov_b32_e32 v5, 0x7f
	v_cmp_lt_u32_e32 vcc, s44, v4
	v_cndmask_b32_e32 v3, v3, v5, vcc
; %bb.228:
	s_or_b64 exec, exec, s[36:37]
	v_lshrrev_b32_e32 v4, 24, v2
	s_movk_i32 s36, 0x80
	v_and_or_b32 v3, v4, s36, v3
	global_store_byte v[0:1], v3, off
.LBB73_229:
	s_mov_b64 s[36:37], 0
.LBB73_230:
	s_andn2_b64 vcc, exec, s[36:37]
	s_cbranch_vccnz .LBB73_240
; %bb.231:
	v_and_b32_e32 v4, 0x7fffffff, v2
	s_mov_b32 s36, 0x47800000
	v_cmp_gt_u32_e32 vcc, s36, v4
                                        ; implicit-def: $vgpr3
	s_and_saveexec_b64 s[36:37], vcc
	s_xor_b64 s[36:37], exec, s[36:37]
	s_cbranch_execz .LBB73_237
; %bb.232:
	s_mov_b32 s44, 0x387fffff
	v_cmp_lt_u32_e32 vcc, s44, v4
                                        ; implicit-def: $vgpr3
	s_and_saveexec_b64 s[44:45], vcc
	s_xor_b64 s[44:45], exec, s[44:45]
; %bb.233:
	v_bfe_u32 v3, v2, 21, 1
	s_mov_b32 s48, 0x80fffff
	v_add3_u32 v3, v2, v3, s48
	v_lshrrev_b32_e32 v3, 21, v3
; %bb.234:
	s_andn2_saveexec_b64 s[44:45], s[44:45]
; %bb.235:
	s_mov_b32 s48, 0x43000000
	v_add_f32_e64 v3, |v2|, s48
; %bb.236:
	s_or_b64 exec, exec, s[44:45]
                                        ; implicit-def: $vgpr4
.LBB73_237:
	s_andn2_saveexec_b64 s[36:37], s[36:37]
; %bb.238:
	s_mov_b32 s44, 0x7f800000
	v_mov_b32_e32 v3, 0x7c
	v_mov_b32_e32 v5, 0x7f
	v_cmp_lt_u32_e32 vcc, s44, v4
	v_cndmask_b32_e32 v3, v3, v5, vcc
; %bb.239:
	s_or_b64 exec, exec, s[36:37]
	v_lshrrev_b32_e32 v4, 24, v2
	s_movk_i32 s36, 0x80
	v_and_or_b32 v3, v4, s36, v3
	global_store_byte v[0:1], v3, off
.LBB73_240:
	s_mov_b64 s[44:45], 0
	s_mov_b64 s[36:37], -1
.LBB73_241:
	s_andn2_b64 vcc, exec, s[44:45]
	s_cbranch_vccnz .LBB73_249
; %bb.242:
	v_mov_b32_e32 v3, 14
	v_cmp_gt_i16_sdwa s[48:49], v6, v3 src0_sel:BYTE_0 src1_sel:DWORD
	s_mov_b64 s[44:45], -1
	s_and_b64 vcc, exec, s[48:49]
	s_cbranch_vccz .LBB73_246
; %bb.243:
	v_mov_b32_e32 v3, 15
	v_cmp_eq_u16_sdwa s[44:45], v6, v3 src0_sel:BYTE_0 src1_sel:DWORD
	s_mov_b64 s[0:1], -1
	s_and_b64 vcc, exec, s[44:45]
	s_cbranch_vccz .LBB73_245
; %bb.244:
	v_bfe_u32 v3, v2, 16, 1
	s_movk_i32 s0, 0x7fff
	v_add3_u32 v3, v2, v3, s0
	v_lshrrev_b32_e32 v3, 16, v3
	v_mov_b32_e32 v4, 0x7fc0
	v_cmp_o_f32_e32 vcc, v2, v2
	v_cndmask_b32_e32 v3, v4, v3, vcc
	global_store_short v[0:1], v3, off
	s_mov_b64 s[36:37], -1
	s_mov_b64 s[0:1], 0
.LBB73_245:
	s_mov_b64 s[44:45], 0
.LBB73_246:
	s_and_b64 vcc, exec, s[44:45]
	s_cbranch_vccz .LBB73_249
; %bb.247:
	v_mov_b32_e32 v3, 11
	v_cmp_eq_u16_sdwa s[44:45], v6, v3 src0_sel:BYTE_0 src1_sel:DWORD
	s_mov_b64 s[0:1], -1
	s_and_b64 vcc, exec, s[44:45]
	s_cbranch_vccz .LBB73_249
; %bb.248:
	v_cmp_neq_f32_e32 vcc, 0, v2
	v_cndmask_b32_e64 v3, 0, 1, vcc
	s_mov_b64 s[36:37], -1
	s_mov_b64 s[0:1], 0
	global_store_byte v[0:1], v3, off
.LBB73_249:
	s_mov_b64 s[44:45], 0
.LBB73_250:
	s_and_b64 vcc, exec, s[44:45]
	s_cbranch_vccz .LBB73_289
; %bb.251:
	v_mov_b32_e32 v3, 5
	v_cmp_lt_i16_sdwa s[44:45], v6, v3 src0_sel:BYTE_0 src1_sel:DWORD
	s_mov_b64 s[36:37], -1
	s_and_b64 vcc, exec, s[44:45]
	s_cbranch_vccnz .LBB73_272
; %bb.252:
	v_mov_b32_e32 v3, 8
	v_cmp_lt_i16_sdwa s[44:45], v6, v3 src0_sel:BYTE_0 src1_sel:DWORD
	s_and_b64 vcc, exec, s[44:45]
	s_cbranch_vccnz .LBB73_262
; %bb.253:
	v_mov_b32_e32 v3, 9
	v_cmp_lt_i16_sdwa s[44:45], v6, v3 src0_sel:BYTE_0 src1_sel:DWORD
	s_and_b64 vcc, exec, s[44:45]
	s_cbranch_vccnz .LBB73_259
; %bb.254:
	v_cmp_gt_i16_sdwa s[44:45], v6, v3 src0_sel:BYTE_0 src1_sel:DWORD
	s_and_b64 vcc, exec, s[44:45]
	s_cbranch_vccz .LBB73_256
; %bb.255:
	v_mov_b32_e32 v12, 0
	v_cvt_f64_f32_e32 v[10:11], v2
	v_mov_b32_e32 v13, v12
	global_store_dwordx4 v[0:1], v[10:13], off
	s_mov_b64 s[36:37], 0
.LBB73_256:
	s_andn2_b64 vcc, exec, s[36:37]
	s_cbranch_vccnz .LBB73_258
; %bb.257:
	v_mov_b32_e32 v3, 0
	global_store_dwordx2 v[0:1], v[2:3], off
.LBB73_258:
	s_mov_b64 s[36:37], 0
.LBB73_259:
	s_andn2_b64 vcc, exec, s[36:37]
	s_cbranch_vccnz .LBB73_261
; %bb.260:
	v_cvt_f16_f32_e32 v3, v2
	global_store_dword v[0:1], v3, off
.LBB73_261:
	s_mov_b64 s[36:37], 0
.LBB73_262:
	s_andn2_b64 vcc, exec, s[36:37]
	s_cbranch_vccnz .LBB73_271
; %bb.263:
	v_mov_b32_e32 v3, 6
	v_cmp_lt_i16_sdwa s[44:45], v6, v3 src0_sel:BYTE_0 src1_sel:DWORD
	s_mov_b64 s[36:37], -1
	s_and_b64 vcc, exec, s[44:45]
	s_cbranch_vccnz .LBB73_269
; %bb.264:
	v_cmp_gt_i16_sdwa s[44:45], v6, v3 src0_sel:BYTE_0 src1_sel:DWORD
	s_and_b64 vcc, exec, s[44:45]
	s_cbranch_vccz .LBB73_266
; %bb.265:
	v_cvt_f64_f32_e32 v[4:5], v2
	global_store_dwordx2 v[0:1], v[4:5], off
	s_mov_b64 s[36:37], 0
.LBB73_266:
	s_andn2_b64 vcc, exec, s[36:37]
	s_cbranch_vccnz .LBB73_268
; %bb.267:
	global_store_dword v[0:1], v2, off
.LBB73_268:
	s_mov_b64 s[36:37], 0
.LBB73_269:
	s_andn2_b64 vcc, exec, s[36:37]
	s_cbranch_vccnz .LBB73_271
; %bb.270:
	v_cvt_f16_f32_e32 v3, v2
	global_store_short v[0:1], v3, off
.LBB73_271:
	s_mov_b64 s[36:37], 0
.LBB73_272:
	s_andn2_b64 vcc, exec, s[36:37]
	s_cbranch_vccnz .LBB73_288
; %bb.273:
	v_mov_b32_e32 v3, 2
	v_cmp_lt_i16_sdwa s[44:45], v6, v3 src0_sel:BYTE_0 src1_sel:DWORD
	s_mov_b64 s[36:37], -1
	s_and_b64 vcc, exec, s[44:45]
	s_cbranch_vccnz .LBB73_283
; %bb.274:
	v_mov_b32_e32 v3, 3
	v_cmp_lt_i16_sdwa s[44:45], v6, v3 src0_sel:BYTE_0 src1_sel:DWORD
	s_and_b64 vcc, exec, s[44:45]
	s_cbranch_vccnz .LBB73_280
; %bb.275:
	v_cmp_gt_i16_sdwa s[44:45], v6, v3 src0_sel:BYTE_0 src1_sel:DWORD
	s_and_b64 vcc, exec, s[44:45]
	s_cbranch_vccz .LBB73_277
; %bb.276:
	v_trunc_f32_e32 v3, v2
	s_mov_b32 s36, 0x2f800000
	v_mul_f32_e64 v4, |v3|, s36
	v_floor_f32_e32 v4, v4
	s_mov_b32 s36, 0xcf800000
	v_cvt_u32_f32_e32 v5, v4
	v_fma_f32 v4, v4, s36, |v3|
	v_cvt_u32_f32_e32 v4, v4
	v_ashrrev_i32_e32 v3, 31, v3
	v_xor_b32_e32 v5, v5, v3
	s_mov_b64 s[36:37], 0
	v_xor_b32_e32 v4, v4, v3
	v_sub_co_u32_e32 v4, vcc, v4, v3
	v_subb_co_u32_e32 v5, vcc, v5, v3, vcc
	global_store_dwordx2 v[0:1], v[4:5], off
.LBB73_277:
	s_andn2_b64 vcc, exec, s[36:37]
	s_cbranch_vccnz .LBB73_279
; %bb.278:
	v_cvt_i32_f32_e32 v3, v2
	global_store_dword v[0:1], v3, off
.LBB73_279:
	s_mov_b64 s[36:37], 0
.LBB73_280:
	s_andn2_b64 vcc, exec, s[36:37]
	s_cbranch_vccnz .LBB73_282
; %bb.281:
	v_cvt_i32_f32_e32 v3, v2
	global_store_short v[0:1], v3, off
.LBB73_282:
	s_mov_b64 s[36:37], 0
.LBB73_283:
	s_andn2_b64 vcc, exec, s[36:37]
	s_cbranch_vccnz .LBB73_288
; %bb.284:
	v_mov_b32_e32 v3, 0
	v_cmp_gt_i16_sdwa s[44:45], v6, v3 src0_sel:BYTE_0 src1_sel:DWORD
	s_mov_b64 s[36:37], -1
	s_and_b64 vcc, exec, s[44:45]
	s_cbranch_vccz .LBB73_286
; %bb.285:
	v_cvt_i32_f32_e32 v3, v2
	s_mov_b64 s[36:37], 0
	global_store_byte v[0:1], v3, off
.LBB73_286:
	s_andn2_b64 vcc, exec, s[36:37]
	s_cbranch_vccnz .LBB73_288
; %bb.287:
	v_trunc_f32_e32 v2, v2
	s_mov_b32 s36, 0x2f800000
	v_mul_f32_e64 v3, |v2|, s36
	v_floor_f32_e32 v3, v3
	s_mov_b32 s36, 0xcf800000
	v_fma_f32 v3, v3, s36, |v2|
	v_cvt_u32_f32_e32 v3, v3
	v_ashrrev_i32_e32 v2, 31, v2
	v_xor_b32_e32 v3, v3, v2
	v_sub_u32_e32 v2, v3, v2
	global_store_byte v[0:1], v2, off
.LBB73_288:
	s_mov_b64 s[36:37], -1
.LBB73_289:
	s_andn2_b64 vcc, exec, s[36:37]
	s_cbranch_vccnz .LBB73_291
; %bb.290:
	v_add_u32_e32 v9, 0x80, v9
	s_mov_b64 s[44:45], -1
	s_branch .LBB73_404
.LBB73_291:
	s_mov_b64 s[44:45], 0
                                        ; implicit-def: $vgpr9
	s_branch .LBB73_404
.LBB73_292:
	s_mov_b64 s[38:39], -1
                                        ; implicit-def: $vgpr4
.LBB73_293:
	s_mov_b64 s[36:37], 0
.LBB73_294:
	s_and_b64 vcc, exec, s[36:37]
	s_cbranch_vccz .LBB73_298
; %bb.295:
	v_mov_b32_e32 v4, 29
	v_cmp_eq_u16_sdwa s[36:37], v7, v4 src0_sel:BYTE_0 src1_sel:DWORD
	s_and_b64 vcc, exec, s[36:37]
	s_cbranch_vccz .LBB73_297
; %bb.296:
	global_load_dwordx2 v[4:5], v[2:3], off
	s_mov_b64 s[0:1], -1
	s_mov_b64 s[38:39], 0
	s_mov_b64 s[36:37], 0
	s_waitcnt vmcnt(0)
	v_ffbh_u32_e32 v10, v5
	v_min_u32_e32 v10, 32, v10
	v_lshlrev_b64 v[4:5], v10, v[4:5]
	v_min_u32_e32 v4, 1, v4
	v_or_b32_e32 v4, v5, v4
	v_cvt_f32_u32_e32 v4, v4
	v_sub_u32_e32 v5, 32, v10
	v_ldexp_f32 v4, v4, v5
	s_branch .LBB73_299
.LBB73_297:
	s_mov_b64 s[38:39], -1
                                        ; implicit-def: $vgpr4
.LBB73_298:
	s_mov_b64 s[36:37], 0
.LBB73_299:
	s_and_b64 vcc, exec, s[36:37]
	s_cbranch_vccz .LBB73_317
; %bb.300:
	v_mov_b32_e32 v4, 27
	v_cmp_lt_i16_sdwa s[0:1], v7, v4 src0_sel:BYTE_0 src1_sel:DWORD
	s_and_b64 vcc, exec, s[0:1]
	s_cbranch_vccnz .LBB73_303
; %bb.301:
	v_cmp_gt_i16_sdwa s[0:1], v7, v4 src0_sel:BYTE_0 src1_sel:DWORD
	s_and_b64 vcc, exec, s[0:1]
	s_cbranch_vccz .LBB73_304
; %bb.302:
	global_load_dword v4, v[2:3], off
	s_mov_b64 s[0:1], 0
	s_waitcnt vmcnt(0)
	v_cvt_f32_u32_e32 v4, v4
	s_branch .LBB73_305
.LBB73_303:
	s_mov_b64 s[0:1], -1
                                        ; implicit-def: $vgpr4
	s_branch .LBB73_308
.LBB73_304:
	s_mov_b64 s[0:1], -1
                                        ; implicit-def: $vgpr4
.LBB73_305:
	s_andn2_b64 vcc, exec, s[0:1]
	s_cbranch_vccnz .LBB73_307
; %bb.306:
	global_load_ushort v4, v[2:3], off
	s_waitcnt vmcnt(0)
	v_cvt_f32_u32_e32 v4, v4
.LBB73_307:
	s_mov_b64 s[0:1], 0
.LBB73_308:
	s_andn2_b64 vcc, exec, s[0:1]
	s_cbranch_vccnz .LBB73_316
; %bb.309:
	global_load_ubyte v5, v[2:3], off
	s_movk_i32 s0, 0x7f
                                        ; implicit-def: $sgpr48
	s_waitcnt vmcnt(0)
	v_cmp_lt_i16_e32 vcc, s0, v5
	s_mov_b64 s[0:1], 0
	s_and_saveexec_b64 s[36:37], vcc
	s_xor_b64 s[36:37], exec, s[36:37]
	s_cbranch_execz .LBB73_330
; %bb.310:
	s_movk_i32 s0, 0x80
	v_cmp_eq_u16_e32 vcc, s0, v5
	s_mov_b64 s[0:1], -1
                                        ; implicit-def: $sgpr48
	s_and_saveexec_b64 s[44:45], vcc
; %bb.311:
	s_mov_b32 s48, 0x7f800001
	s_xor_b64 s[0:1], exec, -1
; %bb.312:
	s_or_b64 exec, exec, s[44:45]
	s_and_b64 s[0:1], s[0:1], exec
	s_or_saveexec_b64 s[36:37], s[36:37]
	v_mov_b32_e32 v4, s48
	s_xor_b64 exec, exec, s[36:37]
	s_cbranch_execnz .LBB73_331
.LBB73_313:
	s_or_b64 exec, exec, s[36:37]
	s_and_saveexec_b64 s[36:37], s[0:1]
	s_cbranch_execz .LBB73_315
.LBB73_314:
	v_lshlrev_b32_e32 v4, 24, v5
	v_and_b32_e32 v5, 0xffff, v5
	v_and_b32_e32 v10, 7, v5
	v_ffbh_u32_e32 v12, v10
	v_min_u32_e32 v12, 32, v12
	v_subrev_u32_e32 v13, 28, v12
	v_bfe_u32 v11, v5, 3, 4
	v_lshlrev_b32_e32 v5, v13, v5
	v_sub_u32_e32 v12, 29, v12
	v_and_b32_e32 v5, 7, v5
	v_cmp_eq_u32_e32 vcc, 0, v11
	v_cndmask_b32_e32 v11, v11, v12, vcc
	v_cndmask_b32_e32 v5, v10, v5, vcc
	v_mov_b32_e32 v10, 0x3b800000
	v_lshlrev_b32_e32 v5, 20, v5
	v_and_b32_e32 v4, 0x80000000, v4
	v_lshl_add_u32 v10, v11, 23, v10
	v_or3_b32 v4, v4, v10, v5
.LBB73_315:
	s_or_b64 exec, exec, s[36:37]
.LBB73_316:
	s_mov_b64 s[0:1], -1
.LBB73_317:
	s_mov_b64 s[36:37], 0
.LBB73_318:
	s_and_b64 vcc, exec, s[36:37]
	s_cbranch_vccz .LBB73_353
; %bb.319:
	v_mov_b32_e32 v4, 22
	v_cmp_gt_i16_sdwa s[36:37], v7, v4 src0_sel:BYTE_0 src1_sel:DWORD
	s_and_b64 vcc, exec, s[36:37]
	s_cbranch_vccz .LBB73_329
; %bb.320:
	v_mov_b32_e32 v4, 24
	v_cmp_lt_i16_sdwa s[0:1], v7, v4 src0_sel:BYTE_0 src1_sel:DWORD
	s_and_b64 vcc, exec, s[0:1]
	s_cbranch_vccnz .LBB73_332
; %bb.321:
	v_cmp_gt_i16_sdwa s[0:1], v7, v4 src0_sel:BYTE_0 src1_sel:DWORD
	s_and_b64 vcc, exec, s[0:1]
	s_cbranch_vccz .LBB73_333
; %bb.322:
	global_load_ubyte v5, v[2:3], off
	s_movk_i32 s0, 0x7f
                                        ; implicit-def: $sgpr48
	s_waitcnt vmcnt(0)
	v_cmp_lt_i16_e32 vcc, s0, v5
	s_mov_b64 s[0:1], 0
	s_and_saveexec_b64 s[36:37], vcc
	s_xor_b64 s[36:37], exec, s[36:37]
	s_cbranch_execz .LBB73_345
; %bb.323:
	s_movk_i32 s0, 0x80
	v_cmp_eq_u16_e32 vcc, s0, v5
	s_mov_b64 s[0:1], -1
                                        ; implicit-def: $sgpr48
	s_and_saveexec_b64 s[44:45], vcc
; %bb.324:
	s_mov_b32 s48, 0x7f800001
	s_xor_b64 s[0:1], exec, -1
; %bb.325:
	s_or_b64 exec, exec, s[44:45]
	s_and_b64 s[0:1], s[0:1], exec
	s_or_saveexec_b64 s[36:37], s[36:37]
	v_mov_b32_e32 v4, s48
	s_xor_b64 exec, exec, s[36:37]
	s_cbranch_execnz .LBB73_346
.LBB73_326:
	s_or_b64 exec, exec, s[36:37]
	s_and_saveexec_b64 s[36:37], s[0:1]
	s_cbranch_execz .LBB73_328
.LBB73_327:
	v_lshlrev_b32_e32 v4, 24, v5
	v_and_b32_e32 v5, 0xffff, v5
	v_and_b32_e32 v10, 3, v5
	v_ffbh_u32_e32 v12, v10
	v_min_u32_e32 v12, 32, v12
	v_subrev_u32_e32 v13, 29, v12
	v_bfe_u32 v11, v5, 2, 5
	v_lshlrev_b32_e32 v5, v13, v5
	v_sub_u32_e32 v12, 30, v12
	v_and_b32_e32 v5, 3, v5
	v_cmp_eq_u32_e32 vcc, 0, v11
	v_cndmask_b32_e32 v11, v11, v12, vcc
	v_cndmask_b32_e32 v5, v10, v5, vcc
	v_mov_b32_e32 v10, 0x37800000
	v_lshlrev_b32_e32 v5, 21, v5
	v_and_b32_e32 v4, 0x80000000, v4
	v_lshl_add_u32 v10, v11, 23, v10
	v_or3_b32 v4, v4, v10, v5
.LBB73_328:
	s_or_b64 exec, exec, s[36:37]
	s_mov_b64 s[0:1], 0
	s_branch .LBB73_334
.LBB73_329:
	s_mov_b64 s[36:37], -1
                                        ; implicit-def: $vgpr4
	s_branch .LBB73_340
.LBB73_330:
	s_or_saveexec_b64 s[36:37], s[36:37]
	v_mov_b32_e32 v4, s48
	s_xor_b64 exec, exec, s[36:37]
	s_cbranch_execz .LBB73_313
.LBB73_331:
	v_cmp_ne_u16_e32 vcc, 0, v5
	s_andn2_b64 s[0:1], s[0:1], exec
	s_and_b64 s[44:45], vcc, exec
	v_mov_b32_e32 v4, 0
	s_or_b64 s[0:1], s[0:1], s[44:45]
	s_or_b64 exec, exec, s[36:37]
	s_and_saveexec_b64 s[36:37], s[0:1]
	s_cbranch_execnz .LBB73_314
	s_branch .LBB73_315
.LBB73_332:
	s_mov_b64 s[0:1], -1
                                        ; implicit-def: $vgpr4
	s_branch .LBB73_337
.LBB73_333:
	s_mov_b64 s[0:1], -1
                                        ; implicit-def: $vgpr4
.LBB73_334:
	s_and_b64 vcc, exec, s[0:1]
	s_cbranch_vccz .LBB73_336
; %bb.335:
	global_load_ubyte v4, v[2:3], off
	s_mov_b32 s0, 0x7f800000
	s_waitcnt vmcnt(0)
	v_lshlrev_b32_e32 v4, 24, v4
	v_and_b32_e32 v5, 0x7f000000, v4
	v_ffbh_u32_e32 v10, v5
	v_min_u32_e32 v10, 32, v10
	v_sub_u32_e64 v10, v10, 4 clamp
	v_lshlrev_b32_e32 v12, v10, v5
	v_lshlrev_b32_e32 v10, 23, v10
	v_lshrrev_b32_e32 v12, 4, v12
	v_add_u32_e32 v11, 0x1000000, v5
	v_sub_u32_e32 v10, v12, v10
	v_ashrrev_i32_e32 v11, 8, v11
	v_add_u32_e32 v10, 0x3c000000, v10
	v_and_or_b32 v10, v11, s0, v10
	v_cmp_ne_u32_e32 vcc, 0, v5
	v_cndmask_b32_e32 v5, 0, v10, vcc
	s_brev_b32 s0, 1
	v_and_or_b32 v4, v4, s0, v5
.LBB73_336:
	s_mov_b64 s[0:1], 0
.LBB73_337:
	s_andn2_b64 vcc, exec, s[0:1]
	s_cbranch_vccnz .LBB73_339
; %bb.338:
	global_load_ubyte v4, v[2:3], off
	s_movk_i32 s0, 0x7f00
	s_brev_b32 s1, 16
	s_waitcnt vmcnt(0)
	v_lshlrev_b16_e32 v5, 8, v4
	v_lshlrev_b32_e32 v4, 25, v4
	v_lshrrev_b32_e32 v10, 4, v4
	v_and_or_b32 v11, v5, s0, 0.5
	v_or_b32_e32 v10, 0x70000000, v10
	v_add_f32_e32 v11, -0.5, v11
	v_mul_f32_e32 v10, 0x7800000, v10
	v_cmp_gt_u32_e32 vcc, s1, v4
	v_bfe_i32 v5, v5, 0, 16
	v_cndmask_b32_e32 v4, v10, v11, vcc
	s_brev_b32 s0, 1
	v_and_or_b32 v4, v5, s0, v4
.LBB73_339:
	s_mov_b64 s[36:37], 0
	s_mov_b64 s[0:1], -1
.LBB73_340:
	s_andn2_b64 vcc, exec, s[36:37]
	s_cbranch_vccnz .LBB73_353
; %bb.341:
	v_mov_b32_e32 v4, 14
	v_cmp_gt_i16_sdwa s[36:37], v7, v4 src0_sel:BYTE_0 src1_sel:DWORD
	s_and_b64 vcc, exec, s[36:37]
	s_cbranch_vccz .LBB73_344
; %bb.342:
	v_mov_b32_e32 v4, 15
	v_cmp_eq_u16_sdwa s[36:37], v7, v4 src0_sel:BYTE_0 src1_sel:DWORD
	s_and_b64 vcc, exec, s[36:37]
	s_cbranch_vccz .LBB73_347
; %bb.343:
	global_load_ushort v4, v[2:3], off
	s_mov_b64 s[0:1], -1
	s_mov_b64 s[38:39], 0
	s_waitcnt vmcnt(0)
	v_lshlrev_b32_e32 v4, 16, v4
	s_branch .LBB73_348
.LBB73_344:
	s_mov_b64 s[36:37], -1
                                        ; implicit-def: $vgpr4
	s_branch .LBB73_349
.LBB73_345:
	s_or_saveexec_b64 s[36:37], s[36:37]
	v_mov_b32_e32 v4, s48
	s_xor_b64 exec, exec, s[36:37]
	s_cbranch_execz .LBB73_326
.LBB73_346:
	v_cmp_ne_u16_e32 vcc, 0, v5
	s_andn2_b64 s[0:1], s[0:1], exec
	s_and_b64 s[44:45], vcc, exec
	v_mov_b32_e32 v4, 0
	s_or_b64 s[0:1], s[0:1], s[44:45]
	s_or_b64 exec, exec, s[36:37]
	s_and_saveexec_b64 s[36:37], s[0:1]
	s_cbranch_execnz .LBB73_327
	s_branch .LBB73_328
.LBB73_347:
	s_mov_b64 s[38:39], -1
                                        ; implicit-def: $vgpr4
.LBB73_348:
	s_mov_b64 s[36:37], 0
.LBB73_349:
	s_and_b64 vcc, exec, s[36:37]
	s_cbranch_vccz .LBB73_353
; %bb.350:
	v_mov_b32_e32 v4, 11
	v_cmp_eq_u16_sdwa s[36:37], v7, v4 src0_sel:BYTE_0 src1_sel:DWORD
	s_and_b64 vcc, exec, s[36:37]
	s_cbranch_vccz .LBB73_352
; %bb.351:
	global_load_ubyte v4, v[2:3], off
	s_mov_b64 s[0:1], -1
	s_mov_b64 s[38:39], 0
	s_waitcnt vmcnt(0)
	v_cmp_ne_u16_e32 vcc, 0, v4
	v_cndmask_b32_e64 v4, 0, 1.0, vcc
	s_branch .LBB73_353
.LBB73_352:
	s_mov_b64 s[38:39], -1
                                        ; implicit-def: $vgpr4
.LBB73_353:
	s_branch .LBB73_30
.LBB73_354:
	v_mov_b32_e32 v4, 5
	v_cmp_lt_i16_sdwa s[0:1], v7, v4 src0_sel:BYTE_0 src1_sel:DWORD
	s_and_b64 vcc, exec, s[0:1]
	s_cbranch_vccnz .LBB73_359
; %bb.355:
	v_mov_b32_e32 v4, 8
	v_cmp_lt_i16_sdwa s[0:1], v7, v4 src0_sel:BYTE_0 src1_sel:DWORD
	s_and_b64 vcc, exec, s[0:1]
	s_cbranch_vccnz .LBB73_360
; %bb.356:
	;; [unrolled: 5-line block ×3, first 2 shown]
	v_cmp_gt_i16_sdwa s[0:1], v7, v4 src0_sel:BYTE_0 src1_sel:DWORD
	s_and_b64 vcc, exec, s[0:1]
	s_cbranch_vccz .LBB73_362
; %bb.358:
	global_load_dwordx2 v[4:5], v[2:3], off
	s_mov_b64 s[0:1], 0
	s_waitcnt vmcnt(0)
	v_cvt_f32_f64_e32 v4, v[4:5]
	s_branch .LBB73_363
.LBB73_359:
	s_mov_b64 s[0:1], -1
                                        ; implicit-def: $vgpr4
	s_branch .LBB73_381
.LBB73_360:
	s_mov_b64 s[0:1], -1
                                        ; implicit-def: $vgpr4
	s_branch .LBB73_369
.LBB73_361:
	s_mov_b64 s[0:1], -1
                                        ; implicit-def: $vgpr4
	s_branch .LBB73_366
.LBB73_362:
	s_mov_b64 s[0:1], -1
                                        ; implicit-def: $vgpr4
.LBB73_363:
	s_andn2_b64 vcc, exec, s[0:1]
	s_cbranch_vccnz .LBB73_365
; %bb.364:
	global_load_dword v4, v[2:3], off
.LBB73_365:
	s_mov_b64 s[0:1], 0
.LBB73_366:
	s_andn2_b64 vcc, exec, s[0:1]
	s_cbranch_vccnz .LBB73_368
; %bb.367:
	global_load_dword v4, v[2:3], off
	s_waitcnt vmcnt(0)
	v_cvt_f32_f16_e32 v4, v4
.LBB73_368:
	s_mov_b64 s[0:1], 0
.LBB73_369:
	s_andn2_b64 vcc, exec, s[0:1]
	s_cbranch_vccnz .LBB73_380
; %bb.370:
	s_waitcnt vmcnt(0)
	v_mov_b32_e32 v4, 6
	v_cmp_lt_i16_sdwa s[0:1], v7, v4 src0_sel:BYTE_0 src1_sel:DWORD
	s_and_b64 vcc, exec, s[0:1]
	s_cbranch_vccnz .LBB73_373
; %bb.371:
	v_cmp_gt_i16_sdwa s[0:1], v7, v4 src0_sel:BYTE_0 src1_sel:DWORD
	s_and_b64 vcc, exec, s[0:1]
	s_cbranch_vccz .LBB73_374
; %bb.372:
	global_load_dwordx2 v[4:5], v[2:3], off
	s_mov_b64 s[0:1], 0
	s_waitcnt vmcnt(0)
	v_cvt_f32_f64_e32 v4, v[4:5]
	s_branch .LBB73_375
.LBB73_373:
	s_mov_b64 s[0:1], -1
                                        ; implicit-def: $vgpr4
	s_branch .LBB73_378
.LBB73_374:
	s_mov_b64 s[0:1], -1
                                        ; implicit-def: $vgpr4
.LBB73_375:
	s_andn2_b64 vcc, exec, s[0:1]
	s_cbranch_vccnz .LBB73_377
; %bb.376:
	global_load_dword v4, v[2:3], off
.LBB73_377:
	s_mov_b64 s[0:1], 0
.LBB73_378:
	s_andn2_b64 vcc, exec, s[0:1]
	s_cbranch_vccnz .LBB73_380
; %bb.379:
	global_load_ushort v4, v[2:3], off
	s_waitcnt vmcnt(0)
	v_cvt_f32_f16_e32 v4, v4
.LBB73_380:
	s_mov_b64 s[0:1], 0
.LBB73_381:
	s_andn2_b64 vcc, exec, s[0:1]
	s_cbranch_vccnz .LBB73_401
; %bb.382:
	s_waitcnt vmcnt(0)
	v_mov_b32_e32 v4, 2
	v_cmp_lt_i16_sdwa s[0:1], v7, v4 src0_sel:BYTE_0 src1_sel:DWORD
	s_and_b64 vcc, exec, s[0:1]
	s_cbranch_vccnz .LBB73_386
; %bb.383:
	v_mov_b32_e32 v4, 3
	v_cmp_lt_i16_sdwa s[0:1], v7, v4 src0_sel:BYTE_0 src1_sel:DWORD
	s_and_b64 vcc, exec, s[0:1]
	s_cbranch_vccnz .LBB73_387
; %bb.384:
	v_cmp_gt_i16_sdwa s[0:1], v7, v4 src0_sel:BYTE_0 src1_sel:DWORD
	s_and_b64 vcc, exec, s[0:1]
	s_cbranch_vccz .LBB73_388
; %bb.385:
	global_load_dwordx2 v[4:5], v[2:3], off
	s_mov_b64 s[0:1], 0
	s_waitcnt vmcnt(0)
	v_xor_b32_e32 v11, v4, v5
	v_ffbh_i32_e32 v10, v5
	v_ashrrev_i32_e32 v11, 31, v11
	v_add_u32_e32 v10, -1, v10
	v_add_u32_e32 v11, 32, v11
	v_min_u32_e32 v10, v10, v11
	v_lshlrev_b64 v[4:5], v10, v[4:5]
	v_min_u32_e32 v4, 1, v4
	v_or_b32_e32 v4, v5, v4
	v_cvt_f32_i32_e32 v4, v4
	v_sub_u32_e32 v5, 32, v10
	v_ldexp_f32 v4, v4, v5
	s_branch .LBB73_389
.LBB73_386:
	s_mov_b64 s[0:1], -1
                                        ; implicit-def: $vgpr4
	s_branch .LBB73_395
.LBB73_387:
	s_mov_b64 s[0:1], -1
                                        ; implicit-def: $vgpr4
	s_branch .LBB73_392
.LBB73_388:
	s_mov_b64 s[0:1], -1
                                        ; implicit-def: $vgpr4
.LBB73_389:
	s_andn2_b64 vcc, exec, s[0:1]
	s_cbranch_vccnz .LBB73_391
; %bb.390:
	global_load_dword v4, v[2:3], off
	s_waitcnt vmcnt(0)
	v_cvt_f32_i32_e32 v4, v4
.LBB73_391:
	s_mov_b64 s[0:1], 0
.LBB73_392:
	s_andn2_b64 vcc, exec, s[0:1]
	s_cbranch_vccnz .LBB73_394
; %bb.393:
	global_load_sshort v4, v[2:3], off
	s_waitcnt vmcnt(0)
	v_cvt_f32_i32_e32 v4, v4
.LBB73_394:
	s_mov_b64 s[0:1], 0
.LBB73_395:
	s_andn2_b64 vcc, exec, s[0:1]
	s_cbranch_vccnz .LBB73_401
; %bb.396:
	v_mov_b32_e32 v4, 0
	v_cmp_gt_i16_sdwa s[0:1], v7, v4 src0_sel:BYTE_0 src1_sel:DWORD
	s_and_b64 vcc, exec, s[0:1]
	s_cbranch_vccz .LBB73_398
; %bb.397:
	global_load_sbyte v4, v[2:3], off
	s_mov_b64 s[0:1], 0
	s_waitcnt vmcnt(0)
	v_cvt_f32_i32_e32 v4, v4
	s_branch .LBB73_399
.LBB73_398:
	s_mov_b64 s[0:1], -1
                                        ; implicit-def: $vgpr4
.LBB73_399:
	s_andn2_b64 vcc, exec, s[0:1]
	s_cbranch_vccnz .LBB73_401
; %bb.400:
	global_load_ubyte v2, v[2:3], off
	s_waitcnt vmcnt(0)
	v_cvt_f32_ubyte0_e32 v4, v2
.LBB73_401:
	s_branch .LBB73_31
.LBB73_402:
	s_mov_b64 s[0:1], 0
.LBB73_403:
                                        ; implicit-def: $vgpr9
	s_mov_b64 s[44:45], 0
.LBB73_404:
	s_and_b64 s[36:37], s[0:1], exec
	s_and_b64 s[38:39], s[38:39], exec
	;; [unrolled: 1-line block ×3, first 2 shown]
	s_orn2_b64 s[0:1], s[44:45], exec
.LBB73_405:
	s_or_b64 exec, exec, s[42:43]
	s_mov_b64 s[50:51], 0
	s_mov_b64 s[48:49], 0
                                        ; implicit-def: $vgpr3
                                        ; implicit-def: $vgpr4_vgpr5
                                        ; implicit-def: $vgpr2
                                        ; implicit-def: $vgpr0
                                        ; implicit-def: $vgpr1
	s_and_saveexec_b64 s[42:43], s[0:1]
	s_cbranch_execz .LBB73_414
; %bb.406:
	v_cmp_gt_i32_e32 vcc, s70, v9
	s_mov_b64 s[0:1], -1
	s_mov_b64 s[44:45], s[40:41]
	s_mov_b64 s[46:47], s[38:39]
	s_mov_b64 s[48:49], s[36:37]
	s_and_saveexec_b64 s[50:51], vcc
	s_cbranch_execz .LBB73_817
; %bb.407:
	s_andn2_b64 vcc, exec, s[20:21]
	s_cbranch_vccnz .LBB73_417
; %bb.408:
	s_andn2_b64 vcc, exec, s[34:35]
	v_mov_b32_e32 v2, 0
	s_waitcnt vmcnt(0)
	v_mov_b32_e32 v4, 0
	v_mov_b32_e32 v0, 0
	s_cbranch_vccnz .LBB73_413
; %bb.409:
	s_add_i32 s0, s69, 1
	s_and_b32 s44, s0, 30
	s_add_u32 s0, s2, 0xffffffec
	s_addc_u32 s1, s3, -1
	v_mov_b32_e32 v0, 0
	v_mov_b32_e32 v1, v9
	;; [unrolled: 1-line block ×4, first 2 shown]
.LBB73_410:                             ; =>This Inner Loop Header: Depth=1
	s_mov_b64 s[46:47], s[0:1]
	s_load_dwordx4 s[52:55], s[46:47], 0x18
	s_load_dwordx2 s[48:49], s[46:47], 0x28
	s_load_dwordx2 s[60:61], s[46:47], 0xe8
	s_load_dwordx4 s[56:59], s[46:47], 0xd8
	s_add_u32 s0, s46, 24
	s_waitcnt lgkmcnt(0)
	v_mul_hi_u32 v3, s53, v1
	v_add_u32_e32 v3, v1, v3
	v_lshrrev_b32_e32 v3, s54, v3
	v_mul_lo_u32 v5, v3, s52
	v_mul_hi_u32 v10, s48, v3
	v_sub_u32_e32 v1, v1, v5
	v_add_u32_e32 v5, v3, v10
	v_mul_lo_u32 v10, v1, s56
	v_mul_lo_u32 v11, v1, s57
	;; [unrolled: 1-line block ×3, first 2 shown]
	v_lshrrev_b32_e32 v1, s49, v5
	v_mul_lo_u32 v5, v1, s55
	v_sub_u32_e32 v3, v3, v5
	s_addc_u32 s1, s47, 0
	s_add_i32 s44, s44, -2
	v_mul_lo_u32 v5, v3, s59
	v_mul_lo_u32 v13, v3, s60
	;; [unrolled: 1-line block ×3, first 2 shown]
	s_cmp_eq_u32 s44, 0
	v_add3_u32 v0, v10, v0, v5
	v_add3_u32 v2, v12, v2, v3
	;; [unrolled: 1-line block ×3, first 2 shown]
	s_cbranch_scc0 .LBB73_410
; %bb.411:
	s_bitcmp1_b32 s69, 0
	s_cselect_b64 s[44:45], -1, 0
	s_and_b64 vcc, exec, s[44:45]
	s_cbranch_vccnz .LBB73_413
; %bb.412:
	s_load_dwordx2 s[44:45], s[0:1], 0x18
	s_load_dword s46, s[0:1], 0x20
	s_load_dword s47, s[0:1], 0xe0
	s_nop 0
	s_load_dwordx2 s[0:1], s[0:1], 0xd8
	s_waitcnt lgkmcnt(0)
	v_mul_hi_u32 v3, s45, v1
	v_add_u32_e32 v3, v1, v3
	v_lshrrev_b32_e32 v3, s46, v3
	v_mul_lo_u32 v3, v3, s44
	v_sub_u32_e32 v3, v1, v3
	v_mad_u64_u32 v[0:1], s[44:45], v3, s0, v[0:1]
	v_mad_u64_u32 v[4:5], s[0:1], v3, s1, v[4:5]
	;; [unrolled: 1-line block ×3, first 2 shown]
.LBB73_413:
	s_cbranch_execz .LBB73_418
	s_branch .LBB73_420
.LBB73_414:
	s_or_b64 exec, exec, s[42:43]
	s_waitcnt lgkmcnt(0)
	s_mov_b64 s[10:11], 0
	s_and_saveexec_b64 s[0:1], s[40:41]
	s_cbranch_execnz .LBB73_1325
.LBB73_415:
	s_or_b64 exec, exec, s[0:1]
	s_and_saveexec_b64 s[0:1], s[46:47]
	s_xor_b64 s[0:1], exec, s[0:1]
	s_cbranch_execz .LBB73_1326
.LBB73_416:
	s_waitcnt vmcnt(0)
	global_load_ubyte v1, v[4:5], off
	s_or_b64 s[48:49], s[48:49], exec
	s_waitcnt vmcnt(0)
	v_cmp_ne_u16_e32 vcc, 0, v1
	v_cndmask_b32_e64 v1, 0, 1.0, vcc
	s_or_b64 exec, exec, s[0:1]
	s_and_saveexec_b64 s[0:1], s[50:51]
	s_cbranch_execz .LBB73_1372
	s_branch .LBB73_1327
.LBB73_417:
                                        ; implicit-def: $vgpr2
                                        ; implicit-def: $vgpr4
                                        ; implicit-def: $vgpr0
	s_andn2_b64 vcc, exec, s[0:1]
	s_cbranch_vccnz .LBB73_420
.LBB73_418:
	s_waitcnt lgkmcnt(0)
	v_mul_hi_u32 v0, s17, v9
	v_add_u32_e32 v0, v9, v0
	s_waitcnt vmcnt(0)
	v_lshrrev_b32_e32 v1, s18, v0
	v_mul_lo_u32 v0, v1, s16
	v_sub_u32_e32 v3, v9, v0
	v_mul_lo_u32 v0, v3, s12
	v_mul_lo_u32 v2, v3, s14
	s_andn2_b64 vcc, exec, s[30:31]
	v_mul_lo_u32 v4, v3, s13
	s_cbranch_vccnz .LBB73_420
; %bb.419:
	v_mul_hi_u32 v3, s28, v1
	v_add_u32_e32 v3, v1, v3
	v_lshrrev_b32_e32 v3, s29, v3
	v_mul_lo_u32 v3, v3, s19
	v_sub_u32_e32 v3, v1, v3
	v_mad_u64_u32 v[0:1], s[0:1], v3, s15, v[0:1]
	v_mad_u64_u32 v[4:5], s[0:1], v3, s26, v[4:5]
	;; [unrolled: 1-line block ×3, first 2 shown]
.LBB73_420:
	s_waitcnt vmcnt(0) lgkmcnt(0)
	v_mov_b32_e32 v1, s11
	v_add_co_u32_e32 v4, vcc, s10, v4
	v_addc_co_u32_e32 v5, vcc, 0, v1, vcc
	v_mov_b32_e32 v1, 11
	v_cmp_lt_i16_sdwa s[0:1], v8, v1 src0_sel:BYTE_0 src1_sel:DWORD
	s_and_b64 vcc, exec, s[0:1]
	s_cbranch_vccnz .LBB73_427
; %bb.421:
	v_mov_b32_e32 v1, 25
	v_cmp_gt_i16_sdwa s[0:1], v8, v1 src0_sel:BYTE_0 src1_sel:DWORD
	s_and_b64 vcc, exec, s[0:1]
	s_cbranch_vccz .LBB73_436
; %bb.422:
	v_mov_b32_e32 v1, 28
	v_cmp_gt_i16_sdwa s[0:1], v8, v1 src0_sel:BYTE_0 src1_sel:DWORD
	s_and_b64 vcc, exec, s[0:1]
	s_cbranch_vccz .LBB73_438
	;; [unrolled: 5-line block ×4, first 2 shown]
; %bb.425:
	v_mov_b32_e32 v1, 46
	v_cmp_eq_u16_sdwa s[0:1], v8, v1 src0_sel:BYTE_0 src1_sel:DWORD
	s_mov_b64 s[46:47], 0
	s_and_b64 vcc, exec, s[0:1]
	s_cbranch_vccz .LBB73_446
; %bb.426:
	global_load_dword v1, v[4:5], off
	s_mov_b64 s[0:1], -1
	s_mov_b64 s[44:45], 0
	s_waitcnt vmcnt(0)
	v_lshlrev_b32_e32 v1, 16, v1
	s_branch .LBB73_447
.LBB73_427:
	s_mov_b64 s[0:1], 0
                                        ; implicit-def: $vgpr1
	s_mov_b64 s[44:45], s[40:41]
	s_cbranch_execnz .LBB73_513
.LBB73_428:
	s_andn2_b64 vcc, exec, s[0:1]
	s_cbranch_vccnz .LBB73_561
.LBB73_429:
	v_mov_b32_e32 v3, s25
	v_add_co_u32_e32 v2, vcc, s24, v2
	v_mov_b32_e32 v4, 11
	v_addc_co_u32_e32 v3, vcc, 0, v3, vcc
	v_cmp_lt_i16_sdwa s[0:1], v7, v4 src0_sel:BYTE_0 src1_sel:DWORD
	s_and_b64 vcc, exec, s[0:1]
	s_cbranch_vccnz .LBB73_437
; %bb.430:
	v_mov_b32_e32 v4, 25
	v_cmp_gt_i16_sdwa s[0:1], v7, v4 src0_sel:BYTE_0 src1_sel:DWORD
	s_and_b64 vcc, exec, s[0:1]
	s_cbranch_vccz .LBB73_439
; %bb.431:
	v_mov_b32_e32 v4, 28
	v_cmp_gt_i16_sdwa s[0:1], v7, v4 src0_sel:BYTE_0 src1_sel:DWORD
	s_and_b64 vcc, exec, s[0:1]
	s_cbranch_vccz .LBB73_441
	;; [unrolled: 5-line block ×4, first 2 shown]
; %bb.434:
	v_mov_b32_e32 v4, 46
	v_cmp_eq_u16_sdwa s[0:1], v7, v4 src0_sel:BYTE_0 src1_sel:DWORD
	s_mov_b64 s[48:49], 0
	s_and_b64 vcc, exec, s[0:1]
	s_cbranch_vccz .LBB73_565
; %bb.435:
	global_load_dword v4, v[2:3], off
	s_mov_b64 s[0:1], -1
	s_mov_b64 s[46:47], 0
	s_waitcnt vmcnt(0)
	v_lshlrev_b32_e32 v4, 16, v4
	s_branch .LBB73_566
.LBB73_436:
	s_mov_b64 s[46:47], -1
	s_mov_b64 s[0:1], 0
	s_mov_b64 s[44:45], s[40:41]
                                        ; implicit-def: $vgpr1
	s_branch .LBB73_477
.LBB73_437:
	s_mov_b64 s[48:49], -1
	s_mov_b64 s[0:1], 0
                                        ; implicit-def: $vgpr4
	s_mov_b64 s[46:47], s[38:39]
	s_branch .LBB73_631
.LBB73_438:
	s_mov_b64 s[46:47], -1
	s_mov_b64 s[0:1], 0
	s_mov_b64 s[44:45], s[40:41]
                                        ; implicit-def: $vgpr1
	s_branch .LBB73_458
.LBB73_439:
	s_mov_b64 s[48:49], -1
	s_mov_b64 s[0:1], 0
	s_mov_b64 s[46:47], s[38:39]
                                        ; implicit-def: $vgpr4
	s_branch .LBB73_595
.LBB73_440:
	s_mov_b64 s[46:47], -1
	s_mov_b64 s[0:1], 0
	s_mov_b64 s[44:45], s[40:41]
                                        ; implicit-def: $vgpr1
	s_branch .LBB73_453
.LBB73_441:
	s_mov_b64 s[48:49], -1
	s_mov_b64 s[0:1], 0
	s_mov_b64 s[46:47], s[38:39]
                                        ; implicit-def: $vgpr4
	s_branch .LBB73_576
.LBB73_442:
	s_mov_b64 s[46:47], -1
	s_mov_b64 s[0:1], 0
	s_mov_b64 s[44:45], s[40:41]
                                        ; implicit-def: $vgpr1
	s_branch .LBB73_447
.LBB73_443:
	s_mov_b64 s[48:49], -1
	s_mov_b64 s[0:1], 0
	s_mov_b64 s[46:47], s[38:39]
                                        ; implicit-def: $vgpr4
	s_branch .LBB73_571
.LBB73_444:
	s_or_saveexec_b64 s[48:49], s[48:49]
                                        ; implicit-def: $sgpr50
	s_xor_b64 exec, exec, s[48:49]
	s_cbranch_execz .LBB73_202
.LBB73_445:
	s_mov_b32 s50, 0x46000000
	v_add_f32_e64 v3, |v2|, s50
	v_and_b32_e32 v3, 0xff, v3
	v_cmp_ne_u32_e32 vcc, 0, v3
	s_andn2_b64 s[44:45], s[44:45], exec
	s_and_b64 s[52:53], vcc, exec
	s_mov_b32 s50, 0
	s_or_b64 s[44:45], s[44:45], s[52:53]
	s_or_b64 exec, exec, s[48:49]
	v_mov_b32_e32 v4, s50
	s_and_saveexec_b64 s[48:49], s[44:45]
	s_cbranch_execnz .LBB73_203
	s_branch .LBB73_204
.LBB73_446:
	s_mov_b64 s[44:45], -1
                                        ; implicit-def: $vgpr1
	s_mov_b64 s[0:1], 0
.LBB73_447:
	s_and_b64 vcc, exec, s[46:47]
	s_cbranch_vccz .LBB73_452
; %bb.448:
	v_mov_b32_e32 v1, 44
	v_cmp_eq_u16_sdwa s[44:45], v8, v1 src0_sel:BYTE_0 src1_sel:DWORD
	s_and_b64 vcc, exec, s[44:45]
	s_cbranch_vccz .LBB73_451
; %bb.449:
	global_load_ubyte v1, v[4:5], off
	s_movk_i32 s44, 0xff
	v_mov_b32_e32 v3, 0x7f800001
	v_mov_b32_e32 v10, 0x400000
	s_mov_b64 s[0:1], -1
	s_waitcnt vmcnt(0)
	v_lshlrev_b32_e32 v11, 23, v1
	v_cmp_ne_u32_e32 vcc, s44, v1
	v_cndmask_b32_e32 v3, v3, v11, vcc
	v_cmp_ne_u32_e32 vcc, 0, v1
	v_cndmask_b32_e32 v1, v10, v3, vcc
	s_mov_b64 s[44:45], 0
	s_branch .LBB73_452
.LBB73_450:
	s_mov_b64 s[48:49], -1
	s_mov_b64 s[0:1], 0
	s_mov_b64 s[46:47], s[38:39]
                                        ; implicit-def: $vgpr4
	s_branch .LBB73_566
.LBB73_451:
	s_mov_b64 s[44:45], -1
                                        ; implicit-def: $vgpr1
.LBB73_452:
	s_mov_b64 s[46:47], 0
.LBB73_453:
	s_and_b64 vcc, exec, s[46:47]
	s_cbranch_vccz .LBB73_457
; %bb.454:
	v_mov_b32_e32 v1, 29
	v_cmp_eq_u16_sdwa s[44:45], v8, v1 src0_sel:BYTE_0 src1_sel:DWORD
	s_and_b64 vcc, exec, s[44:45]
	s_cbranch_vccz .LBB73_456
; %bb.455:
	global_load_dwordx2 v[10:11], v[4:5], off
	s_mov_b64 s[0:1], -1
	s_mov_b64 s[44:45], 0
	s_mov_b64 s[46:47], 0
	s_waitcnt vmcnt(0)
	v_ffbh_u32_e32 v1, v11
	v_min_u32_e32 v1, 32, v1
	v_lshlrev_b64 v[10:11], v1, v[10:11]
	v_min_u32_e32 v3, 1, v10
	v_or_b32_e32 v3, v11, v3
	v_cvt_f32_u32_e32 v3, v3
	v_sub_u32_e32 v1, 32, v1
	v_ldexp_f32 v1, v3, v1
	s_branch .LBB73_458
.LBB73_456:
	s_mov_b64 s[44:45], -1
                                        ; implicit-def: $vgpr1
.LBB73_457:
	s_mov_b64 s[46:47], 0
.LBB73_458:
	s_and_b64 vcc, exec, s[46:47]
	s_cbranch_vccz .LBB73_476
; %bb.459:
	v_mov_b32_e32 v1, 27
	v_cmp_lt_i16_sdwa s[0:1], v8, v1 src0_sel:BYTE_0 src1_sel:DWORD
	s_and_b64 vcc, exec, s[0:1]
	s_cbranch_vccnz .LBB73_462
; %bb.460:
	v_cmp_gt_i16_sdwa s[0:1], v8, v1 src0_sel:BYTE_0 src1_sel:DWORD
	s_and_b64 vcc, exec, s[0:1]
	s_cbranch_vccz .LBB73_463
; %bb.461:
	global_load_dword v1, v[4:5], off
	s_mov_b64 s[0:1], 0
	s_waitcnt vmcnt(0)
	v_cvt_f32_u32_e32 v1, v1
	s_branch .LBB73_464
.LBB73_462:
	s_mov_b64 s[0:1], -1
                                        ; implicit-def: $vgpr1
	s_branch .LBB73_467
.LBB73_463:
	s_mov_b64 s[0:1], -1
                                        ; implicit-def: $vgpr1
.LBB73_464:
	s_andn2_b64 vcc, exec, s[0:1]
	s_cbranch_vccnz .LBB73_466
; %bb.465:
	global_load_ushort v1, v[4:5], off
	s_waitcnt vmcnt(0)
	v_cvt_f32_u32_e32 v1, v1
.LBB73_466:
	s_mov_b64 s[0:1], 0
.LBB73_467:
	s_andn2_b64 vcc, exec, s[0:1]
	s_cbranch_vccnz .LBB73_475
; %bb.468:
	global_load_ubyte v3, v[4:5], off
	s_movk_i32 s0, 0x7f
                                        ; implicit-def: $sgpr52
	s_waitcnt vmcnt(0)
	v_cmp_lt_i16_e32 vcc, s0, v3
	s_mov_b64 s[0:1], 0
	s_and_saveexec_b64 s[46:47], vcc
	s_xor_b64 s[46:47], exec, s[46:47]
	s_cbranch_execz .LBB73_489
; %bb.469:
	s_movk_i32 s0, 0x80
	v_cmp_eq_u16_e32 vcc, s0, v3
	s_mov_b64 s[0:1], -1
                                        ; implicit-def: $sgpr52
	s_and_saveexec_b64 s[48:49], vcc
; %bb.470:
	s_mov_b32 s52, 0x7f800001
	s_xor_b64 s[0:1], exec, -1
; %bb.471:
	s_or_b64 exec, exec, s[48:49]
	s_and_b64 s[0:1], s[0:1], exec
	s_or_saveexec_b64 s[46:47], s[46:47]
	v_mov_b32_e32 v1, s52
	s_xor_b64 exec, exec, s[46:47]
	s_cbranch_execnz .LBB73_490
.LBB73_472:
	s_or_b64 exec, exec, s[46:47]
	s_and_saveexec_b64 s[46:47], s[0:1]
	s_cbranch_execz .LBB73_474
.LBB73_473:
	v_lshlrev_b32_e32 v1, 24, v3
	v_and_b32_e32 v3, 0xffff, v3
	v_and_b32_e32 v10, 7, v3
	v_ffbh_u32_e32 v12, v10
	v_min_u32_e32 v12, 32, v12
	v_subrev_u32_e32 v13, 28, v12
	v_bfe_u32 v11, v3, 3, 4
	v_lshlrev_b32_e32 v3, v13, v3
	v_sub_u32_e32 v12, 29, v12
	v_and_b32_e32 v3, 7, v3
	v_cmp_eq_u32_e32 vcc, 0, v11
	v_cndmask_b32_e32 v11, v11, v12, vcc
	v_cndmask_b32_e32 v3, v10, v3, vcc
	v_mov_b32_e32 v10, 0x3b800000
	v_lshlrev_b32_e32 v3, 20, v3
	v_and_b32_e32 v1, 0x80000000, v1
	v_lshl_add_u32 v10, v11, 23, v10
	v_or3_b32 v1, v1, v10, v3
.LBB73_474:
	s_or_b64 exec, exec, s[46:47]
.LBB73_475:
	s_mov_b64 s[0:1], -1
.LBB73_476:
	s_mov_b64 s[46:47], 0
.LBB73_477:
	s_and_b64 vcc, exec, s[46:47]
	s_cbranch_vccz .LBB73_512
; %bb.478:
	v_mov_b32_e32 v1, 22
	v_cmp_gt_i16_sdwa s[46:47], v8, v1 src0_sel:BYTE_0 src1_sel:DWORD
	s_and_b64 vcc, exec, s[46:47]
	s_cbranch_vccz .LBB73_488
; %bb.479:
	v_mov_b32_e32 v1, 24
	v_cmp_lt_i16_sdwa s[0:1], v8, v1 src0_sel:BYTE_0 src1_sel:DWORD
	s_and_b64 vcc, exec, s[0:1]
	s_cbranch_vccnz .LBB73_491
; %bb.480:
	v_cmp_gt_i16_sdwa s[0:1], v8, v1 src0_sel:BYTE_0 src1_sel:DWORD
	s_and_b64 vcc, exec, s[0:1]
	s_cbranch_vccz .LBB73_492
; %bb.481:
	global_load_ubyte v3, v[4:5], off
	s_movk_i32 s0, 0x7f
                                        ; implicit-def: $sgpr52
	s_waitcnt vmcnt(0)
	v_cmp_lt_i16_e32 vcc, s0, v3
	s_mov_b64 s[0:1], 0
	s_and_saveexec_b64 s[46:47], vcc
	s_xor_b64 s[46:47], exec, s[46:47]
	s_cbranch_execz .LBB73_504
; %bb.482:
	s_movk_i32 s0, 0x80
	v_cmp_eq_u16_e32 vcc, s0, v3
	s_mov_b64 s[0:1], -1
                                        ; implicit-def: $sgpr52
	s_and_saveexec_b64 s[48:49], vcc
; %bb.483:
	s_mov_b32 s52, 0x7f800001
	s_xor_b64 s[0:1], exec, -1
; %bb.484:
	s_or_b64 exec, exec, s[48:49]
	s_and_b64 s[0:1], s[0:1], exec
	s_or_saveexec_b64 s[46:47], s[46:47]
	v_mov_b32_e32 v1, s52
	s_xor_b64 exec, exec, s[46:47]
	s_cbranch_execnz .LBB73_505
.LBB73_485:
	s_or_b64 exec, exec, s[46:47]
	s_and_saveexec_b64 s[46:47], s[0:1]
	s_cbranch_execz .LBB73_487
.LBB73_486:
	v_lshlrev_b32_e32 v1, 24, v3
	v_and_b32_e32 v3, 0xffff, v3
	v_and_b32_e32 v10, 3, v3
	v_ffbh_u32_e32 v12, v10
	v_min_u32_e32 v12, 32, v12
	v_subrev_u32_e32 v13, 29, v12
	v_bfe_u32 v11, v3, 2, 5
	v_lshlrev_b32_e32 v3, v13, v3
	v_sub_u32_e32 v12, 30, v12
	v_and_b32_e32 v3, 3, v3
	v_cmp_eq_u32_e32 vcc, 0, v11
	v_cndmask_b32_e32 v11, v11, v12, vcc
	v_cndmask_b32_e32 v3, v10, v3, vcc
	v_mov_b32_e32 v10, 0x37800000
	v_lshlrev_b32_e32 v3, 21, v3
	v_and_b32_e32 v1, 0x80000000, v1
	v_lshl_add_u32 v10, v11, 23, v10
	v_or3_b32 v1, v1, v10, v3
.LBB73_487:
	s_or_b64 exec, exec, s[46:47]
	s_mov_b64 s[0:1], 0
	s_branch .LBB73_493
.LBB73_488:
	s_mov_b64 s[46:47], -1
                                        ; implicit-def: $vgpr1
	s_branch .LBB73_499
.LBB73_489:
	s_or_saveexec_b64 s[46:47], s[46:47]
	v_mov_b32_e32 v1, s52
	s_xor_b64 exec, exec, s[46:47]
	s_cbranch_execz .LBB73_472
.LBB73_490:
	v_cmp_ne_u16_e32 vcc, 0, v3
	s_andn2_b64 s[0:1], s[0:1], exec
	s_and_b64 s[48:49], vcc, exec
	v_mov_b32_e32 v1, 0
	s_or_b64 s[0:1], s[0:1], s[48:49]
	s_or_b64 exec, exec, s[46:47]
	s_and_saveexec_b64 s[46:47], s[0:1]
	s_cbranch_execnz .LBB73_473
	s_branch .LBB73_474
.LBB73_491:
	s_mov_b64 s[0:1], -1
                                        ; implicit-def: $vgpr1
	s_branch .LBB73_496
.LBB73_492:
	s_mov_b64 s[0:1], -1
                                        ; implicit-def: $vgpr1
.LBB73_493:
	s_and_b64 vcc, exec, s[0:1]
	s_cbranch_vccz .LBB73_495
; %bb.494:
	global_load_ubyte v1, v[4:5], off
	s_mov_b32 s0, 0x7f800000
	s_waitcnt vmcnt(0)
	v_lshlrev_b32_e32 v1, 24, v1
	v_and_b32_e32 v3, 0x7f000000, v1
	v_ffbh_u32_e32 v10, v3
	v_min_u32_e32 v10, 32, v10
	v_sub_u32_e64 v10, v10, 4 clamp
	v_lshlrev_b32_e32 v12, v10, v3
	v_lshlrev_b32_e32 v10, 23, v10
	v_lshrrev_b32_e32 v12, 4, v12
	v_add_u32_e32 v11, 0x1000000, v3
	v_sub_u32_e32 v10, v12, v10
	v_ashrrev_i32_e32 v11, 8, v11
	v_add_u32_e32 v10, 0x3c000000, v10
	v_and_or_b32 v10, v11, s0, v10
	v_cmp_ne_u32_e32 vcc, 0, v3
	v_cndmask_b32_e32 v3, 0, v10, vcc
	s_brev_b32 s0, 1
	v_and_or_b32 v1, v1, s0, v3
.LBB73_495:
	s_mov_b64 s[0:1], 0
.LBB73_496:
	s_andn2_b64 vcc, exec, s[0:1]
	s_cbranch_vccnz .LBB73_498
; %bb.497:
	global_load_ubyte v1, v[4:5], off
	s_movk_i32 s0, 0x7f00
	s_brev_b32 s1, 16
	s_waitcnt vmcnt(0)
	v_lshlrev_b16_e32 v3, 8, v1
	v_lshlrev_b32_e32 v1, 25, v1
	v_lshrrev_b32_e32 v10, 4, v1
	v_and_or_b32 v11, v3, s0, 0.5
	v_or_b32_e32 v10, 0x70000000, v10
	v_add_f32_e32 v11, -0.5, v11
	v_mul_f32_e32 v10, 0x7800000, v10
	v_cmp_gt_u32_e32 vcc, s1, v1
	v_bfe_i32 v3, v3, 0, 16
	v_cndmask_b32_e32 v1, v10, v11, vcc
	s_brev_b32 s0, 1
	v_and_or_b32 v1, v3, s0, v1
.LBB73_498:
	s_mov_b64 s[46:47], 0
	s_mov_b64 s[0:1], -1
.LBB73_499:
	s_andn2_b64 vcc, exec, s[46:47]
	s_cbranch_vccnz .LBB73_512
; %bb.500:
	v_mov_b32_e32 v1, 14
	v_cmp_gt_i16_sdwa s[46:47], v8, v1 src0_sel:BYTE_0 src1_sel:DWORD
	s_and_b64 vcc, exec, s[46:47]
	s_cbranch_vccz .LBB73_503
; %bb.501:
	v_mov_b32_e32 v1, 15
	v_cmp_eq_u16_sdwa s[44:45], v8, v1 src0_sel:BYTE_0 src1_sel:DWORD
	s_and_b64 vcc, exec, s[44:45]
	s_cbranch_vccz .LBB73_506
; %bb.502:
	global_load_ushort v1, v[4:5], off
	s_mov_b64 s[0:1], -1
	s_mov_b64 s[44:45], 0
	s_waitcnt vmcnt(0)
	v_lshlrev_b32_e32 v1, 16, v1
	s_branch .LBB73_507
.LBB73_503:
	s_mov_b64 s[46:47], -1
                                        ; implicit-def: $vgpr1
	s_branch .LBB73_508
.LBB73_504:
	s_or_saveexec_b64 s[46:47], s[46:47]
	v_mov_b32_e32 v1, s52
	s_xor_b64 exec, exec, s[46:47]
	s_cbranch_execz .LBB73_485
.LBB73_505:
	v_cmp_ne_u16_e32 vcc, 0, v3
	s_andn2_b64 s[0:1], s[0:1], exec
	s_and_b64 s[48:49], vcc, exec
	v_mov_b32_e32 v1, 0
	s_or_b64 s[0:1], s[0:1], s[48:49]
	s_or_b64 exec, exec, s[46:47]
	s_and_saveexec_b64 s[46:47], s[0:1]
	s_cbranch_execnz .LBB73_486
	s_branch .LBB73_487
.LBB73_506:
	s_mov_b64 s[44:45], -1
                                        ; implicit-def: $vgpr1
.LBB73_507:
	s_mov_b64 s[46:47], 0
.LBB73_508:
	s_and_b64 vcc, exec, s[46:47]
	s_cbranch_vccz .LBB73_512
; %bb.509:
	v_mov_b32_e32 v1, 11
	v_cmp_eq_u16_sdwa s[44:45], v8, v1 src0_sel:BYTE_0 src1_sel:DWORD
	s_and_b64 vcc, exec, s[44:45]
	s_cbranch_vccz .LBB73_511
; %bb.510:
	global_load_ubyte v1, v[4:5], off
	s_mov_b64 s[0:1], -1
	s_mov_b64 s[44:45], 0
	s_waitcnt vmcnt(0)
	v_cmp_ne_u16_e32 vcc, 0, v1
	v_cndmask_b32_e64 v1, 0, 1.0, vcc
	s_branch .LBB73_512
.LBB73_511:
	s_mov_b64 s[44:45], -1
                                        ; implicit-def: $vgpr1
.LBB73_512:
	s_branch .LBB73_428
.LBB73_513:
	v_mov_b32_e32 v1, 5
	v_cmp_lt_i16_sdwa s[0:1], v8, v1 src0_sel:BYTE_0 src1_sel:DWORD
	s_and_b64 vcc, exec, s[0:1]
	s_cbranch_vccnz .LBB73_518
; %bb.514:
	v_mov_b32_e32 v1, 8
	v_cmp_lt_i16_sdwa s[0:1], v8, v1 src0_sel:BYTE_0 src1_sel:DWORD
	s_and_b64 vcc, exec, s[0:1]
	s_cbranch_vccnz .LBB73_519
; %bb.515:
	;; [unrolled: 5-line block ×3, first 2 shown]
	v_cmp_gt_i16_sdwa s[0:1], v8, v1 src0_sel:BYTE_0 src1_sel:DWORD
	s_and_b64 vcc, exec, s[0:1]
	s_cbranch_vccz .LBB73_521
; %bb.517:
	global_load_dwordx2 v[10:11], v[4:5], off
	s_mov_b64 s[0:1], 0
	s_waitcnt vmcnt(0)
	v_cvt_f32_f64_e32 v1, v[10:11]
	s_branch .LBB73_522
.LBB73_518:
	s_mov_b64 s[0:1], -1
                                        ; implicit-def: $vgpr1
	s_branch .LBB73_540
.LBB73_519:
	s_mov_b64 s[0:1], -1
                                        ; implicit-def: $vgpr1
	s_branch .LBB73_528
.LBB73_520:
	s_mov_b64 s[0:1], -1
                                        ; implicit-def: $vgpr1
	s_branch .LBB73_525
.LBB73_521:
	s_mov_b64 s[0:1], -1
                                        ; implicit-def: $vgpr1
.LBB73_522:
	s_andn2_b64 vcc, exec, s[0:1]
	s_cbranch_vccnz .LBB73_524
; %bb.523:
	global_load_dword v1, v[4:5], off
.LBB73_524:
	s_mov_b64 s[0:1], 0
.LBB73_525:
	s_andn2_b64 vcc, exec, s[0:1]
	s_cbranch_vccnz .LBB73_527
; %bb.526:
	global_load_dword v1, v[4:5], off
	s_waitcnt vmcnt(0)
	v_cvt_f32_f16_e32 v1, v1
.LBB73_527:
	s_mov_b64 s[0:1], 0
.LBB73_528:
	s_andn2_b64 vcc, exec, s[0:1]
	s_cbranch_vccnz .LBB73_539
; %bb.529:
	s_waitcnt vmcnt(0)
	v_mov_b32_e32 v1, 6
	v_cmp_lt_i16_sdwa s[0:1], v8, v1 src0_sel:BYTE_0 src1_sel:DWORD
	s_and_b64 vcc, exec, s[0:1]
	s_cbranch_vccnz .LBB73_532
; %bb.530:
	v_cmp_gt_i16_sdwa s[0:1], v8, v1 src0_sel:BYTE_0 src1_sel:DWORD
	s_and_b64 vcc, exec, s[0:1]
	s_cbranch_vccz .LBB73_533
; %bb.531:
	global_load_dwordx2 v[10:11], v[4:5], off
	s_mov_b64 s[0:1], 0
	s_waitcnt vmcnt(0)
	v_cvt_f32_f64_e32 v1, v[10:11]
	s_branch .LBB73_534
.LBB73_532:
	s_mov_b64 s[0:1], -1
                                        ; implicit-def: $vgpr1
	s_branch .LBB73_537
.LBB73_533:
	s_mov_b64 s[0:1], -1
                                        ; implicit-def: $vgpr1
.LBB73_534:
	s_andn2_b64 vcc, exec, s[0:1]
	s_cbranch_vccnz .LBB73_536
; %bb.535:
	global_load_dword v1, v[4:5], off
.LBB73_536:
	s_mov_b64 s[0:1], 0
.LBB73_537:
	s_andn2_b64 vcc, exec, s[0:1]
	s_cbranch_vccnz .LBB73_539
; %bb.538:
	global_load_ushort v1, v[4:5], off
	s_waitcnt vmcnt(0)
	v_cvt_f32_f16_e32 v1, v1
.LBB73_539:
	s_mov_b64 s[0:1], 0
.LBB73_540:
	s_andn2_b64 vcc, exec, s[0:1]
	s_cbranch_vccnz .LBB73_560
; %bb.541:
	s_waitcnt vmcnt(0)
	v_mov_b32_e32 v1, 2
	v_cmp_lt_i16_sdwa s[0:1], v8, v1 src0_sel:BYTE_0 src1_sel:DWORD
	s_and_b64 vcc, exec, s[0:1]
	s_cbranch_vccnz .LBB73_545
; %bb.542:
	v_mov_b32_e32 v1, 3
	v_cmp_lt_i16_sdwa s[0:1], v8, v1 src0_sel:BYTE_0 src1_sel:DWORD
	s_and_b64 vcc, exec, s[0:1]
	s_cbranch_vccnz .LBB73_546
; %bb.543:
	v_cmp_gt_i16_sdwa s[0:1], v8, v1 src0_sel:BYTE_0 src1_sel:DWORD
	s_and_b64 vcc, exec, s[0:1]
	s_cbranch_vccz .LBB73_547
; %bb.544:
	global_load_dwordx2 v[10:11], v[4:5], off
	s_mov_b64 s[0:1], 0
	s_waitcnt vmcnt(0)
	v_xor_b32_e32 v3, v10, v11
	v_ffbh_i32_e32 v1, v11
	v_ashrrev_i32_e32 v3, 31, v3
	v_add_u32_e32 v1, -1, v1
	v_add_u32_e32 v3, 32, v3
	v_min_u32_e32 v1, v1, v3
	v_lshlrev_b64 v[10:11], v1, v[10:11]
	v_min_u32_e32 v3, 1, v10
	v_or_b32_e32 v3, v11, v3
	v_cvt_f32_i32_e32 v3, v3
	v_sub_u32_e32 v1, 32, v1
	v_ldexp_f32 v1, v3, v1
	s_branch .LBB73_548
.LBB73_545:
	s_mov_b64 s[0:1], -1
                                        ; implicit-def: $vgpr1
	s_branch .LBB73_554
.LBB73_546:
	s_mov_b64 s[0:1], -1
                                        ; implicit-def: $vgpr1
	s_branch .LBB73_551
.LBB73_547:
	s_mov_b64 s[0:1], -1
                                        ; implicit-def: $vgpr1
.LBB73_548:
	s_andn2_b64 vcc, exec, s[0:1]
	s_cbranch_vccnz .LBB73_550
; %bb.549:
	global_load_dword v1, v[4:5], off
	s_waitcnt vmcnt(0)
	v_cvt_f32_i32_e32 v1, v1
.LBB73_550:
	s_mov_b64 s[0:1], 0
.LBB73_551:
	s_andn2_b64 vcc, exec, s[0:1]
	s_cbranch_vccnz .LBB73_553
; %bb.552:
	global_load_sshort v1, v[4:5], off
	s_waitcnt vmcnt(0)
	v_cvt_f32_i32_e32 v1, v1
.LBB73_553:
	s_mov_b64 s[0:1], 0
.LBB73_554:
	s_andn2_b64 vcc, exec, s[0:1]
	s_cbranch_vccnz .LBB73_560
; %bb.555:
	v_mov_b32_e32 v1, 0
	v_cmp_gt_i16_sdwa s[0:1], v8, v1 src0_sel:BYTE_0 src1_sel:DWORD
	s_and_b64 vcc, exec, s[0:1]
	s_cbranch_vccz .LBB73_557
; %bb.556:
	global_load_sbyte v1, v[4:5], off
	s_mov_b64 s[0:1], 0
	s_waitcnt vmcnt(0)
	v_cvt_f32_i32_e32 v1, v1
	s_branch .LBB73_558
.LBB73_557:
	s_mov_b64 s[0:1], -1
                                        ; implicit-def: $vgpr1
.LBB73_558:
	s_andn2_b64 vcc, exec, s[0:1]
	s_cbranch_vccnz .LBB73_560
; %bb.559:
	global_load_ubyte v1, v[4:5], off
	s_waitcnt vmcnt(0)
	v_cvt_f32_ubyte0_e32 v1, v1
.LBB73_560:
	s_branch .LBB73_429
.LBB73_561:
	s_mov_b64 s[52:53], 0
	s_mov_b64 s[0:1], s[36:37]
	;; [unrolled: 1-line block ×3, first 2 shown]
.LBB73_562:
                                        ; implicit-def: $vgpr9
	s_branch .LBB73_816
.LBB73_563:
	s_or_saveexec_b64 s[48:49], s[48:49]
                                        ; implicit-def: $sgpr50
	s_xor_b64 exec, exec, s[48:49]
	s_cbranch_execz .LBB73_215
.LBB73_564:
	s_mov_b32 s50, 0x42800000
	v_add_f32_e64 v3, |v2|, s50
	v_and_b32_e32 v3, 0xff, v3
	v_cmp_ne_u32_e32 vcc, 0, v3
	s_andn2_b64 s[44:45], s[44:45], exec
	s_and_b64 s[52:53], vcc, exec
	s_mov_b32 s50, 0
	s_or_b64 s[44:45], s[44:45], s[52:53]
	s_or_b64 exec, exec, s[48:49]
	v_mov_b32_e32 v4, s50
	s_and_saveexec_b64 s[48:49], s[44:45]
	s_cbranch_execnz .LBB73_216
	s_branch .LBB73_217
.LBB73_565:
	s_mov_b64 s[46:47], -1
                                        ; implicit-def: $vgpr4
	s_mov_b64 s[0:1], 0
.LBB73_566:
	s_and_b64 vcc, exec, s[48:49]
	s_cbranch_vccz .LBB73_570
; %bb.567:
	v_mov_b32_e32 v4, 44
	v_cmp_eq_u16_sdwa s[46:47], v7, v4 src0_sel:BYTE_0 src1_sel:DWORD
	s_and_b64 vcc, exec, s[46:47]
	s_cbranch_vccz .LBB73_569
; %bb.568:
	global_load_ubyte v4, v[2:3], off
	s_movk_i32 s46, 0xff
	v_mov_b32_e32 v5, 0x7f800001
	v_mov_b32_e32 v10, 0x400000
	s_mov_b64 s[0:1], -1
	s_waitcnt vmcnt(0)
	v_lshlrev_b32_e32 v11, 23, v4
	v_cmp_ne_u32_e32 vcc, s46, v4
	v_cndmask_b32_e32 v5, v5, v11, vcc
	v_cmp_ne_u32_e32 vcc, 0, v4
	v_cndmask_b32_e32 v4, v10, v5, vcc
	s_mov_b64 s[46:47], 0
	s_branch .LBB73_570
.LBB73_569:
	s_mov_b64 s[46:47], -1
                                        ; implicit-def: $vgpr4
.LBB73_570:
	s_mov_b64 s[48:49], 0
.LBB73_571:
	s_and_b64 vcc, exec, s[48:49]
	s_cbranch_vccz .LBB73_575
; %bb.572:
	v_mov_b32_e32 v4, 29
	v_cmp_eq_u16_sdwa s[46:47], v7, v4 src0_sel:BYTE_0 src1_sel:DWORD
	s_and_b64 vcc, exec, s[46:47]
	s_cbranch_vccz .LBB73_574
; %bb.573:
	global_load_dwordx2 v[4:5], v[2:3], off
	s_mov_b64 s[0:1], -1
	s_mov_b64 s[46:47], 0
	s_mov_b64 s[48:49], 0
	s_waitcnt vmcnt(0)
	v_ffbh_u32_e32 v10, v5
	v_min_u32_e32 v10, 32, v10
	v_lshlrev_b64 v[4:5], v10, v[4:5]
	v_min_u32_e32 v4, 1, v4
	v_or_b32_e32 v4, v5, v4
	v_cvt_f32_u32_e32 v4, v4
	v_sub_u32_e32 v5, 32, v10
	v_ldexp_f32 v4, v4, v5
	s_branch .LBB73_576
.LBB73_574:
	s_mov_b64 s[46:47], -1
                                        ; implicit-def: $vgpr4
.LBB73_575:
	s_mov_b64 s[48:49], 0
.LBB73_576:
	s_and_b64 vcc, exec, s[48:49]
	s_cbranch_vccz .LBB73_594
; %bb.577:
	v_mov_b32_e32 v4, 27
	v_cmp_lt_i16_sdwa s[0:1], v7, v4 src0_sel:BYTE_0 src1_sel:DWORD
	s_and_b64 vcc, exec, s[0:1]
	s_cbranch_vccnz .LBB73_580
; %bb.578:
	v_cmp_gt_i16_sdwa s[0:1], v7, v4 src0_sel:BYTE_0 src1_sel:DWORD
	s_and_b64 vcc, exec, s[0:1]
	s_cbranch_vccz .LBB73_581
; %bb.579:
	global_load_dword v4, v[2:3], off
	s_mov_b64 s[0:1], 0
	s_waitcnt vmcnt(0)
	v_cvt_f32_u32_e32 v4, v4
	s_branch .LBB73_582
.LBB73_580:
	s_mov_b64 s[0:1], -1
                                        ; implicit-def: $vgpr4
	s_branch .LBB73_585
.LBB73_581:
	s_mov_b64 s[0:1], -1
                                        ; implicit-def: $vgpr4
.LBB73_582:
	s_andn2_b64 vcc, exec, s[0:1]
	s_cbranch_vccnz .LBB73_584
; %bb.583:
	global_load_ushort v4, v[2:3], off
	s_waitcnt vmcnt(0)
	v_cvt_f32_u32_e32 v4, v4
.LBB73_584:
	s_mov_b64 s[0:1], 0
.LBB73_585:
	s_andn2_b64 vcc, exec, s[0:1]
	s_cbranch_vccnz .LBB73_593
; %bb.586:
	global_load_ubyte v5, v[2:3], off
	s_movk_i32 s0, 0x7f
                                        ; implicit-def: $sgpr54
	s_waitcnt vmcnt(0)
	v_cmp_lt_i16_e32 vcc, s0, v5
	s_mov_b64 s[0:1], 0
	s_and_saveexec_b64 s[48:49], vcc
	s_xor_b64 s[48:49], exec, s[48:49]
	s_cbranch_execz .LBB73_607
; %bb.587:
	s_movk_i32 s0, 0x80
	v_cmp_eq_u16_e32 vcc, s0, v5
	s_mov_b64 s[0:1], -1
                                        ; implicit-def: $sgpr54
	s_and_saveexec_b64 s[52:53], vcc
; %bb.588:
	s_mov_b32 s54, 0x7f800001
	s_xor_b64 s[0:1], exec, -1
; %bb.589:
	s_or_b64 exec, exec, s[52:53]
	s_and_b64 s[0:1], s[0:1], exec
	s_or_saveexec_b64 s[48:49], s[48:49]
	v_mov_b32_e32 v4, s54
	s_xor_b64 exec, exec, s[48:49]
	s_cbranch_execnz .LBB73_608
.LBB73_590:
	s_or_b64 exec, exec, s[48:49]
	s_and_saveexec_b64 s[48:49], s[0:1]
	s_cbranch_execz .LBB73_592
.LBB73_591:
	v_lshlrev_b32_e32 v4, 24, v5
	v_and_b32_e32 v5, 0xffff, v5
	v_and_b32_e32 v10, 7, v5
	v_ffbh_u32_e32 v12, v10
	v_min_u32_e32 v12, 32, v12
	v_subrev_u32_e32 v13, 28, v12
	v_bfe_u32 v11, v5, 3, 4
	v_lshlrev_b32_e32 v5, v13, v5
	v_sub_u32_e32 v12, 29, v12
	v_and_b32_e32 v5, 7, v5
	v_cmp_eq_u32_e32 vcc, 0, v11
	v_cndmask_b32_e32 v11, v11, v12, vcc
	v_cndmask_b32_e32 v5, v10, v5, vcc
	v_mov_b32_e32 v10, 0x3b800000
	v_lshlrev_b32_e32 v5, 20, v5
	v_and_b32_e32 v4, 0x80000000, v4
	v_lshl_add_u32 v10, v11, 23, v10
	v_or3_b32 v4, v4, v10, v5
.LBB73_592:
	s_or_b64 exec, exec, s[48:49]
.LBB73_593:
	s_mov_b64 s[0:1], -1
.LBB73_594:
	s_mov_b64 s[48:49], 0
.LBB73_595:
	s_and_b64 vcc, exec, s[48:49]
	s_cbranch_vccz .LBB73_630
; %bb.596:
	v_mov_b32_e32 v4, 22
	v_cmp_gt_i16_sdwa s[48:49], v7, v4 src0_sel:BYTE_0 src1_sel:DWORD
	s_and_b64 vcc, exec, s[48:49]
	s_cbranch_vccz .LBB73_606
; %bb.597:
	v_mov_b32_e32 v4, 24
	v_cmp_lt_i16_sdwa s[0:1], v7, v4 src0_sel:BYTE_0 src1_sel:DWORD
	s_and_b64 vcc, exec, s[0:1]
	s_cbranch_vccnz .LBB73_609
; %bb.598:
	v_cmp_gt_i16_sdwa s[0:1], v7, v4 src0_sel:BYTE_0 src1_sel:DWORD
	s_and_b64 vcc, exec, s[0:1]
	s_cbranch_vccz .LBB73_610
; %bb.599:
	global_load_ubyte v5, v[2:3], off
	s_movk_i32 s0, 0x7f
                                        ; implicit-def: $sgpr54
	s_waitcnt vmcnt(0)
	v_cmp_lt_i16_e32 vcc, s0, v5
	s_mov_b64 s[0:1], 0
	s_and_saveexec_b64 s[48:49], vcc
	s_xor_b64 s[48:49], exec, s[48:49]
	s_cbranch_execz .LBB73_622
; %bb.600:
	s_movk_i32 s0, 0x80
	v_cmp_eq_u16_e32 vcc, s0, v5
	s_mov_b64 s[0:1], -1
                                        ; implicit-def: $sgpr54
	s_and_saveexec_b64 s[52:53], vcc
; %bb.601:
	s_mov_b32 s54, 0x7f800001
	s_xor_b64 s[0:1], exec, -1
; %bb.602:
	s_or_b64 exec, exec, s[52:53]
	s_and_b64 s[0:1], s[0:1], exec
	s_or_saveexec_b64 s[48:49], s[48:49]
	v_mov_b32_e32 v4, s54
	s_xor_b64 exec, exec, s[48:49]
	s_cbranch_execnz .LBB73_623
.LBB73_603:
	s_or_b64 exec, exec, s[48:49]
	s_and_saveexec_b64 s[48:49], s[0:1]
	s_cbranch_execz .LBB73_605
.LBB73_604:
	v_lshlrev_b32_e32 v4, 24, v5
	v_and_b32_e32 v5, 0xffff, v5
	v_and_b32_e32 v10, 3, v5
	v_ffbh_u32_e32 v12, v10
	v_min_u32_e32 v12, 32, v12
	v_subrev_u32_e32 v13, 29, v12
	v_bfe_u32 v11, v5, 2, 5
	v_lshlrev_b32_e32 v5, v13, v5
	v_sub_u32_e32 v12, 30, v12
	v_and_b32_e32 v5, 3, v5
	v_cmp_eq_u32_e32 vcc, 0, v11
	v_cndmask_b32_e32 v11, v11, v12, vcc
	v_cndmask_b32_e32 v5, v10, v5, vcc
	v_mov_b32_e32 v10, 0x37800000
	v_lshlrev_b32_e32 v5, 21, v5
	v_and_b32_e32 v4, 0x80000000, v4
	v_lshl_add_u32 v10, v11, 23, v10
	v_or3_b32 v4, v4, v10, v5
.LBB73_605:
	s_or_b64 exec, exec, s[48:49]
	s_mov_b64 s[0:1], 0
	s_branch .LBB73_611
.LBB73_606:
	s_mov_b64 s[48:49], -1
                                        ; implicit-def: $vgpr4
	s_branch .LBB73_617
.LBB73_607:
	s_or_saveexec_b64 s[48:49], s[48:49]
	v_mov_b32_e32 v4, s54
	s_xor_b64 exec, exec, s[48:49]
	s_cbranch_execz .LBB73_590
.LBB73_608:
	v_cmp_ne_u16_e32 vcc, 0, v5
	s_andn2_b64 s[0:1], s[0:1], exec
	s_and_b64 s[52:53], vcc, exec
	v_mov_b32_e32 v4, 0
	s_or_b64 s[0:1], s[0:1], s[52:53]
	s_or_b64 exec, exec, s[48:49]
	s_and_saveexec_b64 s[48:49], s[0:1]
	s_cbranch_execnz .LBB73_591
	s_branch .LBB73_592
.LBB73_609:
	s_mov_b64 s[0:1], -1
                                        ; implicit-def: $vgpr4
	s_branch .LBB73_614
.LBB73_610:
	s_mov_b64 s[0:1], -1
                                        ; implicit-def: $vgpr4
.LBB73_611:
	s_and_b64 vcc, exec, s[0:1]
	s_cbranch_vccz .LBB73_613
; %bb.612:
	global_load_ubyte v4, v[2:3], off
	s_mov_b32 s0, 0x7f800000
	s_waitcnt vmcnt(0)
	v_lshlrev_b32_e32 v4, 24, v4
	v_and_b32_e32 v5, 0x7f000000, v4
	v_ffbh_u32_e32 v10, v5
	v_min_u32_e32 v10, 32, v10
	v_sub_u32_e64 v10, v10, 4 clamp
	v_lshlrev_b32_e32 v12, v10, v5
	v_lshlrev_b32_e32 v10, 23, v10
	v_lshrrev_b32_e32 v12, 4, v12
	v_add_u32_e32 v11, 0x1000000, v5
	v_sub_u32_e32 v10, v12, v10
	v_ashrrev_i32_e32 v11, 8, v11
	v_add_u32_e32 v10, 0x3c000000, v10
	v_and_or_b32 v10, v11, s0, v10
	v_cmp_ne_u32_e32 vcc, 0, v5
	v_cndmask_b32_e32 v5, 0, v10, vcc
	s_brev_b32 s0, 1
	v_and_or_b32 v4, v4, s0, v5
.LBB73_613:
	s_mov_b64 s[0:1], 0
.LBB73_614:
	s_andn2_b64 vcc, exec, s[0:1]
	s_cbranch_vccnz .LBB73_616
; %bb.615:
	global_load_ubyte v4, v[2:3], off
	s_movk_i32 s0, 0x7f00
	s_brev_b32 s1, 16
	s_waitcnt vmcnt(0)
	v_lshlrev_b16_e32 v5, 8, v4
	v_lshlrev_b32_e32 v4, 25, v4
	v_lshrrev_b32_e32 v10, 4, v4
	v_and_or_b32 v11, v5, s0, 0.5
	v_or_b32_e32 v10, 0x70000000, v10
	v_add_f32_e32 v11, -0.5, v11
	v_mul_f32_e32 v10, 0x7800000, v10
	v_cmp_gt_u32_e32 vcc, s1, v4
	v_bfe_i32 v5, v5, 0, 16
	v_cndmask_b32_e32 v4, v10, v11, vcc
	s_brev_b32 s0, 1
	v_and_or_b32 v4, v5, s0, v4
.LBB73_616:
	s_mov_b64 s[48:49], 0
	s_mov_b64 s[0:1], -1
.LBB73_617:
	s_andn2_b64 vcc, exec, s[48:49]
	s_cbranch_vccnz .LBB73_630
; %bb.618:
	v_mov_b32_e32 v4, 14
	v_cmp_gt_i16_sdwa s[48:49], v7, v4 src0_sel:BYTE_0 src1_sel:DWORD
	s_and_b64 vcc, exec, s[48:49]
	s_cbranch_vccz .LBB73_621
; %bb.619:
	v_mov_b32_e32 v4, 15
	v_cmp_eq_u16_sdwa s[46:47], v7, v4 src0_sel:BYTE_0 src1_sel:DWORD
	s_and_b64 vcc, exec, s[46:47]
	s_cbranch_vccz .LBB73_624
; %bb.620:
	global_load_ushort v4, v[2:3], off
	s_mov_b64 s[0:1], -1
	s_mov_b64 s[46:47], 0
	s_waitcnt vmcnt(0)
	v_lshlrev_b32_e32 v4, 16, v4
	s_branch .LBB73_625
.LBB73_621:
	s_mov_b64 s[48:49], -1
                                        ; implicit-def: $vgpr4
	s_branch .LBB73_626
.LBB73_622:
	s_or_saveexec_b64 s[48:49], s[48:49]
	v_mov_b32_e32 v4, s54
	s_xor_b64 exec, exec, s[48:49]
	s_cbranch_execz .LBB73_603
.LBB73_623:
	v_cmp_ne_u16_e32 vcc, 0, v5
	s_andn2_b64 s[0:1], s[0:1], exec
	s_and_b64 s[52:53], vcc, exec
	v_mov_b32_e32 v4, 0
	s_or_b64 s[0:1], s[0:1], s[52:53]
	s_or_b64 exec, exec, s[48:49]
	s_and_saveexec_b64 s[48:49], s[0:1]
	s_cbranch_execnz .LBB73_604
	s_branch .LBB73_605
.LBB73_624:
	s_mov_b64 s[46:47], -1
                                        ; implicit-def: $vgpr4
.LBB73_625:
	s_mov_b64 s[48:49], 0
.LBB73_626:
	s_and_b64 vcc, exec, s[48:49]
	s_cbranch_vccz .LBB73_630
; %bb.627:
	v_mov_b32_e32 v4, 11
	v_cmp_eq_u16_sdwa s[46:47], v7, v4 src0_sel:BYTE_0 src1_sel:DWORD
	s_and_b64 vcc, exec, s[46:47]
	s_cbranch_vccz .LBB73_629
; %bb.628:
	global_load_ubyte v4, v[2:3], off
	s_mov_b64 s[0:1], -1
	s_mov_b64 s[46:47], 0
	s_waitcnt vmcnt(0)
	v_cmp_ne_u16_e32 vcc, 0, v4
	v_cndmask_b32_e64 v4, 0, 1.0, vcc
	s_branch .LBB73_630
.LBB73_629:
	s_mov_b64 s[46:47], -1
                                        ; implicit-def: $vgpr4
.LBB73_630:
	s_mov_b64 s[48:49], 0
.LBB73_631:
	s_and_b64 vcc, exec, s[48:49]
	s_cbranch_vccz .LBB73_680
; %bb.632:
	v_mov_b32_e32 v4, 5
	v_cmp_lt_i16_sdwa s[0:1], v7, v4 src0_sel:BYTE_0 src1_sel:DWORD
	s_and_b64 vcc, exec, s[0:1]
	s_cbranch_vccnz .LBB73_637
; %bb.633:
	v_mov_b32_e32 v4, 8
	v_cmp_lt_i16_sdwa s[0:1], v7, v4 src0_sel:BYTE_0 src1_sel:DWORD
	s_and_b64 vcc, exec, s[0:1]
	s_cbranch_vccnz .LBB73_638
	;; [unrolled: 5-line block ×3, first 2 shown]
; %bb.635:
	v_cmp_gt_i16_sdwa s[0:1], v7, v4 src0_sel:BYTE_0 src1_sel:DWORD
	s_and_b64 vcc, exec, s[0:1]
	s_cbranch_vccz .LBB73_640
; %bb.636:
	global_load_dwordx2 v[4:5], v[2:3], off
	s_mov_b64 s[0:1], 0
	s_waitcnt vmcnt(0)
	v_cvt_f32_f64_e32 v4, v[4:5]
	s_branch .LBB73_641
.LBB73_637:
	s_mov_b64 s[0:1], -1
                                        ; implicit-def: $vgpr4
	s_branch .LBB73_659
.LBB73_638:
	s_mov_b64 s[0:1], -1
                                        ; implicit-def: $vgpr4
	s_branch .LBB73_647
.LBB73_639:
	s_mov_b64 s[0:1], -1
                                        ; implicit-def: $vgpr4
	s_branch .LBB73_644
.LBB73_640:
	s_mov_b64 s[0:1], -1
                                        ; implicit-def: $vgpr4
.LBB73_641:
	s_andn2_b64 vcc, exec, s[0:1]
	s_cbranch_vccnz .LBB73_643
; %bb.642:
	global_load_dword v4, v[2:3], off
.LBB73_643:
	s_mov_b64 s[0:1], 0
.LBB73_644:
	s_andn2_b64 vcc, exec, s[0:1]
	s_cbranch_vccnz .LBB73_646
; %bb.645:
	global_load_dword v4, v[2:3], off
	s_waitcnt vmcnt(0)
	v_cvt_f32_f16_e32 v4, v4
.LBB73_646:
	s_mov_b64 s[0:1], 0
.LBB73_647:
	s_andn2_b64 vcc, exec, s[0:1]
	s_cbranch_vccnz .LBB73_658
; %bb.648:
	s_waitcnt vmcnt(0)
	v_mov_b32_e32 v4, 6
	v_cmp_lt_i16_sdwa s[0:1], v7, v4 src0_sel:BYTE_0 src1_sel:DWORD
	s_and_b64 vcc, exec, s[0:1]
	s_cbranch_vccnz .LBB73_651
; %bb.649:
	v_cmp_gt_i16_sdwa s[0:1], v7, v4 src0_sel:BYTE_0 src1_sel:DWORD
	s_and_b64 vcc, exec, s[0:1]
	s_cbranch_vccz .LBB73_652
; %bb.650:
	global_load_dwordx2 v[4:5], v[2:3], off
	s_mov_b64 s[0:1], 0
	s_waitcnt vmcnt(0)
	v_cvt_f32_f64_e32 v4, v[4:5]
	s_branch .LBB73_653
.LBB73_651:
	s_mov_b64 s[0:1], -1
                                        ; implicit-def: $vgpr4
	s_branch .LBB73_656
.LBB73_652:
	s_mov_b64 s[0:1], -1
                                        ; implicit-def: $vgpr4
.LBB73_653:
	s_andn2_b64 vcc, exec, s[0:1]
	s_cbranch_vccnz .LBB73_655
; %bb.654:
	global_load_dword v4, v[2:3], off
.LBB73_655:
	s_mov_b64 s[0:1], 0
.LBB73_656:
	s_andn2_b64 vcc, exec, s[0:1]
	s_cbranch_vccnz .LBB73_658
; %bb.657:
	global_load_ushort v4, v[2:3], off
	s_waitcnt vmcnt(0)
	v_cvt_f32_f16_e32 v4, v4
.LBB73_658:
	s_mov_b64 s[0:1], 0
.LBB73_659:
	s_andn2_b64 vcc, exec, s[0:1]
	s_cbranch_vccnz .LBB73_679
; %bb.660:
	s_waitcnt vmcnt(0)
	v_mov_b32_e32 v4, 2
	v_cmp_lt_i16_sdwa s[0:1], v7, v4 src0_sel:BYTE_0 src1_sel:DWORD
	s_and_b64 vcc, exec, s[0:1]
	s_cbranch_vccnz .LBB73_664
; %bb.661:
	v_mov_b32_e32 v4, 3
	v_cmp_lt_i16_sdwa s[0:1], v7, v4 src0_sel:BYTE_0 src1_sel:DWORD
	s_and_b64 vcc, exec, s[0:1]
	s_cbranch_vccnz .LBB73_665
; %bb.662:
	v_cmp_gt_i16_sdwa s[0:1], v7, v4 src0_sel:BYTE_0 src1_sel:DWORD
	s_and_b64 vcc, exec, s[0:1]
	s_cbranch_vccz .LBB73_666
; %bb.663:
	global_load_dwordx2 v[4:5], v[2:3], off
	s_mov_b64 s[0:1], 0
	s_waitcnt vmcnt(0)
	v_xor_b32_e32 v11, v4, v5
	v_ffbh_i32_e32 v10, v5
	v_ashrrev_i32_e32 v11, 31, v11
	v_add_u32_e32 v10, -1, v10
	v_add_u32_e32 v11, 32, v11
	v_min_u32_e32 v10, v10, v11
	v_lshlrev_b64 v[4:5], v10, v[4:5]
	v_min_u32_e32 v4, 1, v4
	v_or_b32_e32 v4, v5, v4
	v_cvt_f32_i32_e32 v4, v4
	v_sub_u32_e32 v5, 32, v10
	v_ldexp_f32 v4, v4, v5
	s_branch .LBB73_667
.LBB73_664:
	s_mov_b64 s[0:1], -1
                                        ; implicit-def: $vgpr4
	s_branch .LBB73_673
.LBB73_665:
	s_mov_b64 s[0:1], -1
                                        ; implicit-def: $vgpr4
	s_branch .LBB73_670
.LBB73_666:
	s_mov_b64 s[0:1], -1
                                        ; implicit-def: $vgpr4
.LBB73_667:
	s_andn2_b64 vcc, exec, s[0:1]
	s_cbranch_vccnz .LBB73_669
; %bb.668:
	global_load_dword v4, v[2:3], off
	s_waitcnt vmcnt(0)
	v_cvt_f32_i32_e32 v4, v4
.LBB73_669:
	s_mov_b64 s[0:1], 0
.LBB73_670:
	s_andn2_b64 vcc, exec, s[0:1]
	s_cbranch_vccnz .LBB73_672
; %bb.671:
	global_load_sshort v4, v[2:3], off
	s_waitcnt vmcnt(0)
	v_cvt_f32_i32_e32 v4, v4
.LBB73_672:
	s_mov_b64 s[0:1], 0
.LBB73_673:
	s_andn2_b64 vcc, exec, s[0:1]
	s_cbranch_vccnz .LBB73_679
; %bb.674:
	v_mov_b32_e32 v4, 0
	v_cmp_gt_i16_sdwa s[0:1], v7, v4 src0_sel:BYTE_0 src1_sel:DWORD
	s_and_b64 vcc, exec, s[0:1]
	s_cbranch_vccz .LBB73_676
; %bb.675:
	global_load_sbyte v4, v[2:3], off
	s_mov_b64 s[0:1], 0
	s_waitcnt vmcnt(0)
	v_cvt_f32_i32_e32 v4, v4
	s_branch .LBB73_677
.LBB73_676:
	s_mov_b64 s[0:1], -1
                                        ; implicit-def: $vgpr4
.LBB73_677:
	s_andn2_b64 vcc, exec, s[0:1]
	s_cbranch_vccnz .LBB73_679
; %bb.678:
	global_load_ubyte v2, v[2:3], off
	s_waitcnt vmcnt(0)
	v_cvt_f32_ubyte0_e32 v4, v2
.LBB73_679:
	s_mov_b64 s[0:1], -1
.LBB73_680:
	s_andn2_b64 vcc, exec, s[0:1]
	s_cbranch_vccnz .LBB73_700
; %bb.681:
	s_waitcnt vmcnt(0)
	v_trunc_f32_e32 v2, v4
	s_mov_b32 s0, 0x2f800000
	v_mul_f32_e64 v3, |v2|, s0
	v_floor_f32_e32 v3, v3
	s_mov_b32 s0, 0xcf800000
	v_cvt_u32_f32_e32 v4, v3
	v_fma_f32 v3, v3, s0, |v2|
	v_cvt_u32_f32_e32 v3, v3
	v_ashrrev_i32_e32 v2, 31, v2
	v_xor_b32_e32 v5, v4, v2
	v_xor_b32_e32 v3, v3, v2
	v_sub_co_u32_e32 v4, vcc, v3, v2
	v_subb_co_u32_e32 v5, vcc, v5, v2, vcc
	v_cmp_lt_i64_e32 vcc, -1, v[4:5]
	v_mov_b32_e32 v2, 0
	s_and_saveexec_b64 s[0:1], vcc
	s_cbranch_execz .LBB73_693
; %bb.682:
	v_cmp_lt_i64_e32 vcc, 0, v[4:5]
	v_mov_b32_e32 v2, 1.0
	s_and_saveexec_b64 s[48:49], vcc
	s_cbranch_execz .LBB73_692
; %bb.683:
	v_cmp_ne_u64_e32 vcc, 1, v[4:5]
                                        ; implicit-def: $vgpr2
	s_and_saveexec_b64 s[52:53], vcc
	s_xor_b64 s[52:53], exec, s[52:53]
	s_cbranch_execz .LBB73_689
; %bb.684:
	s_mov_b64 s[54:55], 0x81
	v_cmp_gt_u64_e32 vcc, s[54:55], v[4:5]
	v_mov_b32_e32 v2, 0x7fc00000
	s_and_saveexec_b64 s[54:55], vcc
	s_cbranch_execz .LBB73_688
; %bb.685:
	s_mov_b64 s[58:59], 1
	s_mov_b64 s[56:57], 0
	v_mov_b32_e32 v3, 1.0
	v_mov_b32_e32 v2, v1
.LBB73_686:                             ; =>This Inner Loop Header: Depth=1
	s_flbit_i32_b32 s60, s59
	s_min_u32 s62, s60, 32
	s_lshl_b64 s[60:61], s[58:59], s62
	s_min_u32 s60, s60, 1
	s_or_b32 s60, s61, s60
	v_cvt_f32_u32_e32 v10, s60
	s_sub_i32 s62, 32, s62
	s_add_u32 s58, s58, 1
	s_addc_u32 s59, s59, 0
	v_ldexp_f32 v10, v10, s62
	v_cmp_eq_u64_e32 vcc, s[58:59], v[4:5]
	v_mul_f32_e32 v10, v3, v10
	s_or_b64 s[56:57], vcc, s[56:57]
	v_mov_b32_e32 v3, v2
	v_fma_f32 v2, v1, v2, -v10
	s_andn2_b64 exec, exec, s[56:57]
	s_cbranch_execnz .LBB73_686
; %bb.687:
	s_or_b64 exec, exec, s[56:57]
.LBB73_688:
	s_or_b64 exec, exec, s[54:55]
                                        ; implicit-def: $vgpr1
.LBB73_689:
	s_andn2_saveexec_b64 s[52:53], s[52:53]
; %bb.690:
	v_mov_b32_e32 v2, v1
; %bb.691:
	s_or_b64 exec, exec, s[52:53]
.LBB73_692:
	s_or_b64 exec, exec, s[48:49]
.LBB73_693:
	s_or_b64 exec, exec, s[0:1]
	v_mov_b32_e32 v1, s9
	v_add_co_u32_e32 v0, vcc, s8, v0
	v_mov_b32_e32 v3, 11
	v_addc_co_u32_e32 v1, vcc, 0, v1, vcc
	v_cmp_lt_i16_sdwa s[0:1], v6, v3 src0_sel:BYTE_0 src1_sel:DWORD
	s_and_b64 vcc, exec, s[0:1]
	s_cbranch_vccnz .LBB73_701
; %bb.694:
	v_mov_b32_e32 v3, 25
	v_cmp_gt_i16_sdwa s[0:1], v6, v3 src0_sel:BYTE_0 src1_sel:DWORD
	s_and_b64 vcc, exec, s[0:1]
	s_cbranch_vccz .LBB73_702
; %bb.695:
	v_mov_b32_e32 v3, 28
	v_cmp_gt_i16_sdwa s[0:1], v6, v3 src0_sel:BYTE_0 src1_sel:DWORD
	s_and_b64 vcc, exec, s[0:1]
	s_cbranch_vccz .LBB73_703
; %bb.696:
	v_mov_b32_e32 v3, 43
	v_cmp_gt_i16_sdwa s[0:1], v6, v3 src0_sel:BYTE_0 src1_sel:DWORD
	s_and_b64 vcc, exec, s[0:1]
	s_cbranch_vccz .LBB73_704
; %bb.697:
	v_mov_b32_e32 v3, 45
	v_cmp_gt_i16_sdwa s[0:1], v6, v3 src0_sel:BYTE_0 src1_sel:DWORD
	s_and_b64 vcc, exec, s[0:1]
	s_cbranch_vccz .LBB73_705
; %bb.698:
	v_mov_b32_e32 v3, 46
	v_cmp_eq_u16_sdwa s[48:49], v6, v3 src0_sel:BYTE_0 src1_sel:DWORD
	s_mov_b64 s[52:53], 0
	s_mov_b64 s[0:1], -1
	s_and_b64 vcc, exec, s[48:49]
	s_mov_b64 s[48:49], 0
	s_cbranch_vccz .LBB73_706
; %bb.699:
	v_bfe_u32 v3, v2, 16, 1
	s_movk_i32 s0, 0x7fff
	v_add3_u32 v3, v2, v3, s0
	v_lshrrev_b32_e32 v3, 16, v3
	v_mov_b32_e32 v4, 0x7fc0
	v_cmp_o_f32_e32 vcc, v2, v2
	v_cndmask_b32_e32 v3, v4, v3, vcc
	global_store_dword v[0:1], v3, off
	s_mov_b64 s[48:49], -1
	s_mov_b64 s[0:1], 0
	s_branch .LBB73_706
.LBB73_700:
	s_mov_b64 s[52:53], 0
                                        ; implicit-def: $vgpr9
	s_mov_b64 s[0:1], s[36:37]
	s_branch .LBB73_816
.LBB73_701:
	s_mov_b64 s[52:53], -1
	s_mov_b64 s[48:49], 0
	s_mov_b64 s[0:1], s[36:37]
	s_branch .LBB73_775
.LBB73_702:
	s_mov_b64 s[52:53], -1
	s_mov_b64 s[48:49], 0
	s_mov_b64 s[0:1], s[36:37]
	s_branch .LBB73_733
.LBB73_703:
	s_mov_b64 s[52:53], -1
	s_mov_b64 s[48:49], 0
	s_mov_b64 s[0:1], s[36:37]
	s_branch .LBB73_716
.LBB73_704:
	s_mov_b64 s[52:53], -1
	s_mov_b64 s[48:49], 0
	s_mov_b64 s[0:1], s[36:37]
	s_branch .LBB73_712
.LBB73_705:
	s_mov_b64 s[52:53], -1
	s_mov_b64 s[48:49], 0
	s_mov_b64 s[0:1], s[36:37]
.LBB73_706:
	s_and_b64 vcc, exec, s[52:53]
	s_cbranch_vccz .LBB73_711
; %bb.707:
	v_mov_b32_e32 v3, 44
	v_cmp_eq_u16_sdwa s[52:53], v6, v3 src0_sel:BYTE_0 src1_sel:DWORD
	s_mov_b64 s[0:1], -1
	s_and_b64 vcc, exec, s[52:53]
	s_cbranch_vccz .LBB73_711
; %bb.708:
	v_bfe_u32 v3, v2, 23, 8
	s_movk_i32 s0, 0xff
	v_cmp_ne_u32_e32 vcc, s0, v3
	v_mov_b32_e32 v4, 0xff
	s_and_saveexec_b64 s[48:49], vcc
; %bb.709:
	s_mov_b32 s0, 0x3fffff
	v_and_b32_e32 v5, 0x400000, v2
	v_and_or_b32 v3, v2, s0, v3
	v_cmp_ne_u32_e32 vcc, 0, v5
	v_cmp_ne_u32_e64 s[0:1], 0, v3
	s_and_b64 s[0:1], vcc, s[0:1]
	v_lshrrev_b32_e32 v4, 23, v2
	v_cndmask_b32_e64 v3, 0, 1, s[0:1]
	v_add_u32_e32 v4, v4, v3
; %bb.710:
	s_or_b64 exec, exec, s[48:49]
	s_mov_b64 s[48:49], -1
	s_mov_b64 s[0:1], 0
	global_store_byte v[0:1], v4, off
.LBB73_711:
	s_mov_b64 s[52:53], 0
.LBB73_712:
	s_and_b64 vcc, exec, s[52:53]
	s_cbranch_vccz .LBB73_715
; %bb.713:
	v_mov_b32_e32 v3, 29
	v_cmp_eq_u16_sdwa s[52:53], v6, v3 src0_sel:BYTE_0 src1_sel:DWORD
	s_mov_b64 s[0:1], -1
	s_and_b64 vcc, exec, s[52:53]
	s_cbranch_vccz .LBB73_715
; %bb.714:
	v_trunc_f32_e32 v3, v2
	v_mul_f32_e32 v4, 0x2f800000, v3
	v_floor_f32_e32 v4, v4
	v_fmac_f32_e32 v3, 0xcf800000, v4
	v_cvt_u32_f32_e32 v5, v4
	v_cvt_u32_f32_e32 v4, v3
	s_mov_b64 s[48:49], -1
	s_mov_b64 s[0:1], 0
	s_mov_b64 s[52:53], 0
	global_store_dwordx2 v[0:1], v[4:5], off
	s_branch .LBB73_716
.LBB73_715:
	s_mov_b64 s[52:53], 0
.LBB73_716:
	s_and_b64 vcc, exec, s[52:53]
	s_cbranch_vccz .LBB73_732
; %bb.717:
	v_mov_b32_e32 v3, 27
	v_cmp_lt_i16_sdwa s[52:53], v6, v3 src0_sel:BYTE_0 src1_sel:DWORD
	s_mov_b64 s[48:49], -1
	s_and_b64 vcc, exec, s[52:53]
	s_cbranch_vccnz .LBB73_723
; %bb.718:
	v_cmp_gt_i16_sdwa s[52:53], v6, v3 src0_sel:BYTE_0 src1_sel:DWORD
	v_cvt_u32_f32_e32 v3, v2
	s_and_b64 vcc, exec, s[52:53]
	s_cbranch_vccz .LBB73_720
; %bb.719:
	s_mov_b64 s[48:49], 0
	global_store_dword v[0:1], v3, off
.LBB73_720:
	s_andn2_b64 vcc, exec, s[48:49]
	s_cbranch_vccnz .LBB73_722
; %bb.721:
	global_store_short v[0:1], v3, off
.LBB73_722:
	s_mov_b64 s[48:49], 0
.LBB73_723:
	s_andn2_b64 vcc, exec, s[48:49]
	s_cbranch_vccnz .LBB73_731
; %bb.724:
	v_and_b32_e32 v3, 0x7fffffff, v2
	s_mov_b32 s48, 0x43800000
	v_cmp_gt_u32_e32 vcc, s48, v3
	v_mov_b32_e32 v4, 0x80
	s_and_saveexec_b64 s[48:49], vcc
	s_cbranch_execz .LBB73_730
; %bb.725:
	s_mov_b32 s52, 0x3bffffff
	v_cmp_lt_u32_e32 vcc, s52, v3
	s_mov_b64 s[52:53], 0
                                        ; implicit-def: $vgpr3
	s_and_saveexec_b64 s[54:55], vcc
	s_xor_b64 s[54:55], exec, s[54:55]
	s_cbranch_execz .LBB73_843
; %bb.726:
	v_bfe_u32 v3, v2, 20, 1
	s_mov_b32 s56, 0x487ffff
	v_add3_u32 v3, v2, v3, s56
	s_mov_b64 s[52:53], exec
	v_lshrrev_b32_e32 v3, 20, v3
	s_or_saveexec_b64 s[54:55], s[54:55]
                                        ; implicit-def: $sgpr56
	s_xor_b64 exec, exec, s[54:55]
	s_cbranch_execnz .LBB73_844
.LBB73_727:
	s_or_b64 exec, exec, s[54:55]
	v_mov_b32_e32 v4, s56
	s_and_saveexec_b64 s[54:55], s[52:53]
.LBB73_728:
	v_lshrrev_b32_e32 v4, 24, v2
	s_movk_i32 s52, 0x80
	v_and_or_b32 v4, v4, s52, v3
.LBB73_729:
	s_or_b64 exec, exec, s[54:55]
.LBB73_730:
	s_or_b64 exec, exec, s[48:49]
	global_store_byte v[0:1], v4, off
.LBB73_731:
	s_mov_b64 s[48:49], -1
.LBB73_732:
	s_mov_b64 s[52:53], 0
.LBB73_733:
	s_and_b64 vcc, exec, s[52:53]
	s_cbranch_vccz .LBB73_774
; %bb.734:
	v_mov_b32_e32 v3, 22
	v_cmp_gt_i16_sdwa s[54:55], v6, v3 src0_sel:BYTE_0 src1_sel:DWORD
	s_mov_b64 s[52:53], -1
	s_and_b64 vcc, exec, s[54:55]
	s_cbranch_vccz .LBB73_766
; %bb.735:
	v_mov_b32_e32 v3, 24
	v_cmp_lt_i16_sdwa s[52:53], v6, v3 src0_sel:BYTE_0 src1_sel:DWORD
	s_mov_b64 s[48:49], -1
	s_and_b64 vcc, exec, s[52:53]
	s_cbranch_vccnz .LBB73_755
; %bb.736:
	v_cmp_gt_i16_sdwa s[52:53], v6, v3 src0_sel:BYTE_0 src1_sel:DWORD
	s_and_b64 vcc, exec, s[52:53]
	s_cbranch_vccz .LBB73_744
; %bb.737:
	v_and_b32_e32 v3, 0x7fffffff, v2
	s_mov_b32 s48, 0x47800000
	v_cmp_gt_u32_e32 vcc, s48, v3
	v_mov_b32_e32 v4, 0x80
	s_and_saveexec_b64 s[48:49], vcc
	s_cbranch_execz .LBB73_743
; %bb.738:
	s_mov_b32 s52, 0x37ffffff
	v_cmp_lt_u32_e32 vcc, s52, v3
	s_mov_b64 s[52:53], 0
                                        ; implicit-def: $vgpr3
	s_and_saveexec_b64 s[54:55], vcc
	s_xor_b64 s[54:55], exec, s[54:55]
	s_cbranch_execz .LBB73_975
; %bb.739:
	v_bfe_u32 v3, v2, 21, 1
	s_mov_b32 s56, 0x88fffff
	v_add3_u32 v3, v2, v3, s56
	s_mov_b64 s[52:53], exec
	v_lshrrev_b32_e32 v3, 21, v3
	s_or_saveexec_b64 s[54:55], s[54:55]
                                        ; implicit-def: $sgpr56
	s_xor_b64 exec, exec, s[54:55]
	s_cbranch_execnz .LBB73_976
.LBB73_740:
	s_or_b64 exec, exec, s[54:55]
	v_mov_b32_e32 v4, s56
	s_and_saveexec_b64 s[54:55], s[52:53]
.LBB73_741:
	v_lshrrev_b32_e32 v4, 24, v2
	s_movk_i32 s52, 0x80
	v_and_or_b32 v4, v4, s52, v3
.LBB73_742:
	s_or_b64 exec, exec, s[54:55]
.LBB73_743:
	s_or_b64 exec, exec, s[48:49]
	s_mov_b64 s[48:49], 0
	global_store_byte v[0:1], v4, off
.LBB73_744:
	s_and_b64 vcc, exec, s[48:49]
	s_cbranch_vccz .LBB73_754
; %bb.745:
	v_and_b32_e32 v4, 0x7fffffff, v2
	s_mov_b32 s48, 0x43f00000
	v_cmp_gt_u32_e32 vcc, s48, v4
                                        ; implicit-def: $vgpr3
	s_and_saveexec_b64 s[48:49], vcc
	s_xor_b64 s[48:49], exec, s[48:49]
	s_cbranch_execz .LBB73_751
; %bb.746:
	s_mov_b32 s52, 0x3c7fffff
	v_cmp_lt_u32_e32 vcc, s52, v4
                                        ; implicit-def: $vgpr3
	s_and_saveexec_b64 s[52:53], vcc
	s_xor_b64 s[52:53], exec, s[52:53]
; %bb.747:
	v_bfe_u32 v3, v2, 20, 1
	s_mov_b32 s54, 0x407ffff
	v_add3_u32 v3, v2, v3, s54
	v_lshrrev_b32_e32 v4, 20, v3
	v_and_b32_e32 v3, 0xff00000, v3
	s_mov_b32 s54, 0x7f00000
	v_mov_b32_e32 v5, 0x7e
	v_cmp_ne_u32_e32 vcc, s54, v3
	v_cndmask_b32_e32 v3, v5, v4, vcc
; %bb.748:
	s_andn2_saveexec_b64 s[52:53], s[52:53]
; %bb.749:
	s_mov_b32 s54, 0x46800000
	v_add_f32_e64 v3, |v2|, s54
; %bb.750:
	s_or_b64 exec, exec, s[52:53]
                                        ; implicit-def: $vgpr4
.LBB73_751:
	s_andn2_saveexec_b64 s[48:49], s[48:49]
; %bb.752:
	s_mov_b32 s52, 0x7f800000
	v_mov_b32_e32 v3, 0x7e
	v_mov_b32_e32 v5, 0x7f
	v_cmp_lt_u32_e32 vcc, s52, v4
	v_cndmask_b32_e32 v3, v3, v5, vcc
; %bb.753:
	s_or_b64 exec, exec, s[48:49]
	v_lshrrev_b32_e32 v4, 24, v2
	s_movk_i32 s48, 0x80
	v_and_or_b32 v3, v4, s48, v3
	global_store_byte v[0:1], v3, off
.LBB73_754:
	s_mov_b64 s[48:49], 0
.LBB73_755:
	s_andn2_b64 vcc, exec, s[48:49]
	s_cbranch_vccnz .LBB73_765
; %bb.756:
	v_and_b32_e32 v4, 0x7fffffff, v2
	s_mov_b32 s48, 0x47800000
	v_cmp_gt_u32_e32 vcc, s48, v4
                                        ; implicit-def: $vgpr3
	s_and_saveexec_b64 s[48:49], vcc
	s_xor_b64 s[48:49], exec, s[48:49]
	s_cbranch_execz .LBB73_762
; %bb.757:
	s_mov_b32 s52, 0x387fffff
	v_cmp_lt_u32_e32 vcc, s52, v4
                                        ; implicit-def: $vgpr3
	s_and_saveexec_b64 s[52:53], vcc
	s_xor_b64 s[52:53], exec, s[52:53]
; %bb.758:
	v_bfe_u32 v3, v2, 21, 1
	s_mov_b32 s54, 0x80fffff
	v_add3_u32 v3, v2, v3, s54
	v_lshrrev_b32_e32 v3, 21, v3
; %bb.759:
	s_andn2_saveexec_b64 s[52:53], s[52:53]
; %bb.760:
	s_mov_b32 s54, 0x43000000
	v_add_f32_e64 v3, |v2|, s54
; %bb.761:
	s_or_b64 exec, exec, s[52:53]
                                        ; implicit-def: $vgpr4
.LBB73_762:
	s_andn2_saveexec_b64 s[48:49], s[48:49]
; %bb.763:
	s_mov_b32 s52, 0x7f800000
	v_mov_b32_e32 v3, 0x7c
	v_mov_b32_e32 v5, 0x7f
	v_cmp_lt_u32_e32 vcc, s52, v4
	v_cndmask_b32_e32 v3, v3, v5, vcc
; %bb.764:
	s_or_b64 exec, exec, s[48:49]
	v_lshrrev_b32_e32 v4, 24, v2
	s_movk_i32 s48, 0x80
	v_and_or_b32 v3, v4, s48, v3
	global_store_byte v[0:1], v3, off
.LBB73_765:
	s_mov_b64 s[52:53], 0
	s_mov_b64 s[48:49], -1
.LBB73_766:
	s_andn2_b64 vcc, exec, s[52:53]
	s_cbranch_vccnz .LBB73_774
; %bb.767:
	v_mov_b32_e32 v3, 14
	v_cmp_gt_i16_sdwa s[54:55], v6, v3 src0_sel:BYTE_0 src1_sel:DWORD
	s_mov_b64 s[52:53], -1
	s_and_b64 vcc, exec, s[54:55]
	s_cbranch_vccz .LBB73_771
; %bb.768:
	v_mov_b32_e32 v3, 15
	v_cmp_eq_u16_sdwa s[52:53], v6, v3 src0_sel:BYTE_0 src1_sel:DWORD
	s_mov_b64 s[0:1], -1
	s_and_b64 vcc, exec, s[52:53]
	s_cbranch_vccz .LBB73_770
; %bb.769:
	v_bfe_u32 v3, v2, 16, 1
	s_movk_i32 s0, 0x7fff
	v_add3_u32 v3, v2, v3, s0
	v_lshrrev_b32_e32 v3, 16, v3
	v_mov_b32_e32 v4, 0x7fc0
	v_cmp_o_f32_e32 vcc, v2, v2
	v_cndmask_b32_e32 v3, v4, v3, vcc
	global_store_short v[0:1], v3, off
	s_mov_b64 s[48:49], -1
	s_mov_b64 s[0:1], 0
.LBB73_770:
	s_mov_b64 s[52:53], 0
.LBB73_771:
	s_and_b64 vcc, exec, s[52:53]
	s_cbranch_vccz .LBB73_774
; %bb.772:
	v_mov_b32_e32 v3, 11
	v_cmp_eq_u16_sdwa s[52:53], v6, v3 src0_sel:BYTE_0 src1_sel:DWORD
	s_mov_b64 s[0:1], -1
	s_and_b64 vcc, exec, s[52:53]
	s_cbranch_vccz .LBB73_774
; %bb.773:
	v_cmp_neq_f32_e32 vcc, 0, v2
	v_cndmask_b32_e64 v3, 0, 1, vcc
	s_mov_b64 s[48:49], -1
	s_mov_b64 s[0:1], 0
	global_store_byte v[0:1], v3, off
.LBB73_774:
	s_mov_b64 s[52:53], 0
.LBB73_775:
	s_and_b64 vcc, exec, s[52:53]
	s_cbranch_vccz .LBB73_814
; %bb.776:
	v_mov_b32_e32 v3, 5
	v_cmp_lt_i16_sdwa s[52:53], v6, v3 src0_sel:BYTE_0 src1_sel:DWORD
	s_mov_b64 s[48:49], -1
	s_and_b64 vcc, exec, s[52:53]
	s_cbranch_vccnz .LBB73_797
; %bb.777:
	v_mov_b32_e32 v3, 8
	v_cmp_lt_i16_sdwa s[52:53], v6, v3 src0_sel:BYTE_0 src1_sel:DWORD
	s_and_b64 vcc, exec, s[52:53]
	s_cbranch_vccnz .LBB73_787
; %bb.778:
	v_mov_b32_e32 v3, 9
	v_cmp_lt_i16_sdwa s[52:53], v6, v3 src0_sel:BYTE_0 src1_sel:DWORD
	s_and_b64 vcc, exec, s[52:53]
	s_cbranch_vccnz .LBB73_784
; %bb.779:
	v_cmp_gt_i16_sdwa s[52:53], v6, v3 src0_sel:BYTE_0 src1_sel:DWORD
	s_and_b64 vcc, exec, s[52:53]
	s_cbranch_vccz .LBB73_781
; %bb.780:
	v_mov_b32_e32 v12, 0
	v_cvt_f64_f32_e32 v[10:11], v2
	v_mov_b32_e32 v13, v12
	s_mov_b64 s[48:49], 0
	global_store_dwordx4 v[0:1], v[10:13], off
.LBB73_781:
	s_andn2_b64 vcc, exec, s[48:49]
	s_cbranch_vccnz .LBB73_783
; %bb.782:
	v_mov_b32_e32 v3, 0
	global_store_dwordx2 v[0:1], v[2:3], off
.LBB73_783:
	s_mov_b64 s[48:49], 0
.LBB73_784:
	s_andn2_b64 vcc, exec, s[48:49]
	s_cbranch_vccnz .LBB73_786
; %bb.785:
	v_cvt_f16_f32_e32 v3, v2
	global_store_dword v[0:1], v3, off
.LBB73_786:
	s_mov_b64 s[48:49], 0
.LBB73_787:
	s_andn2_b64 vcc, exec, s[48:49]
	s_cbranch_vccnz .LBB73_796
; %bb.788:
	v_mov_b32_e32 v3, 6
	v_cmp_lt_i16_sdwa s[52:53], v6, v3 src0_sel:BYTE_0 src1_sel:DWORD
	s_mov_b64 s[48:49], -1
	s_and_b64 vcc, exec, s[52:53]
	s_cbranch_vccnz .LBB73_794
; %bb.789:
	v_cmp_gt_i16_sdwa s[52:53], v6, v3 src0_sel:BYTE_0 src1_sel:DWORD
	s_and_b64 vcc, exec, s[52:53]
	s_cbranch_vccz .LBB73_791
; %bb.790:
	v_cvt_f64_f32_e32 v[4:5], v2
	s_mov_b64 s[48:49], 0
	global_store_dwordx2 v[0:1], v[4:5], off
.LBB73_791:
	s_andn2_b64 vcc, exec, s[48:49]
	s_cbranch_vccnz .LBB73_793
; %bb.792:
	global_store_dword v[0:1], v2, off
.LBB73_793:
	s_mov_b64 s[48:49], 0
.LBB73_794:
	s_andn2_b64 vcc, exec, s[48:49]
	s_cbranch_vccnz .LBB73_796
; %bb.795:
	v_cvt_f16_f32_e32 v3, v2
	global_store_short v[0:1], v3, off
.LBB73_796:
	s_mov_b64 s[48:49], 0
.LBB73_797:
	s_andn2_b64 vcc, exec, s[48:49]
	s_cbranch_vccnz .LBB73_813
; %bb.798:
	v_mov_b32_e32 v3, 2
	v_cmp_lt_i16_sdwa s[52:53], v6, v3 src0_sel:BYTE_0 src1_sel:DWORD
	s_mov_b64 s[48:49], -1
	s_and_b64 vcc, exec, s[52:53]
	s_cbranch_vccnz .LBB73_808
; %bb.799:
	v_mov_b32_e32 v3, 3
	v_cmp_lt_i16_sdwa s[52:53], v6, v3 src0_sel:BYTE_0 src1_sel:DWORD
	s_and_b64 vcc, exec, s[52:53]
	s_cbranch_vccnz .LBB73_805
; %bb.800:
	v_cmp_gt_i16_sdwa s[52:53], v6, v3 src0_sel:BYTE_0 src1_sel:DWORD
	s_and_b64 vcc, exec, s[52:53]
	s_cbranch_vccz .LBB73_802
; %bb.801:
	v_trunc_f32_e32 v3, v2
	s_mov_b32 s48, 0x2f800000
	v_mul_f32_e64 v4, |v3|, s48
	v_floor_f32_e32 v4, v4
	s_mov_b32 s48, 0xcf800000
	v_cvt_u32_f32_e32 v5, v4
	v_fma_f32 v4, v4, s48, |v3|
	v_cvt_u32_f32_e32 v4, v4
	v_ashrrev_i32_e32 v3, 31, v3
	v_xor_b32_e32 v5, v5, v3
	s_mov_b64 s[48:49], 0
	v_xor_b32_e32 v4, v4, v3
	v_sub_co_u32_e32 v4, vcc, v4, v3
	v_subb_co_u32_e32 v5, vcc, v5, v3, vcc
	global_store_dwordx2 v[0:1], v[4:5], off
.LBB73_802:
	s_andn2_b64 vcc, exec, s[48:49]
	s_cbranch_vccnz .LBB73_804
; %bb.803:
	v_cvt_i32_f32_e32 v3, v2
	global_store_dword v[0:1], v3, off
.LBB73_804:
	s_mov_b64 s[48:49], 0
.LBB73_805:
	s_andn2_b64 vcc, exec, s[48:49]
	s_cbranch_vccnz .LBB73_807
; %bb.806:
	v_cvt_i32_f32_e32 v3, v2
	global_store_short v[0:1], v3, off
.LBB73_807:
	s_mov_b64 s[48:49], 0
.LBB73_808:
	s_andn2_b64 vcc, exec, s[48:49]
	s_cbranch_vccnz .LBB73_813
; %bb.809:
	v_mov_b32_e32 v3, 0
	v_cmp_gt_i16_sdwa s[52:53], v6, v3 src0_sel:BYTE_0 src1_sel:DWORD
	s_mov_b64 s[48:49], -1
	s_and_b64 vcc, exec, s[52:53]
	s_cbranch_vccz .LBB73_811
; %bb.810:
	v_cvt_i32_f32_e32 v3, v2
	s_mov_b64 s[48:49], 0
	global_store_byte v[0:1], v3, off
.LBB73_811:
	s_andn2_b64 vcc, exec, s[48:49]
	s_cbranch_vccnz .LBB73_813
; %bb.812:
	v_trunc_f32_e32 v2, v2
	s_mov_b32 s48, 0x2f800000
	v_mul_f32_e64 v3, |v2|, s48
	v_floor_f32_e32 v3, v3
	s_mov_b32 s48, 0xcf800000
	v_fma_f32 v3, v3, s48, |v2|
	v_cvt_u32_f32_e32 v3, v3
	v_ashrrev_i32_e32 v2, 31, v2
	v_xor_b32_e32 v3, v3, v2
	v_sub_u32_e32 v2, v3, v2
	global_store_byte v[0:1], v2, off
.LBB73_813:
	s_mov_b64 s[48:49], -1
.LBB73_814:
	s_andn2_b64 vcc, exec, s[48:49]
	s_cbranch_vccnz .LBB73_838
; %bb.815:
	v_add_u32_e32 v9, 0x80, v9
	s_mov_b64 s[52:53], -1
.LBB73_816:
	s_andn2_b64 s[48:49], s[36:37], exec
	s_and_b64 s[0:1], s[0:1], exec
	s_or_b64 s[48:49], s[48:49], s[0:1]
	s_andn2_b64 s[0:1], s[38:39], exec
	s_and_b64 s[46:47], s[46:47], exec
	s_or_b64 s[46:47], s[0:1], s[46:47]
	;; [unrolled: 3-line block ×3, first 2 shown]
	s_orn2_b64 s[0:1], s[52:53], exec
.LBB73_817:
	s_or_b64 exec, exec, s[50:51]
	s_mov_b64 s[52:53], 0
	s_mov_b64 s[54:55], 0
	;; [unrolled: 1-line block ×3, first 2 shown]
                                        ; implicit-def: $vgpr3
                                        ; implicit-def: $vgpr4_vgpr5
                                        ; implicit-def: $vgpr2
                                        ; implicit-def: $vgpr0
                                        ; implicit-def: $vgpr1
	s_and_saveexec_b64 s[50:51], s[0:1]
	s_cbranch_execz .LBB73_1324
; %bb.818:
	v_cmp_gt_i32_e32 vcc, s70, v9
	s_mov_b64 s[64:65], -1
	s_mov_b64 s[0:1], s[44:45]
	s_mov_b64 s[56:57], s[46:47]
	;; [unrolled: 1-line block ×3, first 2 shown]
	s_and_saveexec_b64 s[52:53], vcc
	s_cbranch_execz .LBB73_1229
; %bb.819:
	s_andn2_b64 vcc, exec, s[20:21]
	s_cbranch_vccnz .LBB73_826
; %bb.820:
	s_andn2_b64 vcc, exec, s[34:35]
	v_mov_b32_e32 v2, 0
	s_waitcnt vmcnt(0)
	v_mov_b32_e32 v4, 0
	v_mov_b32_e32 v0, 0
	s_cbranch_vccnz .LBB73_825
; %bb.821:
	s_add_i32 s0, s69, 1
	s_and_b32 s54, s0, 30
	s_add_u32 s0, s2, 0xffffffec
	s_addc_u32 s1, s3, -1
	v_mov_b32_e32 v0, 0
	v_mov_b32_e32 v1, v9
	;; [unrolled: 1-line block ×4, first 2 shown]
.LBB73_822:                             ; =>This Inner Loop Header: Depth=1
	s_mov_b64 s[64:65], s[0:1]
	s_load_dwordx4 s[56:59], s[64:65], 0x18
	s_load_dwordx2 s[66:67], s[64:65], 0x28
	s_load_dwordx2 s[72:73], s[64:65], 0xe8
	s_load_dwordx4 s[60:63], s[64:65], 0xd8
	s_add_u32 s0, s64, 24
	s_waitcnt lgkmcnt(0)
	v_mul_hi_u32 v3, s57, v1
	v_add_u32_e32 v3, v1, v3
	v_lshrrev_b32_e32 v3, s58, v3
	v_mul_lo_u32 v5, v3, s56
	v_mul_hi_u32 v10, s66, v3
	v_sub_u32_e32 v1, v1, v5
	v_add_u32_e32 v5, v3, v10
	v_mul_lo_u32 v10, v1, s60
	v_mul_lo_u32 v11, v1, s61
	;; [unrolled: 1-line block ×3, first 2 shown]
	v_lshrrev_b32_e32 v1, s67, v5
	v_mul_lo_u32 v5, v1, s59
	v_sub_u32_e32 v3, v3, v5
	s_addc_u32 s1, s65, 0
	s_add_i32 s54, s54, -2
	v_mul_lo_u32 v5, v3, s63
	v_mul_lo_u32 v13, v3, s72
	;; [unrolled: 1-line block ×3, first 2 shown]
	s_cmp_eq_u32 s54, 0
	v_add3_u32 v0, v10, v0, v5
	v_add3_u32 v2, v12, v2, v3
	;; [unrolled: 1-line block ×3, first 2 shown]
	s_cbranch_scc0 .LBB73_822
; %bb.823:
	s_bitcmp1_b32 s69, 0
	s_cselect_b64 s[54:55], -1, 0
	s_and_b64 vcc, exec, s[54:55]
	s_cbranch_vccnz .LBB73_825
; %bb.824:
	s_load_dwordx2 s[54:55], s[0:1], 0x18
	s_load_dword s56, s[0:1], 0x20
	s_load_dword s57, s[0:1], 0xe0
	s_nop 0
	s_load_dwordx2 s[0:1], s[0:1], 0xd8
	s_waitcnt lgkmcnt(0)
	v_mul_hi_u32 v3, s55, v1
	v_add_u32_e32 v3, v1, v3
	v_lshrrev_b32_e32 v3, s56, v3
	v_mul_lo_u32 v3, v3, s54
	v_sub_u32_e32 v3, v1, v3
	v_mad_u64_u32 v[0:1], s[54:55], v3, s0, v[0:1]
	v_mad_u64_u32 v[4:5], s[0:1], v3, s1, v[4:5]
	;; [unrolled: 1-line block ×3, first 2 shown]
.LBB73_825:
	s_mov_b64 s[0:1], 0
	s_branch .LBB73_827
.LBB73_826:
	s_mov_b64 s[0:1], -1
                                        ; implicit-def: $vgpr2
                                        ; implicit-def: $vgpr4
                                        ; implicit-def: $vgpr0
.LBB73_827:
	s_andn2_b64 vcc, exec, s[0:1]
	s_cbranch_vccnz .LBB73_830
; %bb.828:
	s_waitcnt lgkmcnt(0)
	v_mul_hi_u32 v0, s17, v9
	v_add_u32_e32 v0, v9, v0
	s_waitcnt vmcnt(0)
	v_lshrrev_b32_e32 v1, s18, v0
	v_mul_lo_u32 v0, v1, s16
	v_sub_u32_e32 v3, v9, v0
	v_mul_lo_u32 v0, v3, s12
	v_mul_lo_u32 v2, v3, s14
	s_andn2_b64 vcc, exec, s[30:31]
	v_mul_lo_u32 v4, v3, s13
	s_cbranch_vccnz .LBB73_830
; %bb.829:
	v_mul_hi_u32 v3, s28, v1
	v_add_u32_e32 v3, v1, v3
	v_lshrrev_b32_e32 v3, s29, v3
	v_mul_lo_u32 v3, v3, s19
	v_sub_u32_e32 v3, v1, v3
	v_mad_u64_u32 v[0:1], s[0:1], v3, s15, v[0:1]
	v_mad_u64_u32 v[4:5], s[0:1], v3, s26, v[4:5]
	;; [unrolled: 1-line block ×3, first 2 shown]
.LBB73_830:
	s_waitcnt vmcnt(0) lgkmcnt(0)
	v_mov_b32_e32 v1, s11
	v_add_co_u32_e32 v4, vcc, s10, v4
	v_addc_co_u32_e32 v5, vcc, 0, v1, vcc
	v_mov_b32_e32 v1, 11
	v_cmp_lt_i16_sdwa s[0:1], v8, v1 src0_sel:BYTE_0 src1_sel:DWORD
	s_and_b64 vcc, exec, s[0:1]
	s_cbranch_vccnz .LBB73_837
; %bb.831:
	v_mov_b32_e32 v1, 25
	v_cmp_gt_i16_sdwa s[0:1], v8, v1 src0_sel:BYTE_0 src1_sel:DWORD
	s_and_b64 vcc, exec, s[0:1]
	s_cbranch_vccz .LBB73_839
; %bb.832:
	v_mov_b32_e32 v1, 28
	v_cmp_gt_i16_sdwa s[0:1], v8, v1 src0_sel:BYTE_0 src1_sel:DWORD
	s_and_b64 vcc, exec, s[0:1]
	s_cbranch_vccz .LBB73_840
	;; [unrolled: 5-line block ×4, first 2 shown]
; %bb.835:
	v_mov_b32_e32 v1, 46
	v_cmp_eq_u16_sdwa s[0:1], v8, v1 src0_sel:BYTE_0 src1_sel:DWORD
	s_mov_b64 s[56:57], 0
	s_and_b64 vcc, exec, s[0:1]
	s_cbranch_vccz .LBB73_845
; %bb.836:
	global_load_dword v1, v[4:5], off
	s_mov_b64 s[0:1], -1
	s_mov_b64 s[54:55], 0
	s_waitcnt vmcnt(0)
	v_lshlrev_b32_e32 v1, 16, v1
	s_branch .LBB73_846
.LBB73_837:
	s_mov_b64 s[56:57], -1
	s_mov_b64 s[0:1], 0
                                        ; implicit-def: $vgpr1
	s_mov_b64 s[54:55], s[44:45]
	s_branch .LBB73_911
.LBB73_838:
	s_mov_b64 s[52:53], 0
	s_branch .LBB73_562
.LBB73_839:
	s_mov_b64 s[56:57], -1
	s_mov_b64 s[0:1], 0
	s_mov_b64 s[54:55], s[44:45]
                                        ; implicit-def: $vgpr1
	s_branch .LBB73_875
.LBB73_840:
	s_mov_b64 s[56:57], -1
	s_mov_b64 s[0:1], 0
	s_mov_b64 s[54:55], s[44:45]
                                        ; implicit-def: $vgpr1
	s_branch .LBB73_856
.LBB73_841:
	s_mov_b64 s[56:57], -1
	s_mov_b64 s[0:1], 0
	s_mov_b64 s[54:55], s[44:45]
                                        ; implicit-def: $vgpr1
	s_branch .LBB73_851
.LBB73_842:
	s_mov_b64 s[56:57], -1
	s_mov_b64 s[0:1], 0
	s_mov_b64 s[54:55], s[44:45]
                                        ; implicit-def: $vgpr1
	s_branch .LBB73_846
.LBB73_843:
	s_or_saveexec_b64 s[54:55], s[54:55]
                                        ; implicit-def: $sgpr56
	s_xor_b64 exec, exec, s[54:55]
	s_cbranch_execz .LBB73_727
.LBB73_844:
	s_mov_b32 s56, 0x46000000
	v_add_f32_e64 v3, |v2|, s56
	v_and_b32_e32 v3, 0xff, v3
	v_cmp_ne_u32_e32 vcc, 0, v3
	s_andn2_b64 s[52:53], s[52:53], exec
	s_and_b64 s[58:59], vcc, exec
	s_mov_b32 s56, 0
	s_or_b64 s[52:53], s[52:53], s[58:59]
	s_or_b64 exec, exec, s[54:55]
	v_mov_b32_e32 v4, s56
	s_and_saveexec_b64 s[54:55], s[52:53]
	s_cbranch_execnz .LBB73_728
	s_branch .LBB73_729
.LBB73_845:
	s_mov_b64 s[54:55], -1
                                        ; implicit-def: $vgpr1
	s_mov_b64 s[0:1], 0
.LBB73_846:
	s_and_b64 vcc, exec, s[56:57]
	s_cbranch_vccz .LBB73_850
; %bb.847:
	v_mov_b32_e32 v1, 44
	v_cmp_eq_u16_sdwa s[54:55], v8, v1 src0_sel:BYTE_0 src1_sel:DWORD
	s_and_b64 vcc, exec, s[54:55]
	s_cbranch_vccz .LBB73_849
; %bb.848:
	global_load_ubyte v1, v[4:5], off
	s_movk_i32 s54, 0xff
	v_mov_b32_e32 v3, 0x7f800001
	v_mov_b32_e32 v10, 0x400000
	s_mov_b64 s[0:1], -1
	s_waitcnt vmcnt(0)
	v_lshlrev_b32_e32 v11, 23, v1
	v_cmp_ne_u32_e32 vcc, s54, v1
	v_cndmask_b32_e32 v3, v3, v11, vcc
	v_cmp_ne_u32_e32 vcc, 0, v1
	v_cndmask_b32_e32 v1, v10, v3, vcc
	s_mov_b64 s[54:55], 0
	s_branch .LBB73_850
.LBB73_849:
	s_mov_b64 s[54:55], -1
                                        ; implicit-def: $vgpr1
.LBB73_850:
	s_mov_b64 s[56:57], 0
.LBB73_851:
	s_and_b64 vcc, exec, s[56:57]
	s_cbranch_vccz .LBB73_855
; %bb.852:
	v_mov_b32_e32 v1, 29
	v_cmp_eq_u16_sdwa s[54:55], v8, v1 src0_sel:BYTE_0 src1_sel:DWORD
	s_and_b64 vcc, exec, s[54:55]
	s_cbranch_vccz .LBB73_854
; %bb.853:
	global_load_dwordx2 v[10:11], v[4:5], off
	s_mov_b64 s[0:1], -1
	s_mov_b64 s[54:55], 0
	s_mov_b64 s[56:57], 0
	s_waitcnt vmcnt(0)
	v_ffbh_u32_e32 v1, v11
	v_min_u32_e32 v1, 32, v1
	v_lshlrev_b64 v[10:11], v1, v[10:11]
	v_min_u32_e32 v3, 1, v10
	v_or_b32_e32 v3, v11, v3
	v_cvt_f32_u32_e32 v3, v3
	v_sub_u32_e32 v1, 32, v1
	v_ldexp_f32 v1, v3, v1
	s_branch .LBB73_856
.LBB73_854:
	s_mov_b64 s[54:55], -1
                                        ; implicit-def: $vgpr1
.LBB73_855:
	s_mov_b64 s[56:57], 0
.LBB73_856:
	s_and_b64 vcc, exec, s[56:57]
	s_cbranch_vccz .LBB73_874
; %bb.857:
	v_mov_b32_e32 v1, 27
	v_cmp_lt_i16_sdwa s[0:1], v8, v1 src0_sel:BYTE_0 src1_sel:DWORD
	s_and_b64 vcc, exec, s[0:1]
	s_cbranch_vccnz .LBB73_860
; %bb.858:
	v_cmp_gt_i16_sdwa s[0:1], v8, v1 src0_sel:BYTE_0 src1_sel:DWORD
	s_and_b64 vcc, exec, s[0:1]
	s_cbranch_vccz .LBB73_861
; %bb.859:
	global_load_dword v1, v[4:5], off
	s_mov_b64 s[0:1], 0
	s_waitcnt vmcnt(0)
	v_cvt_f32_u32_e32 v1, v1
	s_branch .LBB73_862
.LBB73_860:
	s_mov_b64 s[0:1], -1
                                        ; implicit-def: $vgpr1
	s_branch .LBB73_865
.LBB73_861:
	s_mov_b64 s[0:1], -1
                                        ; implicit-def: $vgpr1
.LBB73_862:
	s_andn2_b64 vcc, exec, s[0:1]
	s_cbranch_vccnz .LBB73_864
; %bb.863:
	global_load_ushort v1, v[4:5], off
	s_waitcnt vmcnt(0)
	v_cvt_f32_u32_e32 v1, v1
.LBB73_864:
	s_mov_b64 s[0:1], 0
.LBB73_865:
	s_andn2_b64 vcc, exec, s[0:1]
	s_cbranch_vccnz .LBB73_873
; %bb.866:
	global_load_ubyte v3, v[4:5], off
	s_movk_i32 s0, 0x7f
                                        ; implicit-def: $sgpr60
	s_waitcnt vmcnt(0)
	v_cmp_lt_i16_e32 vcc, s0, v3
	s_mov_b64 s[0:1], 0
	s_and_saveexec_b64 s[56:57], vcc
	s_xor_b64 s[56:57], exec, s[56:57]
	s_cbranch_execz .LBB73_887
; %bb.867:
	s_movk_i32 s0, 0x80
	v_cmp_eq_u16_e32 vcc, s0, v3
	s_mov_b64 s[0:1], -1
                                        ; implicit-def: $sgpr60
	s_and_saveexec_b64 s[58:59], vcc
; %bb.868:
	s_mov_b32 s60, 0x7f800001
	s_xor_b64 s[0:1], exec, -1
; %bb.869:
	s_or_b64 exec, exec, s[58:59]
	s_and_b64 s[0:1], s[0:1], exec
	s_or_saveexec_b64 s[56:57], s[56:57]
	v_mov_b32_e32 v1, s60
	s_xor_b64 exec, exec, s[56:57]
	s_cbranch_execnz .LBB73_888
.LBB73_870:
	s_or_b64 exec, exec, s[56:57]
	s_and_saveexec_b64 s[56:57], s[0:1]
	s_cbranch_execz .LBB73_872
.LBB73_871:
	v_lshlrev_b32_e32 v1, 24, v3
	v_and_b32_e32 v3, 0xffff, v3
	v_and_b32_e32 v10, 7, v3
	v_ffbh_u32_e32 v12, v10
	v_min_u32_e32 v12, 32, v12
	v_subrev_u32_e32 v13, 28, v12
	v_bfe_u32 v11, v3, 3, 4
	v_lshlrev_b32_e32 v3, v13, v3
	v_sub_u32_e32 v12, 29, v12
	v_and_b32_e32 v3, 7, v3
	v_cmp_eq_u32_e32 vcc, 0, v11
	v_cndmask_b32_e32 v11, v11, v12, vcc
	v_cndmask_b32_e32 v3, v10, v3, vcc
	v_mov_b32_e32 v10, 0x3b800000
	v_lshlrev_b32_e32 v3, 20, v3
	v_and_b32_e32 v1, 0x80000000, v1
	v_lshl_add_u32 v10, v11, 23, v10
	v_or3_b32 v1, v1, v10, v3
.LBB73_872:
	s_or_b64 exec, exec, s[56:57]
.LBB73_873:
	s_mov_b64 s[0:1], -1
.LBB73_874:
	s_mov_b64 s[56:57], 0
.LBB73_875:
	s_and_b64 vcc, exec, s[56:57]
	s_cbranch_vccz .LBB73_910
; %bb.876:
	v_mov_b32_e32 v1, 22
	v_cmp_gt_i16_sdwa s[56:57], v8, v1 src0_sel:BYTE_0 src1_sel:DWORD
	s_and_b64 vcc, exec, s[56:57]
	s_cbranch_vccz .LBB73_886
; %bb.877:
	v_mov_b32_e32 v1, 24
	v_cmp_lt_i16_sdwa s[0:1], v8, v1 src0_sel:BYTE_0 src1_sel:DWORD
	s_and_b64 vcc, exec, s[0:1]
	s_cbranch_vccnz .LBB73_889
; %bb.878:
	v_cmp_gt_i16_sdwa s[0:1], v8, v1 src0_sel:BYTE_0 src1_sel:DWORD
	s_and_b64 vcc, exec, s[0:1]
	s_cbranch_vccz .LBB73_890
; %bb.879:
	global_load_ubyte v3, v[4:5], off
	s_movk_i32 s0, 0x7f
                                        ; implicit-def: $sgpr60
	s_waitcnt vmcnt(0)
	v_cmp_lt_i16_e32 vcc, s0, v3
	s_mov_b64 s[0:1], 0
	s_and_saveexec_b64 s[56:57], vcc
	s_xor_b64 s[56:57], exec, s[56:57]
	s_cbranch_execz .LBB73_902
; %bb.880:
	s_movk_i32 s0, 0x80
	v_cmp_eq_u16_e32 vcc, s0, v3
	s_mov_b64 s[0:1], -1
                                        ; implicit-def: $sgpr60
	s_and_saveexec_b64 s[58:59], vcc
; %bb.881:
	s_mov_b32 s60, 0x7f800001
	s_xor_b64 s[0:1], exec, -1
; %bb.882:
	s_or_b64 exec, exec, s[58:59]
	s_and_b64 s[0:1], s[0:1], exec
	s_or_saveexec_b64 s[56:57], s[56:57]
	v_mov_b32_e32 v1, s60
	s_xor_b64 exec, exec, s[56:57]
	s_cbranch_execnz .LBB73_903
.LBB73_883:
	s_or_b64 exec, exec, s[56:57]
	s_and_saveexec_b64 s[56:57], s[0:1]
	s_cbranch_execz .LBB73_885
.LBB73_884:
	v_lshlrev_b32_e32 v1, 24, v3
	v_and_b32_e32 v3, 0xffff, v3
	v_and_b32_e32 v10, 3, v3
	v_ffbh_u32_e32 v12, v10
	v_min_u32_e32 v12, 32, v12
	v_subrev_u32_e32 v13, 29, v12
	v_bfe_u32 v11, v3, 2, 5
	v_lshlrev_b32_e32 v3, v13, v3
	v_sub_u32_e32 v12, 30, v12
	v_and_b32_e32 v3, 3, v3
	v_cmp_eq_u32_e32 vcc, 0, v11
	v_cndmask_b32_e32 v11, v11, v12, vcc
	v_cndmask_b32_e32 v3, v10, v3, vcc
	v_mov_b32_e32 v10, 0x37800000
	v_lshlrev_b32_e32 v3, 21, v3
	v_and_b32_e32 v1, 0x80000000, v1
	v_lshl_add_u32 v10, v11, 23, v10
	v_or3_b32 v1, v1, v10, v3
.LBB73_885:
	s_or_b64 exec, exec, s[56:57]
	s_mov_b64 s[0:1], 0
	s_branch .LBB73_891
.LBB73_886:
	s_mov_b64 s[56:57], -1
                                        ; implicit-def: $vgpr1
	s_branch .LBB73_897
.LBB73_887:
	s_or_saveexec_b64 s[56:57], s[56:57]
	v_mov_b32_e32 v1, s60
	s_xor_b64 exec, exec, s[56:57]
	s_cbranch_execz .LBB73_870
.LBB73_888:
	v_cmp_ne_u16_e32 vcc, 0, v3
	s_andn2_b64 s[0:1], s[0:1], exec
	s_and_b64 s[58:59], vcc, exec
	v_mov_b32_e32 v1, 0
	s_or_b64 s[0:1], s[0:1], s[58:59]
	s_or_b64 exec, exec, s[56:57]
	s_and_saveexec_b64 s[56:57], s[0:1]
	s_cbranch_execnz .LBB73_871
	s_branch .LBB73_872
.LBB73_889:
	s_mov_b64 s[0:1], -1
                                        ; implicit-def: $vgpr1
	s_branch .LBB73_894
.LBB73_890:
	s_mov_b64 s[0:1], -1
                                        ; implicit-def: $vgpr1
.LBB73_891:
	s_and_b64 vcc, exec, s[0:1]
	s_cbranch_vccz .LBB73_893
; %bb.892:
	global_load_ubyte v1, v[4:5], off
	s_mov_b32 s0, 0x7f800000
	s_waitcnt vmcnt(0)
	v_lshlrev_b32_e32 v1, 24, v1
	v_and_b32_e32 v3, 0x7f000000, v1
	v_ffbh_u32_e32 v10, v3
	v_min_u32_e32 v10, 32, v10
	v_sub_u32_e64 v10, v10, 4 clamp
	v_lshlrev_b32_e32 v12, v10, v3
	v_lshlrev_b32_e32 v10, 23, v10
	v_lshrrev_b32_e32 v12, 4, v12
	v_add_u32_e32 v11, 0x1000000, v3
	v_sub_u32_e32 v10, v12, v10
	v_ashrrev_i32_e32 v11, 8, v11
	v_add_u32_e32 v10, 0x3c000000, v10
	v_and_or_b32 v10, v11, s0, v10
	v_cmp_ne_u32_e32 vcc, 0, v3
	v_cndmask_b32_e32 v3, 0, v10, vcc
	s_brev_b32 s0, 1
	v_and_or_b32 v1, v1, s0, v3
.LBB73_893:
	s_mov_b64 s[0:1], 0
.LBB73_894:
	s_andn2_b64 vcc, exec, s[0:1]
	s_cbranch_vccnz .LBB73_896
; %bb.895:
	global_load_ubyte v1, v[4:5], off
	s_movk_i32 s0, 0x7f00
	s_brev_b32 s1, 16
	s_waitcnt vmcnt(0)
	v_lshlrev_b16_e32 v3, 8, v1
	v_lshlrev_b32_e32 v1, 25, v1
	v_lshrrev_b32_e32 v10, 4, v1
	v_and_or_b32 v11, v3, s0, 0.5
	v_or_b32_e32 v10, 0x70000000, v10
	v_add_f32_e32 v11, -0.5, v11
	v_mul_f32_e32 v10, 0x7800000, v10
	v_cmp_gt_u32_e32 vcc, s1, v1
	v_bfe_i32 v3, v3, 0, 16
	v_cndmask_b32_e32 v1, v10, v11, vcc
	s_brev_b32 s0, 1
	v_and_or_b32 v1, v3, s0, v1
.LBB73_896:
	s_mov_b64 s[56:57], 0
	s_mov_b64 s[0:1], -1
.LBB73_897:
	s_andn2_b64 vcc, exec, s[56:57]
	s_cbranch_vccnz .LBB73_910
; %bb.898:
	v_mov_b32_e32 v1, 14
	v_cmp_gt_i16_sdwa s[56:57], v8, v1 src0_sel:BYTE_0 src1_sel:DWORD
	s_and_b64 vcc, exec, s[56:57]
	s_cbranch_vccz .LBB73_901
; %bb.899:
	v_mov_b32_e32 v1, 15
	v_cmp_eq_u16_sdwa s[54:55], v8, v1 src0_sel:BYTE_0 src1_sel:DWORD
	s_and_b64 vcc, exec, s[54:55]
	s_cbranch_vccz .LBB73_904
; %bb.900:
	global_load_ushort v1, v[4:5], off
	s_mov_b64 s[0:1], -1
	s_mov_b64 s[54:55], 0
	s_waitcnt vmcnt(0)
	v_lshlrev_b32_e32 v1, 16, v1
	s_branch .LBB73_905
.LBB73_901:
	s_mov_b64 s[56:57], -1
                                        ; implicit-def: $vgpr1
	s_branch .LBB73_906
.LBB73_902:
	s_or_saveexec_b64 s[56:57], s[56:57]
	v_mov_b32_e32 v1, s60
	s_xor_b64 exec, exec, s[56:57]
	s_cbranch_execz .LBB73_883
.LBB73_903:
	v_cmp_ne_u16_e32 vcc, 0, v3
	s_andn2_b64 s[0:1], s[0:1], exec
	s_and_b64 s[58:59], vcc, exec
	v_mov_b32_e32 v1, 0
	s_or_b64 s[0:1], s[0:1], s[58:59]
	s_or_b64 exec, exec, s[56:57]
	s_and_saveexec_b64 s[56:57], s[0:1]
	s_cbranch_execnz .LBB73_884
	s_branch .LBB73_885
.LBB73_904:
	s_mov_b64 s[54:55], -1
                                        ; implicit-def: $vgpr1
.LBB73_905:
	s_mov_b64 s[56:57], 0
.LBB73_906:
	s_and_b64 vcc, exec, s[56:57]
	s_cbranch_vccz .LBB73_910
; %bb.907:
	v_mov_b32_e32 v1, 11
	v_cmp_eq_u16_sdwa s[54:55], v8, v1 src0_sel:BYTE_0 src1_sel:DWORD
	s_and_b64 vcc, exec, s[54:55]
	s_cbranch_vccz .LBB73_909
; %bb.908:
	global_load_ubyte v1, v[4:5], off
	s_mov_b64 s[0:1], -1
	s_mov_b64 s[54:55], 0
	s_waitcnt vmcnt(0)
	v_cmp_ne_u16_e32 vcc, 0, v1
	v_cndmask_b32_e64 v1, 0, 1.0, vcc
	s_branch .LBB73_910
.LBB73_909:
	s_mov_b64 s[54:55], -1
                                        ; implicit-def: $vgpr1
.LBB73_910:
	s_mov_b64 s[56:57], 0
.LBB73_911:
	s_and_b64 vcc, exec, s[56:57]
	s_cbranch_vccz .LBB73_960
; %bb.912:
	v_mov_b32_e32 v1, 5
	v_cmp_lt_i16_sdwa s[0:1], v8, v1 src0_sel:BYTE_0 src1_sel:DWORD
	s_and_b64 vcc, exec, s[0:1]
	s_cbranch_vccnz .LBB73_917
; %bb.913:
	v_mov_b32_e32 v1, 8
	v_cmp_lt_i16_sdwa s[0:1], v8, v1 src0_sel:BYTE_0 src1_sel:DWORD
	s_and_b64 vcc, exec, s[0:1]
	s_cbranch_vccnz .LBB73_918
	;; [unrolled: 5-line block ×3, first 2 shown]
; %bb.915:
	v_cmp_gt_i16_sdwa s[0:1], v8, v1 src0_sel:BYTE_0 src1_sel:DWORD
	s_and_b64 vcc, exec, s[0:1]
	s_cbranch_vccz .LBB73_920
; %bb.916:
	global_load_dwordx2 v[10:11], v[4:5], off
	s_mov_b64 s[0:1], 0
	s_waitcnt vmcnt(0)
	v_cvt_f32_f64_e32 v1, v[10:11]
	s_branch .LBB73_921
.LBB73_917:
	s_mov_b64 s[0:1], -1
                                        ; implicit-def: $vgpr1
	s_branch .LBB73_939
.LBB73_918:
	s_mov_b64 s[0:1], -1
                                        ; implicit-def: $vgpr1
	s_branch .LBB73_927
.LBB73_919:
	s_mov_b64 s[0:1], -1
                                        ; implicit-def: $vgpr1
	s_branch .LBB73_924
.LBB73_920:
	s_mov_b64 s[0:1], -1
                                        ; implicit-def: $vgpr1
.LBB73_921:
	s_andn2_b64 vcc, exec, s[0:1]
	s_cbranch_vccnz .LBB73_923
; %bb.922:
	global_load_dword v1, v[4:5], off
.LBB73_923:
	s_mov_b64 s[0:1], 0
.LBB73_924:
	s_andn2_b64 vcc, exec, s[0:1]
	s_cbranch_vccnz .LBB73_926
; %bb.925:
	global_load_dword v1, v[4:5], off
	s_waitcnt vmcnt(0)
	v_cvt_f32_f16_e32 v1, v1
.LBB73_926:
	s_mov_b64 s[0:1], 0
.LBB73_927:
	s_andn2_b64 vcc, exec, s[0:1]
	s_cbranch_vccnz .LBB73_938
; %bb.928:
	s_waitcnt vmcnt(0)
	v_mov_b32_e32 v1, 6
	v_cmp_lt_i16_sdwa s[0:1], v8, v1 src0_sel:BYTE_0 src1_sel:DWORD
	s_and_b64 vcc, exec, s[0:1]
	s_cbranch_vccnz .LBB73_931
; %bb.929:
	v_cmp_gt_i16_sdwa s[0:1], v8, v1 src0_sel:BYTE_0 src1_sel:DWORD
	s_and_b64 vcc, exec, s[0:1]
	s_cbranch_vccz .LBB73_932
; %bb.930:
	global_load_dwordx2 v[10:11], v[4:5], off
	s_mov_b64 s[0:1], 0
	s_waitcnt vmcnt(0)
	v_cvt_f32_f64_e32 v1, v[10:11]
	s_branch .LBB73_933
.LBB73_931:
	s_mov_b64 s[0:1], -1
                                        ; implicit-def: $vgpr1
	s_branch .LBB73_936
.LBB73_932:
	s_mov_b64 s[0:1], -1
                                        ; implicit-def: $vgpr1
.LBB73_933:
	s_andn2_b64 vcc, exec, s[0:1]
	s_cbranch_vccnz .LBB73_935
; %bb.934:
	global_load_dword v1, v[4:5], off
.LBB73_935:
	s_mov_b64 s[0:1], 0
.LBB73_936:
	s_andn2_b64 vcc, exec, s[0:1]
	s_cbranch_vccnz .LBB73_938
; %bb.937:
	global_load_ushort v1, v[4:5], off
	s_waitcnt vmcnt(0)
	v_cvt_f32_f16_e32 v1, v1
.LBB73_938:
	s_mov_b64 s[0:1], 0
.LBB73_939:
	s_andn2_b64 vcc, exec, s[0:1]
	s_cbranch_vccnz .LBB73_959
; %bb.940:
	s_waitcnt vmcnt(0)
	v_mov_b32_e32 v1, 2
	v_cmp_lt_i16_sdwa s[0:1], v8, v1 src0_sel:BYTE_0 src1_sel:DWORD
	s_and_b64 vcc, exec, s[0:1]
	s_cbranch_vccnz .LBB73_944
; %bb.941:
	v_mov_b32_e32 v1, 3
	v_cmp_lt_i16_sdwa s[0:1], v8, v1 src0_sel:BYTE_0 src1_sel:DWORD
	s_and_b64 vcc, exec, s[0:1]
	s_cbranch_vccnz .LBB73_945
; %bb.942:
	v_cmp_gt_i16_sdwa s[0:1], v8, v1 src0_sel:BYTE_0 src1_sel:DWORD
	s_and_b64 vcc, exec, s[0:1]
	s_cbranch_vccz .LBB73_946
; %bb.943:
	global_load_dwordx2 v[10:11], v[4:5], off
	s_mov_b64 s[0:1], 0
	s_waitcnt vmcnt(0)
	v_xor_b32_e32 v3, v10, v11
	v_ffbh_i32_e32 v1, v11
	v_ashrrev_i32_e32 v3, 31, v3
	v_add_u32_e32 v1, -1, v1
	v_add_u32_e32 v3, 32, v3
	v_min_u32_e32 v1, v1, v3
	v_lshlrev_b64 v[10:11], v1, v[10:11]
	v_min_u32_e32 v3, 1, v10
	v_or_b32_e32 v3, v11, v3
	v_cvt_f32_i32_e32 v3, v3
	v_sub_u32_e32 v1, 32, v1
	v_ldexp_f32 v1, v3, v1
	s_branch .LBB73_947
.LBB73_944:
	s_mov_b64 s[0:1], -1
                                        ; implicit-def: $vgpr1
	s_branch .LBB73_953
.LBB73_945:
	s_mov_b64 s[0:1], -1
                                        ; implicit-def: $vgpr1
	s_branch .LBB73_950
.LBB73_946:
	s_mov_b64 s[0:1], -1
                                        ; implicit-def: $vgpr1
.LBB73_947:
	s_andn2_b64 vcc, exec, s[0:1]
	s_cbranch_vccnz .LBB73_949
; %bb.948:
	global_load_dword v1, v[4:5], off
	s_waitcnt vmcnt(0)
	v_cvt_f32_i32_e32 v1, v1
.LBB73_949:
	s_mov_b64 s[0:1], 0
.LBB73_950:
	s_andn2_b64 vcc, exec, s[0:1]
	s_cbranch_vccnz .LBB73_952
; %bb.951:
	global_load_sshort v1, v[4:5], off
	s_waitcnt vmcnt(0)
	v_cvt_f32_i32_e32 v1, v1
.LBB73_952:
	s_mov_b64 s[0:1], 0
.LBB73_953:
	s_andn2_b64 vcc, exec, s[0:1]
	s_cbranch_vccnz .LBB73_959
; %bb.954:
	v_mov_b32_e32 v1, 0
	v_cmp_gt_i16_sdwa s[0:1], v8, v1 src0_sel:BYTE_0 src1_sel:DWORD
	s_and_b64 vcc, exec, s[0:1]
	s_cbranch_vccz .LBB73_956
; %bb.955:
	global_load_sbyte v1, v[4:5], off
	s_mov_b64 s[0:1], 0
	s_waitcnt vmcnt(0)
	v_cvt_f32_i32_e32 v1, v1
	s_branch .LBB73_957
.LBB73_956:
	s_mov_b64 s[0:1], -1
                                        ; implicit-def: $vgpr1
.LBB73_957:
	s_andn2_b64 vcc, exec, s[0:1]
	s_cbranch_vccnz .LBB73_959
; %bb.958:
	global_load_ubyte v1, v[4:5], off
	s_waitcnt vmcnt(0)
	v_cvt_f32_ubyte0_e32 v1, v1
.LBB73_959:
	s_mov_b64 s[0:1], -1
.LBB73_960:
	s_andn2_b64 vcc, exec, s[0:1]
	s_cbranch_vccnz .LBB73_968
; %bb.961:
	v_mov_b32_e32 v3, s25
	v_add_co_u32_e32 v2, vcc, s24, v2
	v_mov_b32_e32 v4, 11
	v_addc_co_u32_e32 v3, vcc, 0, v3, vcc
	v_cmp_lt_i16_sdwa s[0:1], v7, v4 src0_sel:BYTE_0 src1_sel:DWORD
	s_and_b64 vcc, exec, s[0:1]
	s_cbranch_vccnz .LBB73_970
; %bb.962:
	v_mov_b32_e32 v4, 25
	v_cmp_gt_i16_sdwa s[0:1], v7, v4 src0_sel:BYTE_0 src1_sel:DWORD
	s_and_b64 vcc, exec, s[0:1]
	s_cbranch_vccz .LBB73_971
; %bb.963:
	v_mov_b32_e32 v4, 28
	v_cmp_gt_i16_sdwa s[0:1], v7, v4 src0_sel:BYTE_0 src1_sel:DWORD
	s_and_b64 vcc, exec, s[0:1]
	s_cbranch_vccz .LBB73_972
	;; [unrolled: 5-line block ×4, first 2 shown]
; %bb.966:
	v_mov_b32_e32 v4, 46
	v_cmp_eq_u16_sdwa s[0:1], v7, v4 src0_sel:BYTE_0 src1_sel:DWORD
	s_mov_b64 s[58:59], 0
	s_and_b64 vcc, exec, s[0:1]
	s_cbranch_vccz .LBB73_977
; %bb.967:
	global_load_dword v4, v[2:3], off
	s_mov_b64 s[0:1], -1
	s_mov_b64 s[56:57], 0
	s_waitcnt vmcnt(0)
	v_lshlrev_b32_e32 v4, 16, v4
	s_branch .LBB73_978
.LBB73_968:
	s_mov_b64 s[60:61], 0
	s_mov_b64 s[0:1], s[48:49]
	;; [unrolled: 1-line block ×3, first 2 shown]
.LBB73_969:
                                        ; implicit-def: $vgpr9
	s_branch .LBB73_1228
.LBB73_970:
	s_mov_b64 s[58:59], -1
	s_mov_b64 s[0:1], 0
                                        ; implicit-def: $vgpr4
	s_mov_b64 s[56:57], s[46:47]
	s_branch .LBB73_1043
.LBB73_971:
	s_mov_b64 s[58:59], -1
	s_mov_b64 s[0:1], 0
	s_mov_b64 s[56:57], s[46:47]
                                        ; implicit-def: $vgpr4
	s_branch .LBB73_1007
.LBB73_972:
	s_mov_b64 s[58:59], -1
	s_mov_b64 s[0:1], 0
	s_mov_b64 s[56:57], s[46:47]
                                        ; implicit-def: $vgpr4
	s_branch .LBB73_988
.LBB73_973:
	s_mov_b64 s[58:59], -1
	s_mov_b64 s[0:1], 0
	s_mov_b64 s[56:57], s[46:47]
                                        ; implicit-def: $vgpr4
	s_branch .LBB73_983
.LBB73_974:
	s_mov_b64 s[58:59], -1
	s_mov_b64 s[0:1], 0
	s_mov_b64 s[56:57], s[46:47]
                                        ; implicit-def: $vgpr4
	s_branch .LBB73_978
.LBB73_975:
	s_or_saveexec_b64 s[54:55], s[54:55]
                                        ; implicit-def: $sgpr56
	s_xor_b64 exec, exec, s[54:55]
	s_cbranch_execz .LBB73_740
.LBB73_976:
	s_mov_b32 s56, 0x42800000
	v_add_f32_e64 v3, |v2|, s56
	v_and_b32_e32 v3, 0xff, v3
	v_cmp_ne_u32_e32 vcc, 0, v3
	s_andn2_b64 s[52:53], s[52:53], exec
	s_and_b64 s[58:59], vcc, exec
	s_mov_b32 s56, 0
	s_or_b64 s[52:53], s[52:53], s[58:59]
	s_or_b64 exec, exec, s[54:55]
	v_mov_b32_e32 v4, s56
	s_and_saveexec_b64 s[54:55], s[52:53]
	s_cbranch_execnz .LBB73_741
	s_branch .LBB73_742
.LBB73_977:
	s_mov_b64 s[56:57], -1
                                        ; implicit-def: $vgpr4
	s_mov_b64 s[0:1], 0
.LBB73_978:
	s_and_b64 vcc, exec, s[58:59]
	s_cbranch_vccz .LBB73_982
; %bb.979:
	v_mov_b32_e32 v4, 44
	v_cmp_eq_u16_sdwa s[56:57], v7, v4 src0_sel:BYTE_0 src1_sel:DWORD
	s_and_b64 vcc, exec, s[56:57]
	s_cbranch_vccz .LBB73_981
; %bb.980:
	global_load_ubyte v4, v[2:3], off
	s_movk_i32 s56, 0xff
	v_mov_b32_e32 v5, 0x7f800001
	v_mov_b32_e32 v10, 0x400000
	s_mov_b64 s[0:1], -1
	s_waitcnt vmcnt(0)
	v_lshlrev_b32_e32 v11, 23, v4
	v_cmp_ne_u32_e32 vcc, s56, v4
	v_cndmask_b32_e32 v5, v5, v11, vcc
	v_cmp_ne_u32_e32 vcc, 0, v4
	v_cndmask_b32_e32 v4, v10, v5, vcc
	s_mov_b64 s[56:57], 0
	s_branch .LBB73_982
.LBB73_981:
	s_mov_b64 s[56:57], -1
                                        ; implicit-def: $vgpr4
.LBB73_982:
	s_mov_b64 s[58:59], 0
.LBB73_983:
	s_and_b64 vcc, exec, s[58:59]
	s_cbranch_vccz .LBB73_987
; %bb.984:
	v_mov_b32_e32 v4, 29
	v_cmp_eq_u16_sdwa s[56:57], v7, v4 src0_sel:BYTE_0 src1_sel:DWORD
	s_and_b64 vcc, exec, s[56:57]
	s_cbranch_vccz .LBB73_986
; %bb.985:
	global_load_dwordx2 v[4:5], v[2:3], off
	s_mov_b64 s[0:1], -1
	s_mov_b64 s[56:57], 0
	s_mov_b64 s[58:59], 0
	s_waitcnt vmcnt(0)
	v_ffbh_u32_e32 v10, v5
	v_min_u32_e32 v10, 32, v10
	v_lshlrev_b64 v[4:5], v10, v[4:5]
	v_min_u32_e32 v4, 1, v4
	v_or_b32_e32 v4, v5, v4
	v_cvt_f32_u32_e32 v4, v4
	v_sub_u32_e32 v5, 32, v10
	v_ldexp_f32 v4, v4, v5
	s_branch .LBB73_988
.LBB73_986:
	s_mov_b64 s[56:57], -1
                                        ; implicit-def: $vgpr4
.LBB73_987:
	s_mov_b64 s[58:59], 0
.LBB73_988:
	s_and_b64 vcc, exec, s[58:59]
	s_cbranch_vccz .LBB73_1006
; %bb.989:
	v_mov_b32_e32 v4, 27
	v_cmp_lt_i16_sdwa s[0:1], v7, v4 src0_sel:BYTE_0 src1_sel:DWORD
	s_and_b64 vcc, exec, s[0:1]
	s_cbranch_vccnz .LBB73_992
; %bb.990:
	v_cmp_gt_i16_sdwa s[0:1], v7, v4 src0_sel:BYTE_0 src1_sel:DWORD
	s_and_b64 vcc, exec, s[0:1]
	s_cbranch_vccz .LBB73_993
; %bb.991:
	global_load_dword v4, v[2:3], off
	s_mov_b64 s[0:1], 0
	s_waitcnt vmcnt(0)
	v_cvt_f32_u32_e32 v4, v4
	s_branch .LBB73_994
.LBB73_992:
	s_mov_b64 s[0:1], -1
                                        ; implicit-def: $vgpr4
	s_branch .LBB73_997
.LBB73_993:
	s_mov_b64 s[0:1], -1
                                        ; implicit-def: $vgpr4
.LBB73_994:
	s_andn2_b64 vcc, exec, s[0:1]
	s_cbranch_vccnz .LBB73_996
; %bb.995:
	global_load_ushort v4, v[2:3], off
	s_waitcnt vmcnt(0)
	v_cvt_f32_u32_e32 v4, v4
.LBB73_996:
	s_mov_b64 s[0:1], 0
.LBB73_997:
	s_andn2_b64 vcc, exec, s[0:1]
	s_cbranch_vccnz .LBB73_1005
; %bb.998:
	global_load_ubyte v5, v[2:3], off
	s_movk_i32 s0, 0x7f
                                        ; implicit-def: $sgpr62
	s_waitcnt vmcnt(0)
	v_cmp_lt_i16_e32 vcc, s0, v5
	s_mov_b64 s[0:1], 0
	s_and_saveexec_b64 s[58:59], vcc
	s_xor_b64 s[58:59], exec, s[58:59]
	s_cbranch_execz .LBB73_1019
; %bb.999:
	s_movk_i32 s0, 0x80
	v_cmp_eq_u16_e32 vcc, s0, v5
	s_mov_b64 s[0:1], -1
                                        ; implicit-def: $sgpr62
	s_and_saveexec_b64 s[60:61], vcc
; %bb.1000:
	s_mov_b32 s62, 0x7f800001
	s_xor_b64 s[0:1], exec, -1
; %bb.1001:
	s_or_b64 exec, exec, s[60:61]
	s_and_b64 s[0:1], s[0:1], exec
	s_or_saveexec_b64 s[58:59], s[58:59]
	v_mov_b32_e32 v4, s62
	s_xor_b64 exec, exec, s[58:59]
	s_cbranch_execnz .LBB73_1020
.LBB73_1002:
	s_or_b64 exec, exec, s[58:59]
	s_and_saveexec_b64 s[58:59], s[0:1]
	s_cbranch_execz .LBB73_1004
.LBB73_1003:
	v_lshlrev_b32_e32 v4, 24, v5
	v_and_b32_e32 v5, 0xffff, v5
	v_and_b32_e32 v10, 7, v5
	v_ffbh_u32_e32 v12, v10
	v_min_u32_e32 v12, 32, v12
	v_subrev_u32_e32 v13, 28, v12
	v_bfe_u32 v11, v5, 3, 4
	v_lshlrev_b32_e32 v5, v13, v5
	v_sub_u32_e32 v12, 29, v12
	v_and_b32_e32 v5, 7, v5
	v_cmp_eq_u32_e32 vcc, 0, v11
	v_cndmask_b32_e32 v11, v11, v12, vcc
	v_cndmask_b32_e32 v5, v10, v5, vcc
	v_mov_b32_e32 v10, 0x3b800000
	v_lshlrev_b32_e32 v5, 20, v5
	v_and_b32_e32 v4, 0x80000000, v4
	v_lshl_add_u32 v10, v11, 23, v10
	v_or3_b32 v4, v4, v10, v5
.LBB73_1004:
	s_or_b64 exec, exec, s[58:59]
.LBB73_1005:
	s_mov_b64 s[0:1], -1
.LBB73_1006:
	s_mov_b64 s[58:59], 0
.LBB73_1007:
	s_and_b64 vcc, exec, s[58:59]
	s_cbranch_vccz .LBB73_1042
; %bb.1008:
	v_mov_b32_e32 v4, 22
	v_cmp_gt_i16_sdwa s[58:59], v7, v4 src0_sel:BYTE_0 src1_sel:DWORD
	s_and_b64 vcc, exec, s[58:59]
	s_cbranch_vccz .LBB73_1018
; %bb.1009:
	v_mov_b32_e32 v4, 24
	v_cmp_lt_i16_sdwa s[0:1], v7, v4 src0_sel:BYTE_0 src1_sel:DWORD
	s_and_b64 vcc, exec, s[0:1]
	s_cbranch_vccnz .LBB73_1021
; %bb.1010:
	v_cmp_gt_i16_sdwa s[0:1], v7, v4 src0_sel:BYTE_0 src1_sel:DWORD
	s_and_b64 vcc, exec, s[0:1]
	s_cbranch_vccz .LBB73_1022
; %bb.1011:
	global_load_ubyte v5, v[2:3], off
	s_movk_i32 s0, 0x7f
                                        ; implicit-def: $sgpr62
	s_waitcnt vmcnt(0)
	v_cmp_lt_i16_e32 vcc, s0, v5
	s_mov_b64 s[0:1], 0
	s_and_saveexec_b64 s[58:59], vcc
	s_xor_b64 s[58:59], exec, s[58:59]
	s_cbranch_execz .LBB73_1034
; %bb.1012:
	s_movk_i32 s0, 0x80
	v_cmp_eq_u16_e32 vcc, s0, v5
	s_mov_b64 s[0:1], -1
                                        ; implicit-def: $sgpr62
	s_and_saveexec_b64 s[60:61], vcc
; %bb.1013:
	s_mov_b32 s62, 0x7f800001
	s_xor_b64 s[0:1], exec, -1
; %bb.1014:
	s_or_b64 exec, exec, s[60:61]
	s_and_b64 s[0:1], s[0:1], exec
	s_or_saveexec_b64 s[58:59], s[58:59]
	v_mov_b32_e32 v4, s62
	s_xor_b64 exec, exec, s[58:59]
	s_cbranch_execnz .LBB73_1035
.LBB73_1015:
	s_or_b64 exec, exec, s[58:59]
	s_and_saveexec_b64 s[58:59], s[0:1]
	s_cbranch_execz .LBB73_1017
.LBB73_1016:
	v_lshlrev_b32_e32 v4, 24, v5
	v_and_b32_e32 v5, 0xffff, v5
	v_and_b32_e32 v10, 3, v5
	v_ffbh_u32_e32 v12, v10
	v_min_u32_e32 v12, 32, v12
	v_subrev_u32_e32 v13, 29, v12
	v_bfe_u32 v11, v5, 2, 5
	v_lshlrev_b32_e32 v5, v13, v5
	v_sub_u32_e32 v12, 30, v12
	v_and_b32_e32 v5, 3, v5
	v_cmp_eq_u32_e32 vcc, 0, v11
	v_cndmask_b32_e32 v11, v11, v12, vcc
	v_cndmask_b32_e32 v5, v10, v5, vcc
	v_mov_b32_e32 v10, 0x37800000
	v_lshlrev_b32_e32 v5, 21, v5
	v_and_b32_e32 v4, 0x80000000, v4
	v_lshl_add_u32 v10, v11, 23, v10
	v_or3_b32 v4, v4, v10, v5
.LBB73_1017:
	s_or_b64 exec, exec, s[58:59]
	s_mov_b64 s[0:1], 0
	s_branch .LBB73_1023
.LBB73_1018:
	s_mov_b64 s[58:59], -1
                                        ; implicit-def: $vgpr4
	s_branch .LBB73_1029
.LBB73_1019:
	s_or_saveexec_b64 s[58:59], s[58:59]
	v_mov_b32_e32 v4, s62
	s_xor_b64 exec, exec, s[58:59]
	s_cbranch_execz .LBB73_1002
.LBB73_1020:
	v_cmp_ne_u16_e32 vcc, 0, v5
	s_andn2_b64 s[0:1], s[0:1], exec
	s_and_b64 s[60:61], vcc, exec
	v_mov_b32_e32 v4, 0
	s_or_b64 s[0:1], s[0:1], s[60:61]
	s_or_b64 exec, exec, s[58:59]
	s_and_saveexec_b64 s[58:59], s[0:1]
	s_cbranch_execnz .LBB73_1003
	s_branch .LBB73_1004
.LBB73_1021:
	s_mov_b64 s[0:1], -1
                                        ; implicit-def: $vgpr4
	s_branch .LBB73_1026
.LBB73_1022:
	s_mov_b64 s[0:1], -1
                                        ; implicit-def: $vgpr4
.LBB73_1023:
	s_and_b64 vcc, exec, s[0:1]
	s_cbranch_vccz .LBB73_1025
; %bb.1024:
	global_load_ubyte v4, v[2:3], off
	s_mov_b32 s0, 0x7f800000
	s_waitcnt vmcnt(0)
	v_lshlrev_b32_e32 v4, 24, v4
	v_and_b32_e32 v5, 0x7f000000, v4
	v_ffbh_u32_e32 v10, v5
	v_min_u32_e32 v10, 32, v10
	v_sub_u32_e64 v10, v10, 4 clamp
	v_lshlrev_b32_e32 v12, v10, v5
	v_lshlrev_b32_e32 v10, 23, v10
	v_lshrrev_b32_e32 v12, 4, v12
	v_add_u32_e32 v11, 0x1000000, v5
	v_sub_u32_e32 v10, v12, v10
	v_ashrrev_i32_e32 v11, 8, v11
	v_add_u32_e32 v10, 0x3c000000, v10
	v_and_or_b32 v10, v11, s0, v10
	v_cmp_ne_u32_e32 vcc, 0, v5
	v_cndmask_b32_e32 v5, 0, v10, vcc
	s_brev_b32 s0, 1
	v_and_or_b32 v4, v4, s0, v5
.LBB73_1025:
	s_mov_b64 s[0:1], 0
.LBB73_1026:
	s_andn2_b64 vcc, exec, s[0:1]
	s_cbranch_vccnz .LBB73_1028
; %bb.1027:
	global_load_ubyte v4, v[2:3], off
	s_movk_i32 s0, 0x7f00
	s_brev_b32 s1, 16
	s_waitcnt vmcnt(0)
	v_lshlrev_b16_e32 v5, 8, v4
	v_lshlrev_b32_e32 v4, 25, v4
	v_lshrrev_b32_e32 v10, 4, v4
	v_and_or_b32 v11, v5, s0, 0.5
	v_or_b32_e32 v10, 0x70000000, v10
	v_add_f32_e32 v11, -0.5, v11
	v_mul_f32_e32 v10, 0x7800000, v10
	v_cmp_gt_u32_e32 vcc, s1, v4
	v_bfe_i32 v5, v5, 0, 16
	v_cndmask_b32_e32 v4, v10, v11, vcc
	s_brev_b32 s0, 1
	v_and_or_b32 v4, v5, s0, v4
.LBB73_1028:
	s_mov_b64 s[58:59], 0
	s_mov_b64 s[0:1], -1
.LBB73_1029:
	s_andn2_b64 vcc, exec, s[58:59]
	s_cbranch_vccnz .LBB73_1042
; %bb.1030:
	v_mov_b32_e32 v4, 14
	v_cmp_gt_i16_sdwa s[58:59], v7, v4 src0_sel:BYTE_0 src1_sel:DWORD
	s_and_b64 vcc, exec, s[58:59]
	s_cbranch_vccz .LBB73_1033
; %bb.1031:
	v_mov_b32_e32 v4, 15
	v_cmp_eq_u16_sdwa s[56:57], v7, v4 src0_sel:BYTE_0 src1_sel:DWORD
	s_and_b64 vcc, exec, s[56:57]
	s_cbranch_vccz .LBB73_1036
; %bb.1032:
	global_load_ushort v4, v[2:3], off
	s_mov_b64 s[0:1], -1
	s_mov_b64 s[56:57], 0
	s_waitcnt vmcnt(0)
	v_lshlrev_b32_e32 v4, 16, v4
	s_branch .LBB73_1037
.LBB73_1033:
	s_mov_b64 s[58:59], -1
                                        ; implicit-def: $vgpr4
	s_branch .LBB73_1038
.LBB73_1034:
	s_or_saveexec_b64 s[58:59], s[58:59]
	v_mov_b32_e32 v4, s62
	s_xor_b64 exec, exec, s[58:59]
	s_cbranch_execz .LBB73_1015
.LBB73_1035:
	v_cmp_ne_u16_e32 vcc, 0, v5
	s_andn2_b64 s[0:1], s[0:1], exec
	s_and_b64 s[60:61], vcc, exec
	v_mov_b32_e32 v4, 0
	s_or_b64 s[0:1], s[0:1], s[60:61]
	s_or_b64 exec, exec, s[58:59]
	s_and_saveexec_b64 s[58:59], s[0:1]
	s_cbranch_execnz .LBB73_1016
	s_branch .LBB73_1017
.LBB73_1036:
	s_mov_b64 s[56:57], -1
                                        ; implicit-def: $vgpr4
.LBB73_1037:
	s_mov_b64 s[58:59], 0
.LBB73_1038:
	s_and_b64 vcc, exec, s[58:59]
	s_cbranch_vccz .LBB73_1042
; %bb.1039:
	v_mov_b32_e32 v4, 11
	v_cmp_eq_u16_sdwa s[56:57], v7, v4 src0_sel:BYTE_0 src1_sel:DWORD
	s_and_b64 vcc, exec, s[56:57]
	s_cbranch_vccz .LBB73_1041
; %bb.1040:
	global_load_ubyte v4, v[2:3], off
	s_mov_b64 s[0:1], -1
	s_mov_b64 s[56:57], 0
	s_waitcnt vmcnt(0)
	v_cmp_ne_u16_e32 vcc, 0, v4
	v_cndmask_b32_e64 v4, 0, 1.0, vcc
	s_branch .LBB73_1042
.LBB73_1041:
	s_mov_b64 s[56:57], -1
                                        ; implicit-def: $vgpr4
.LBB73_1042:
	s_mov_b64 s[58:59], 0
.LBB73_1043:
	s_and_b64 vcc, exec, s[58:59]
	s_cbranch_vccz .LBB73_1092
; %bb.1044:
	v_mov_b32_e32 v4, 5
	v_cmp_lt_i16_sdwa s[0:1], v7, v4 src0_sel:BYTE_0 src1_sel:DWORD
	s_and_b64 vcc, exec, s[0:1]
	s_cbranch_vccnz .LBB73_1049
; %bb.1045:
	v_mov_b32_e32 v4, 8
	v_cmp_lt_i16_sdwa s[0:1], v7, v4 src0_sel:BYTE_0 src1_sel:DWORD
	s_and_b64 vcc, exec, s[0:1]
	s_cbranch_vccnz .LBB73_1050
	;; [unrolled: 5-line block ×3, first 2 shown]
; %bb.1047:
	v_cmp_gt_i16_sdwa s[0:1], v7, v4 src0_sel:BYTE_0 src1_sel:DWORD
	s_and_b64 vcc, exec, s[0:1]
	s_cbranch_vccz .LBB73_1052
; %bb.1048:
	global_load_dwordx2 v[4:5], v[2:3], off
	s_mov_b64 s[0:1], 0
	s_waitcnt vmcnt(0)
	v_cvt_f32_f64_e32 v4, v[4:5]
	s_branch .LBB73_1053
.LBB73_1049:
	s_mov_b64 s[0:1], -1
                                        ; implicit-def: $vgpr4
	s_branch .LBB73_1071
.LBB73_1050:
	s_mov_b64 s[0:1], -1
                                        ; implicit-def: $vgpr4
	s_branch .LBB73_1059
.LBB73_1051:
	s_mov_b64 s[0:1], -1
                                        ; implicit-def: $vgpr4
	s_branch .LBB73_1056
.LBB73_1052:
	s_mov_b64 s[0:1], -1
                                        ; implicit-def: $vgpr4
.LBB73_1053:
	s_andn2_b64 vcc, exec, s[0:1]
	s_cbranch_vccnz .LBB73_1055
; %bb.1054:
	global_load_dword v4, v[2:3], off
.LBB73_1055:
	s_mov_b64 s[0:1], 0
.LBB73_1056:
	s_andn2_b64 vcc, exec, s[0:1]
	s_cbranch_vccnz .LBB73_1058
; %bb.1057:
	global_load_dword v4, v[2:3], off
	s_waitcnt vmcnt(0)
	v_cvt_f32_f16_e32 v4, v4
.LBB73_1058:
	s_mov_b64 s[0:1], 0
.LBB73_1059:
	s_andn2_b64 vcc, exec, s[0:1]
	s_cbranch_vccnz .LBB73_1070
; %bb.1060:
	s_waitcnt vmcnt(0)
	v_mov_b32_e32 v4, 6
	v_cmp_lt_i16_sdwa s[0:1], v7, v4 src0_sel:BYTE_0 src1_sel:DWORD
	s_and_b64 vcc, exec, s[0:1]
	s_cbranch_vccnz .LBB73_1063
; %bb.1061:
	v_cmp_gt_i16_sdwa s[0:1], v7, v4 src0_sel:BYTE_0 src1_sel:DWORD
	s_and_b64 vcc, exec, s[0:1]
	s_cbranch_vccz .LBB73_1064
; %bb.1062:
	global_load_dwordx2 v[4:5], v[2:3], off
	s_mov_b64 s[0:1], 0
	s_waitcnt vmcnt(0)
	v_cvt_f32_f64_e32 v4, v[4:5]
	s_branch .LBB73_1065
.LBB73_1063:
	s_mov_b64 s[0:1], -1
                                        ; implicit-def: $vgpr4
	s_branch .LBB73_1068
.LBB73_1064:
	s_mov_b64 s[0:1], -1
                                        ; implicit-def: $vgpr4
.LBB73_1065:
	s_andn2_b64 vcc, exec, s[0:1]
	s_cbranch_vccnz .LBB73_1067
; %bb.1066:
	global_load_dword v4, v[2:3], off
.LBB73_1067:
	s_mov_b64 s[0:1], 0
.LBB73_1068:
	s_andn2_b64 vcc, exec, s[0:1]
	s_cbranch_vccnz .LBB73_1070
; %bb.1069:
	global_load_ushort v4, v[2:3], off
	s_waitcnt vmcnt(0)
	v_cvt_f32_f16_e32 v4, v4
.LBB73_1070:
	s_mov_b64 s[0:1], 0
.LBB73_1071:
	s_andn2_b64 vcc, exec, s[0:1]
	s_cbranch_vccnz .LBB73_1091
; %bb.1072:
	s_waitcnt vmcnt(0)
	v_mov_b32_e32 v4, 2
	v_cmp_lt_i16_sdwa s[0:1], v7, v4 src0_sel:BYTE_0 src1_sel:DWORD
	s_and_b64 vcc, exec, s[0:1]
	s_cbranch_vccnz .LBB73_1076
; %bb.1073:
	v_mov_b32_e32 v4, 3
	v_cmp_lt_i16_sdwa s[0:1], v7, v4 src0_sel:BYTE_0 src1_sel:DWORD
	s_and_b64 vcc, exec, s[0:1]
	s_cbranch_vccnz .LBB73_1077
; %bb.1074:
	v_cmp_gt_i16_sdwa s[0:1], v7, v4 src0_sel:BYTE_0 src1_sel:DWORD
	s_and_b64 vcc, exec, s[0:1]
	s_cbranch_vccz .LBB73_1078
; %bb.1075:
	global_load_dwordx2 v[4:5], v[2:3], off
	s_mov_b64 s[0:1], 0
	s_waitcnt vmcnt(0)
	v_xor_b32_e32 v11, v4, v5
	v_ffbh_i32_e32 v10, v5
	v_ashrrev_i32_e32 v11, 31, v11
	v_add_u32_e32 v10, -1, v10
	v_add_u32_e32 v11, 32, v11
	v_min_u32_e32 v10, v10, v11
	v_lshlrev_b64 v[4:5], v10, v[4:5]
	v_min_u32_e32 v4, 1, v4
	v_or_b32_e32 v4, v5, v4
	v_cvt_f32_i32_e32 v4, v4
	v_sub_u32_e32 v5, 32, v10
	v_ldexp_f32 v4, v4, v5
	s_branch .LBB73_1079
.LBB73_1076:
	s_mov_b64 s[0:1], -1
                                        ; implicit-def: $vgpr4
	s_branch .LBB73_1085
.LBB73_1077:
	s_mov_b64 s[0:1], -1
                                        ; implicit-def: $vgpr4
	s_branch .LBB73_1082
.LBB73_1078:
	s_mov_b64 s[0:1], -1
                                        ; implicit-def: $vgpr4
.LBB73_1079:
	s_andn2_b64 vcc, exec, s[0:1]
	s_cbranch_vccnz .LBB73_1081
; %bb.1080:
	global_load_dword v4, v[2:3], off
	s_waitcnt vmcnt(0)
	v_cvt_f32_i32_e32 v4, v4
.LBB73_1081:
	s_mov_b64 s[0:1], 0
.LBB73_1082:
	s_andn2_b64 vcc, exec, s[0:1]
	s_cbranch_vccnz .LBB73_1084
; %bb.1083:
	global_load_sshort v4, v[2:3], off
	s_waitcnt vmcnt(0)
	v_cvt_f32_i32_e32 v4, v4
.LBB73_1084:
	s_mov_b64 s[0:1], 0
.LBB73_1085:
	s_andn2_b64 vcc, exec, s[0:1]
	s_cbranch_vccnz .LBB73_1091
; %bb.1086:
	v_mov_b32_e32 v4, 0
	v_cmp_gt_i16_sdwa s[0:1], v7, v4 src0_sel:BYTE_0 src1_sel:DWORD
	s_and_b64 vcc, exec, s[0:1]
	s_cbranch_vccz .LBB73_1088
; %bb.1087:
	global_load_sbyte v4, v[2:3], off
	s_mov_b64 s[0:1], 0
	s_waitcnt vmcnt(0)
	v_cvt_f32_i32_e32 v4, v4
	s_branch .LBB73_1089
.LBB73_1088:
	s_mov_b64 s[0:1], -1
                                        ; implicit-def: $vgpr4
.LBB73_1089:
	s_andn2_b64 vcc, exec, s[0:1]
	s_cbranch_vccnz .LBB73_1091
; %bb.1090:
	global_load_ubyte v2, v[2:3], off
	s_waitcnt vmcnt(0)
	v_cvt_f32_ubyte0_e32 v4, v2
.LBB73_1091:
	s_mov_b64 s[0:1], -1
.LBB73_1092:
	s_andn2_b64 vcc, exec, s[0:1]
	s_cbranch_vccnz .LBB73_1112
; %bb.1093:
	s_waitcnt vmcnt(0)
	v_trunc_f32_e32 v2, v4
	s_mov_b32 s0, 0x2f800000
	v_mul_f32_e64 v3, |v2|, s0
	v_floor_f32_e32 v3, v3
	s_mov_b32 s0, 0xcf800000
	v_cvt_u32_f32_e32 v4, v3
	v_fma_f32 v3, v3, s0, |v2|
	v_cvt_u32_f32_e32 v3, v3
	v_ashrrev_i32_e32 v2, 31, v2
	v_xor_b32_e32 v5, v4, v2
	v_xor_b32_e32 v3, v3, v2
	v_sub_co_u32_e32 v4, vcc, v3, v2
	v_subb_co_u32_e32 v5, vcc, v5, v2, vcc
	v_cmp_lt_i64_e32 vcc, -1, v[4:5]
	v_mov_b32_e32 v2, 0
	s_and_saveexec_b64 s[0:1], vcc
	s_cbranch_execz .LBB73_1105
; %bb.1094:
	v_cmp_lt_i64_e32 vcc, 0, v[4:5]
	v_mov_b32_e32 v2, 1.0
	s_and_saveexec_b64 s[58:59], vcc
	s_cbranch_execz .LBB73_1104
; %bb.1095:
	v_cmp_ne_u64_e32 vcc, 1, v[4:5]
                                        ; implicit-def: $vgpr2
	s_and_saveexec_b64 s[60:61], vcc
	s_xor_b64 s[60:61], exec, s[60:61]
	s_cbranch_execz .LBB73_1101
; %bb.1096:
	s_mov_b64 s[62:63], 0x81
	v_cmp_gt_u64_e32 vcc, s[62:63], v[4:5]
	v_mov_b32_e32 v2, 0x7fc00000
	s_and_saveexec_b64 s[62:63], vcc
	s_cbranch_execz .LBB73_1100
; %bb.1097:
	s_mov_b64 s[66:67], 1
	s_mov_b64 s[64:65], 0
	v_mov_b32_e32 v3, 1.0
	v_mov_b32_e32 v2, v1
.LBB73_1098:                            ; =>This Inner Loop Header: Depth=1
	s_flbit_i32_b32 s71, s67
	s_min_u32 s71, s71, 32
	s_lshl_b64 s[72:73], s[66:67], s71
	s_min_u32 s72, s72, 1
	s_or_b32 s72, s73, s72
	v_cvt_f32_u32_e32 v10, s72
	s_sub_i32 s71, 32, s71
	s_add_u32 s66, s66, 1
	s_addc_u32 s67, s67, 0
	v_ldexp_f32 v10, v10, s71
	v_cmp_eq_u64_e32 vcc, s[66:67], v[4:5]
	v_mul_f32_e32 v10, v3, v10
	s_or_b64 s[64:65], vcc, s[64:65]
	v_mov_b32_e32 v3, v2
	v_fma_f32 v2, v1, v2, -v10
	s_andn2_b64 exec, exec, s[64:65]
	s_cbranch_execnz .LBB73_1098
; %bb.1099:
	s_or_b64 exec, exec, s[64:65]
.LBB73_1100:
	s_or_b64 exec, exec, s[62:63]
                                        ; implicit-def: $vgpr1
.LBB73_1101:
	s_andn2_saveexec_b64 s[60:61], s[60:61]
; %bb.1102:
	v_mov_b32_e32 v2, v1
; %bb.1103:
	s_or_b64 exec, exec, s[60:61]
.LBB73_1104:
	s_or_b64 exec, exec, s[58:59]
.LBB73_1105:
	s_or_b64 exec, exec, s[0:1]
	v_mov_b32_e32 v1, s9
	v_add_co_u32_e32 v0, vcc, s8, v0
	v_mov_b32_e32 v3, 11
	v_addc_co_u32_e32 v1, vcc, 0, v1, vcc
	v_cmp_lt_i16_sdwa s[0:1], v6, v3 src0_sel:BYTE_0 src1_sel:DWORD
	s_and_b64 vcc, exec, s[0:1]
	s_cbranch_vccnz .LBB73_1113
; %bb.1106:
	v_mov_b32_e32 v3, 25
	v_cmp_gt_i16_sdwa s[0:1], v6, v3 src0_sel:BYTE_0 src1_sel:DWORD
	s_and_b64 vcc, exec, s[0:1]
	s_cbranch_vccz .LBB73_1114
; %bb.1107:
	v_mov_b32_e32 v3, 28
	v_cmp_gt_i16_sdwa s[0:1], v6, v3 src0_sel:BYTE_0 src1_sel:DWORD
	s_and_b64 vcc, exec, s[0:1]
	s_cbranch_vccz .LBB73_1115
	;; [unrolled: 5-line block ×4, first 2 shown]
; %bb.1110:
	v_mov_b32_e32 v3, 46
	v_cmp_eq_u16_sdwa s[58:59], v6, v3 src0_sel:BYTE_0 src1_sel:DWORD
	s_mov_b64 s[60:61], 0
	s_mov_b64 s[0:1], -1
	s_and_b64 vcc, exec, s[58:59]
	s_mov_b64 s[58:59], 0
	s_cbranch_vccz .LBB73_1118
; %bb.1111:
	v_bfe_u32 v3, v2, 16, 1
	s_movk_i32 s0, 0x7fff
	v_add3_u32 v3, v2, v3, s0
	v_lshrrev_b32_e32 v3, 16, v3
	v_mov_b32_e32 v4, 0x7fc0
	v_cmp_o_f32_e32 vcc, v2, v2
	v_cndmask_b32_e32 v3, v4, v3, vcc
	global_store_dword v[0:1], v3, off
	s_mov_b64 s[58:59], -1
	s_mov_b64 s[0:1], 0
	s_branch .LBB73_1118
.LBB73_1112:
	s_mov_b64 s[60:61], 0
                                        ; implicit-def: $vgpr9
	s_mov_b64 s[0:1], s[48:49]
	s_branch .LBB73_1228
.LBB73_1113:
	s_mov_b64 s[60:61], -1
	s_mov_b64 s[58:59], 0
	s_mov_b64 s[0:1], s[48:49]
	s_branch .LBB73_1187
.LBB73_1114:
	s_mov_b64 s[60:61], -1
	s_mov_b64 s[58:59], 0
	s_mov_b64 s[0:1], s[48:49]
	s_branch .LBB73_1145
.LBB73_1115:
	s_mov_b64 s[60:61], -1
	s_mov_b64 s[58:59], 0
	s_mov_b64 s[0:1], s[48:49]
	s_branch .LBB73_1128
.LBB73_1116:
	s_mov_b64 s[60:61], -1
	s_mov_b64 s[58:59], 0
	s_mov_b64 s[0:1], s[48:49]
	s_branch .LBB73_1124
.LBB73_1117:
	s_mov_b64 s[60:61], -1
	s_mov_b64 s[58:59], 0
	s_mov_b64 s[0:1], s[48:49]
.LBB73_1118:
	s_and_b64 vcc, exec, s[60:61]
	s_cbranch_vccz .LBB73_1123
; %bb.1119:
	v_mov_b32_e32 v3, 44
	v_cmp_eq_u16_sdwa s[60:61], v6, v3 src0_sel:BYTE_0 src1_sel:DWORD
	s_mov_b64 s[0:1], -1
	s_and_b64 vcc, exec, s[60:61]
	s_cbranch_vccz .LBB73_1123
; %bb.1120:
	v_bfe_u32 v3, v2, 23, 8
	s_movk_i32 s0, 0xff
	v_cmp_ne_u32_e32 vcc, s0, v3
	v_mov_b32_e32 v4, 0xff
	s_and_saveexec_b64 s[58:59], vcc
; %bb.1121:
	s_mov_b32 s0, 0x3fffff
	v_and_b32_e32 v5, 0x400000, v2
	v_and_or_b32 v3, v2, s0, v3
	v_cmp_ne_u32_e32 vcc, 0, v5
	v_cmp_ne_u32_e64 s[0:1], 0, v3
	s_and_b64 s[0:1], vcc, s[0:1]
	v_lshrrev_b32_e32 v4, 23, v2
	v_cndmask_b32_e64 v3, 0, 1, s[0:1]
	v_add_u32_e32 v4, v4, v3
; %bb.1122:
	s_or_b64 exec, exec, s[58:59]
	s_mov_b64 s[58:59], -1
	s_mov_b64 s[0:1], 0
	global_store_byte v[0:1], v4, off
.LBB73_1123:
	s_mov_b64 s[60:61], 0
.LBB73_1124:
	s_and_b64 vcc, exec, s[60:61]
	s_cbranch_vccz .LBB73_1127
; %bb.1125:
	v_mov_b32_e32 v3, 29
	v_cmp_eq_u16_sdwa s[60:61], v6, v3 src0_sel:BYTE_0 src1_sel:DWORD
	s_mov_b64 s[0:1], -1
	s_and_b64 vcc, exec, s[60:61]
	s_cbranch_vccz .LBB73_1127
; %bb.1126:
	v_trunc_f32_e32 v3, v2
	v_mul_f32_e32 v4, 0x2f800000, v3
	v_floor_f32_e32 v4, v4
	v_fmac_f32_e32 v3, 0xcf800000, v4
	v_cvt_u32_f32_e32 v5, v4
	v_cvt_u32_f32_e32 v4, v3
	s_mov_b64 s[58:59], -1
	s_mov_b64 s[0:1], 0
	s_mov_b64 s[60:61], 0
	global_store_dwordx2 v[0:1], v[4:5], off
	s_branch .LBB73_1128
.LBB73_1127:
	s_mov_b64 s[60:61], 0
.LBB73_1128:
	s_and_b64 vcc, exec, s[60:61]
	s_cbranch_vccz .LBB73_1144
; %bb.1129:
	v_mov_b32_e32 v3, 27
	v_cmp_lt_i16_sdwa s[60:61], v6, v3 src0_sel:BYTE_0 src1_sel:DWORD
	s_mov_b64 s[58:59], -1
	s_and_b64 vcc, exec, s[60:61]
	s_cbranch_vccnz .LBB73_1135
; %bb.1130:
	v_cmp_gt_i16_sdwa s[60:61], v6, v3 src0_sel:BYTE_0 src1_sel:DWORD
	s_and_b64 vcc, exec, s[60:61]
	s_cbranch_vccz .LBB73_1132
; %bb.1131:
	v_cvt_u32_f32_e32 v3, v2
	s_mov_b64 s[58:59], 0
	global_store_dword v[0:1], v3, off
.LBB73_1132:
	s_andn2_b64 vcc, exec, s[58:59]
	s_cbranch_vccnz .LBB73_1134
; %bb.1133:
	v_cvt_u32_f32_e32 v3, v2
	global_store_short v[0:1], v3, off
.LBB73_1134:
	s_mov_b64 s[58:59], 0
.LBB73_1135:
	s_andn2_b64 vcc, exec, s[58:59]
	s_cbranch_vccnz .LBB73_1143
; %bb.1136:
	v_and_b32_e32 v3, 0x7fffffff, v2
	s_mov_b32 s58, 0x43800000
	v_cmp_gt_u32_e32 vcc, s58, v3
	v_mov_b32_e32 v4, 0x80
	s_and_saveexec_b64 s[58:59], vcc
	s_cbranch_execz .LBB73_1142
; %bb.1137:
	s_mov_b32 s60, 0x3bffffff
	v_cmp_lt_u32_e32 vcc, s60, v3
	s_mov_b64 s[60:61], 0
                                        ; implicit-def: $vgpr3
	s_and_saveexec_b64 s[62:63], vcc
	s_xor_b64 s[62:63], exec, s[62:63]
	s_cbranch_execz .LBB73_1255
; %bb.1138:
	v_bfe_u32 v3, v2, 20, 1
	s_mov_b32 s64, 0x487ffff
	v_add3_u32 v3, v2, v3, s64
	s_mov_b64 s[60:61], exec
	v_lshrrev_b32_e32 v3, 20, v3
	s_or_saveexec_b64 s[62:63], s[62:63]
                                        ; implicit-def: $sgpr64
	s_xor_b64 exec, exec, s[62:63]
	s_cbranch_execnz .LBB73_1256
.LBB73_1139:
	s_or_b64 exec, exec, s[62:63]
	v_mov_b32_e32 v4, s64
	s_and_saveexec_b64 s[62:63], s[60:61]
.LBB73_1140:
	v_lshrrev_b32_e32 v4, 24, v2
	s_movk_i32 s60, 0x80
	v_and_or_b32 v4, v4, s60, v3
.LBB73_1141:
	s_or_b64 exec, exec, s[62:63]
.LBB73_1142:
	s_or_b64 exec, exec, s[58:59]
	global_store_byte v[0:1], v4, off
.LBB73_1143:
	s_mov_b64 s[58:59], -1
.LBB73_1144:
	s_mov_b64 s[60:61], 0
.LBB73_1145:
	s_and_b64 vcc, exec, s[60:61]
	s_cbranch_vccz .LBB73_1186
; %bb.1146:
	v_mov_b32_e32 v3, 22
	v_cmp_gt_i16_sdwa s[62:63], v6, v3 src0_sel:BYTE_0 src1_sel:DWORD
	s_mov_b64 s[60:61], -1
	s_and_b64 vcc, exec, s[62:63]
	s_cbranch_vccz .LBB73_1178
; %bb.1147:
	v_mov_b32_e32 v3, 24
	v_cmp_lt_i16_sdwa s[60:61], v6, v3 src0_sel:BYTE_0 src1_sel:DWORD
	s_mov_b64 s[58:59], -1
	s_and_b64 vcc, exec, s[60:61]
	s_cbranch_vccnz .LBB73_1167
; %bb.1148:
	v_cmp_gt_i16_sdwa s[60:61], v6, v3 src0_sel:BYTE_0 src1_sel:DWORD
	s_and_b64 vcc, exec, s[60:61]
	s_cbranch_vccz .LBB73_1156
; %bb.1149:
	v_and_b32_e32 v3, 0x7fffffff, v2
	s_mov_b32 s58, 0x47800000
	v_cmp_gt_u32_e32 vcc, s58, v3
	v_mov_b32_e32 v4, 0x80
	s_and_saveexec_b64 s[58:59], vcc
	s_cbranch_execz .LBB73_1155
; %bb.1150:
	s_mov_b32 s60, 0x37ffffff
	v_cmp_lt_u32_e32 vcc, s60, v3
	s_mov_b64 s[60:61], 0
                                        ; implicit-def: $vgpr3
	s_and_saveexec_b64 s[62:63], vcc
	s_xor_b64 s[62:63], exec, s[62:63]
	s_cbranch_execz .LBB73_2353
; %bb.1151:
	v_bfe_u32 v3, v2, 21, 1
	s_mov_b32 s64, 0x88fffff
	v_add3_u32 v3, v2, v3, s64
	s_mov_b64 s[60:61], exec
	v_lshrrev_b32_e32 v3, 21, v3
	s_or_saveexec_b64 s[62:63], s[62:63]
                                        ; implicit-def: $sgpr64
	s_xor_b64 exec, exec, s[62:63]
	s_cbranch_execnz .LBB73_2354
.LBB73_1152:
	s_or_b64 exec, exec, s[62:63]
	v_mov_b32_e32 v4, s64
	s_and_saveexec_b64 s[62:63], s[60:61]
.LBB73_1153:
	v_lshrrev_b32_e32 v4, 24, v2
	s_movk_i32 s60, 0x80
	v_and_or_b32 v4, v4, s60, v3
.LBB73_1154:
	s_or_b64 exec, exec, s[62:63]
.LBB73_1155:
	s_or_b64 exec, exec, s[58:59]
	s_mov_b64 s[58:59], 0
	global_store_byte v[0:1], v4, off
.LBB73_1156:
	s_and_b64 vcc, exec, s[58:59]
	s_cbranch_vccz .LBB73_1166
; %bb.1157:
	v_and_b32_e32 v4, 0x7fffffff, v2
	s_mov_b32 s58, 0x43f00000
	v_cmp_gt_u32_e32 vcc, s58, v4
                                        ; implicit-def: $vgpr3
	s_and_saveexec_b64 s[58:59], vcc
	s_xor_b64 s[58:59], exec, s[58:59]
	s_cbranch_execz .LBB73_1163
; %bb.1158:
	s_mov_b32 s60, 0x3c7fffff
	v_cmp_lt_u32_e32 vcc, s60, v4
                                        ; implicit-def: $vgpr3
	s_and_saveexec_b64 s[60:61], vcc
	s_xor_b64 s[60:61], exec, s[60:61]
; %bb.1159:
	v_bfe_u32 v3, v2, 20, 1
	s_mov_b32 s62, 0x407ffff
	v_add3_u32 v3, v2, v3, s62
	v_lshrrev_b32_e32 v4, 20, v3
	v_and_b32_e32 v3, 0xff00000, v3
	s_mov_b32 s62, 0x7f00000
	v_mov_b32_e32 v5, 0x7e
	v_cmp_ne_u32_e32 vcc, s62, v3
	v_cndmask_b32_e32 v3, v5, v4, vcc
; %bb.1160:
	s_andn2_saveexec_b64 s[60:61], s[60:61]
; %bb.1161:
	s_mov_b32 s62, 0x46800000
	v_add_f32_e64 v3, |v2|, s62
; %bb.1162:
	s_or_b64 exec, exec, s[60:61]
                                        ; implicit-def: $vgpr4
.LBB73_1163:
	s_andn2_saveexec_b64 s[58:59], s[58:59]
; %bb.1164:
	s_mov_b32 s60, 0x7f800000
	v_mov_b32_e32 v3, 0x7e
	v_mov_b32_e32 v5, 0x7f
	v_cmp_lt_u32_e32 vcc, s60, v4
	v_cndmask_b32_e32 v3, v3, v5, vcc
; %bb.1165:
	s_or_b64 exec, exec, s[58:59]
	v_lshrrev_b32_e32 v4, 24, v2
	s_movk_i32 s58, 0x80
	v_and_or_b32 v3, v4, s58, v3
	global_store_byte v[0:1], v3, off
.LBB73_1166:
	s_mov_b64 s[58:59], 0
.LBB73_1167:
	s_andn2_b64 vcc, exec, s[58:59]
	s_cbranch_vccnz .LBB73_1177
; %bb.1168:
	v_and_b32_e32 v4, 0x7fffffff, v2
	s_mov_b32 s58, 0x47800000
	v_cmp_gt_u32_e32 vcc, s58, v4
                                        ; implicit-def: $vgpr3
	s_and_saveexec_b64 s[58:59], vcc
	s_xor_b64 s[58:59], exec, s[58:59]
	s_cbranch_execz .LBB73_1174
; %bb.1169:
	s_mov_b32 s60, 0x387fffff
	v_cmp_lt_u32_e32 vcc, s60, v4
                                        ; implicit-def: $vgpr3
	s_and_saveexec_b64 s[60:61], vcc
	s_xor_b64 s[60:61], exec, s[60:61]
; %bb.1170:
	v_bfe_u32 v3, v2, 21, 1
	s_mov_b32 s62, 0x80fffff
	v_add3_u32 v3, v2, v3, s62
	v_lshrrev_b32_e32 v3, 21, v3
; %bb.1171:
	s_andn2_saveexec_b64 s[60:61], s[60:61]
; %bb.1172:
	s_mov_b32 s62, 0x43000000
	v_add_f32_e64 v3, |v2|, s62
; %bb.1173:
	s_or_b64 exec, exec, s[60:61]
                                        ; implicit-def: $vgpr4
.LBB73_1174:
	s_andn2_saveexec_b64 s[58:59], s[58:59]
; %bb.1175:
	s_mov_b32 s60, 0x7f800000
	v_mov_b32_e32 v3, 0x7c
	v_mov_b32_e32 v5, 0x7f
	v_cmp_lt_u32_e32 vcc, s60, v4
	v_cndmask_b32_e32 v3, v3, v5, vcc
; %bb.1176:
	s_or_b64 exec, exec, s[58:59]
	v_lshrrev_b32_e32 v4, 24, v2
	s_movk_i32 s58, 0x80
	v_and_or_b32 v3, v4, s58, v3
	global_store_byte v[0:1], v3, off
.LBB73_1177:
	s_mov_b64 s[60:61], 0
	s_mov_b64 s[58:59], -1
.LBB73_1178:
	s_andn2_b64 vcc, exec, s[60:61]
	s_cbranch_vccnz .LBB73_1186
; %bb.1179:
	v_mov_b32_e32 v3, 14
	v_cmp_gt_i16_sdwa s[62:63], v6, v3 src0_sel:BYTE_0 src1_sel:DWORD
	s_mov_b64 s[60:61], -1
	s_and_b64 vcc, exec, s[62:63]
	s_cbranch_vccz .LBB73_1183
; %bb.1180:
	v_mov_b32_e32 v3, 15
	v_cmp_eq_u16_sdwa s[60:61], v6, v3 src0_sel:BYTE_0 src1_sel:DWORD
	s_mov_b64 s[0:1], -1
	s_and_b64 vcc, exec, s[60:61]
	s_cbranch_vccz .LBB73_1182
; %bb.1181:
	v_bfe_u32 v3, v2, 16, 1
	s_movk_i32 s0, 0x7fff
	v_add3_u32 v3, v2, v3, s0
	v_lshrrev_b32_e32 v3, 16, v3
	v_mov_b32_e32 v4, 0x7fc0
	v_cmp_o_f32_e32 vcc, v2, v2
	v_cndmask_b32_e32 v3, v4, v3, vcc
	global_store_short v[0:1], v3, off
	s_mov_b64 s[58:59], -1
	s_mov_b64 s[0:1], 0
.LBB73_1182:
	s_mov_b64 s[60:61], 0
.LBB73_1183:
	s_and_b64 vcc, exec, s[60:61]
	s_cbranch_vccz .LBB73_1186
; %bb.1184:
	v_mov_b32_e32 v3, 11
	v_cmp_eq_u16_sdwa s[60:61], v6, v3 src0_sel:BYTE_0 src1_sel:DWORD
	s_mov_b64 s[0:1], -1
	s_and_b64 vcc, exec, s[60:61]
	s_cbranch_vccz .LBB73_1186
; %bb.1185:
	v_cmp_neq_f32_e32 vcc, 0, v2
	v_cndmask_b32_e64 v3, 0, 1, vcc
	s_mov_b64 s[58:59], -1
	s_mov_b64 s[0:1], 0
	global_store_byte v[0:1], v3, off
.LBB73_1186:
	s_mov_b64 s[60:61], 0
.LBB73_1187:
	s_and_b64 vcc, exec, s[60:61]
	s_cbranch_vccz .LBB73_1226
; %bb.1188:
	v_mov_b32_e32 v3, 5
	v_cmp_lt_i16_sdwa s[60:61], v6, v3 src0_sel:BYTE_0 src1_sel:DWORD
	s_mov_b64 s[58:59], -1
	s_and_b64 vcc, exec, s[60:61]
	s_cbranch_vccnz .LBB73_1209
; %bb.1189:
	v_mov_b32_e32 v3, 8
	v_cmp_lt_i16_sdwa s[60:61], v6, v3 src0_sel:BYTE_0 src1_sel:DWORD
	s_and_b64 vcc, exec, s[60:61]
	s_cbranch_vccnz .LBB73_1199
; %bb.1190:
	v_mov_b32_e32 v3, 9
	v_cmp_lt_i16_sdwa s[60:61], v6, v3 src0_sel:BYTE_0 src1_sel:DWORD
	s_and_b64 vcc, exec, s[60:61]
	s_cbranch_vccnz .LBB73_1196
; %bb.1191:
	v_cmp_gt_i16_sdwa s[60:61], v6, v3 src0_sel:BYTE_0 src1_sel:DWORD
	s_and_b64 vcc, exec, s[60:61]
	s_cbranch_vccz .LBB73_1193
; %bb.1192:
	v_mov_b32_e32 v12, 0
	v_cvt_f64_f32_e32 v[10:11], v2
	v_mov_b32_e32 v13, v12
	s_mov_b64 s[58:59], 0
	global_store_dwordx4 v[0:1], v[10:13], off
.LBB73_1193:
	s_andn2_b64 vcc, exec, s[58:59]
	s_cbranch_vccnz .LBB73_1195
; %bb.1194:
	v_mov_b32_e32 v3, 0
	global_store_dwordx2 v[0:1], v[2:3], off
.LBB73_1195:
	s_mov_b64 s[58:59], 0
.LBB73_1196:
	s_andn2_b64 vcc, exec, s[58:59]
	s_cbranch_vccnz .LBB73_1198
; %bb.1197:
	v_cvt_f16_f32_e32 v3, v2
	global_store_dword v[0:1], v3, off
.LBB73_1198:
	s_mov_b64 s[58:59], 0
.LBB73_1199:
	s_andn2_b64 vcc, exec, s[58:59]
	s_cbranch_vccnz .LBB73_1208
; %bb.1200:
	v_mov_b32_e32 v3, 6
	v_cmp_lt_i16_sdwa s[60:61], v6, v3 src0_sel:BYTE_0 src1_sel:DWORD
	s_mov_b64 s[58:59], -1
	s_and_b64 vcc, exec, s[60:61]
	s_cbranch_vccnz .LBB73_1206
; %bb.1201:
	v_cmp_gt_i16_sdwa s[60:61], v6, v3 src0_sel:BYTE_0 src1_sel:DWORD
	s_and_b64 vcc, exec, s[60:61]
	s_cbranch_vccz .LBB73_1203
; %bb.1202:
	v_cvt_f64_f32_e32 v[4:5], v2
	s_mov_b64 s[58:59], 0
	global_store_dwordx2 v[0:1], v[4:5], off
.LBB73_1203:
	s_andn2_b64 vcc, exec, s[58:59]
	s_cbranch_vccnz .LBB73_1205
; %bb.1204:
	global_store_dword v[0:1], v2, off
.LBB73_1205:
	s_mov_b64 s[58:59], 0
.LBB73_1206:
	s_andn2_b64 vcc, exec, s[58:59]
	s_cbranch_vccnz .LBB73_1208
; %bb.1207:
	v_cvt_f16_f32_e32 v3, v2
	global_store_short v[0:1], v3, off
.LBB73_1208:
	s_mov_b64 s[58:59], 0
.LBB73_1209:
	s_andn2_b64 vcc, exec, s[58:59]
	s_cbranch_vccnz .LBB73_1225
; %bb.1210:
	v_mov_b32_e32 v3, 2
	v_cmp_lt_i16_sdwa s[60:61], v6, v3 src0_sel:BYTE_0 src1_sel:DWORD
	s_mov_b64 s[58:59], -1
	s_and_b64 vcc, exec, s[60:61]
	s_cbranch_vccnz .LBB73_1220
; %bb.1211:
	v_mov_b32_e32 v3, 3
	v_cmp_lt_i16_sdwa s[60:61], v6, v3 src0_sel:BYTE_0 src1_sel:DWORD
	s_and_b64 vcc, exec, s[60:61]
	s_cbranch_vccnz .LBB73_1217
; %bb.1212:
	v_cmp_gt_i16_sdwa s[60:61], v6, v3 src0_sel:BYTE_0 src1_sel:DWORD
	s_and_b64 vcc, exec, s[60:61]
	s_cbranch_vccz .LBB73_1214
; %bb.1213:
	v_trunc_f32_e32 v3, v2
	s_mov_b32 s58, 0x2f800000
	v_mul_f32_e64 v4, |v3|, s58
	v_floor_f32_e32 v4, v4
	s_mov_b32 s58, 0xcf800000
	v_cvt_u32_f32_e32 v5, v4
	v_fma_f32 v4, v4, s58, |v3|
	v_cvt_u32_f32_e32 v4, v4
	v_ashrrev_i32_e32 v3, 31, v3
	v_xor_b32_e32 v5, v5, v3
	s_mov_b64 s[58:59], 0
	v_xor_b32_e32 v4, v4, v3
	v_sub_co_u32_e32 v4, vcc, v4, v3
	v_subb_co_u32_e32 v5, vcc, v5, v3, vcc
	global_store_dwordx2 v[0:1], v[4:5], off
.LBB73_1214:
	s_andn2_b64 vcc, exec, s[58:59]
	s_cbranch_vccnz .LBB73_1216
; %bb.1215:
	v_cvt_i32_f32_e32 v3, v2
	global_store_dword v[0:1], v3, off
.LBB73_1216:
	s_mov_b64 s[58:59], 0
.LBB73_1217:
	s_andn2_b64 vcc, exec, s[58:59]
	s_cbranch_vccnz .LBB73_1219
; %bb.1218:
	v_cvt_i32_f32_e32 v3, v2
	global_store_short v[0:1], v3, off
.LBB73_1219:
	s_mov_b64 s[58:59], 0
.LBB73_1220:
	s_andn2_b64 vcc, exec, s[58:59]
	s_cbranch_vccnz .LBB73_1225
; %bb.1221:
	v_mov_b32_e32 v3, 0
	v_cmp_gt_i16_sdwa s[60:61], v6, v3 src0_sel:BYTE_0 src1_sel:DWORD
	s_mov_b64 s[58:59], -1
	s_and_b64 vcc, exec, s[60:61]
	s_cbranch_vccz .LBB73_1223
; %bb.1222:
	v_cvt_i32_f32_e32 v3, v2
	s_mov_b64 s[58:59], 0
	global_store_byte v[0:1], v3, off
.LBB73_1223:
	s_andn2_b64 vcc, exec, s[58:59]
	s_cbranch_vccnz .LBB73_1225
; %bb.1224:
	v_trunc_f32_e32 v2, v2
	s_mov_b32 s58, 0x2f800000
	v_mul_f32_e64 v3, |v2|, s58
	v_floor_f32_e32 v3, v3
	s_mov_b32 s58, 0xcf800000
	v_fma_f32 v3, v3, s58, |v2|
	v_cvt_u32_f32_e32 v3, v3
	v_ashrrev_i32_e32 v2, 31, v2
	v_xor_b32_e32 v3, v3, v2
	v_sub_u32_e32 v2, v3, v2
	global_store_byte v[0:1], v2, off
.LBB73_1225:
	s_mov_b64 s[58:59], -1
.LBB73_1226:
	s_andn2_b64 vcc, exec, s[58:59]
	s_cbranch_vccnz .LBB73_1250
; %bb.1227:
	v_add_u32_e32 v9, 0x80, v9
	s_mov_b64 s[60:61], -1
.LBB73_1228:
	s_andn2_b64 s[58:59], s[48:49], exec
	s_and_b64 s[0:1], s[0:1], exec
	s_or_b64 s[58:59], s[58:59], s[0:1]
	s_andn2_b64 s[0:1], s[46:47], exec
	s_and_b64 s[56:57], s[56:57], exec
	s_or_b64 s[56:57], s[0:1], s[56:57]
	;; [unrolled: 3-line block ×3, first 2 shown]
	s_orn2_b64 s[64:65], s[60:61], exec
.LBB73_1229:
	s_or_b64 exec, exec, s[52:53]
	s_mov_b64 s[60:61], 0
	s_mov_b64 s[54:55], 0
	s_mov_b64 s[62:63], 0
                                        ; implicit-def: $vgpr3
                                        ; implicit-def: $vgpr4_vgpr5
                                        ; implicit-def: $vgpr2
                                        ; implicit-def: $vgpr0
                                        ; implicit-def: $vgpr1
	s_and_saveexec_b64 s[52:53], s[64:65]
	s_cbranch_execz .LBB73_1323
; %bb.1230:
	v_cmp_gt_i32_e32 vcc, s70, v9
	s_mov_b64 s[64:65], s[0:1]
	s_mov_b64 s[66:67], 0
                                        ; implicit-def: $vgpr3
                                        ; implicit-def: $vgpr4_vgpr5
                                        ; implicit-def: $vgpr2
                                        ; implicit-def: $vgpr0
                                        ; implicit-def: $vgpr1
	s_and_saveexec_b64 s[54:55], vcc
	s_cbranch_execz .LBB73_1322
; %bb.1231:
	s_andn2_b64 vcc, exec, s[20:21]
	s_cbranch_vccnz .LBB73_1238
; %bb.1232:
	s_andn2_b64 vcc, exec, s[34:35]
	v_mov_b32_e32 v2, 0
	s_waitcnt vmcnt(0)
	v_mov_b32_e32 v4, 0
	v_mov_b32_e32 v0, 0
	s_cbranch_vccnz .LBB73_1237
; %bb.1233:
	s_add_i32 s34, s69, 1
	s_and_b32 s60, s34, 30
	s_add_u32 s34, s2, 0xffffffec
	s_addc_u32 s35, s3, -1
	v_mov_b32_e32 v0, 0
	v_mov_b32_e32 v1, v9
	;; [unrolled: 1-line block ×4, first 2 shown]
.LBB73_1234:                            ; =>This Inner Loop Header: Depth=1
	s_mov_b64 s[62:63], s[34:35]
	s_load_dwordx4 s[64:67], s[62:63], 0x18
	s_load_dwordx2 s[70:71], s[62:63], 0x28
	s_load_dwordx2 s[76:77], s[62:63], 0xe8
	s_load_dwordx4 s[72:75], s[62:63], 0xd8
	s_add_u32 s34, s62, 24
	s_waitcnt lgkmcnt(0)
	v_mul_hi_u32 v3, s65, v1
	v_add_u32_e32 v3, v1, v3
	v_lshrrev_b32_e32 v3, s66, v3
	v_mul_lo_u32 v5, v3, s64
	v_mul_hi_u32 v10, s70, v3
	v_sub_u32_e32 v1, v1, v5
	v_add_u32_e32 v5, v3, v10
	v_mul_lo_u32 v10, v1, s72
	v_mul_lo_u32 v11, v1, s73
	;; [unrolled: 1-line block ×3, first 2 shown]
	v_lshrrev_b32_e32 v1, s71, v5
	v_mul_lo_u32 v5, v1, s67
	v_sub_u32_e32 v3, v3, v5
	s_addc_u32 s35, s63, 0
	s_add_i32 s60, s60, -2
	v_mul_lo_u32 v5, v3, s75
	v_mul_lo_u32 v13, v3, s76
	;; [unrolled: 1-line block ×3, first 2 shown]
	s_cmp_eq_u32 s60, 0
	v_add3_u32 v0, v10, v0, v5
	v_add3_u32 v2, v12, v2, v3
	v_add3_u32 v4, v11, v4, v13
	s_cbranch_scc0 .LBB73_1234
; %bb.1235:
	s_bitcmp1_b32 s69, 0
	s_cselect_b64 s[60:61], -1, 0
	s_and_b64 vcc, exec, s[60:61]
	s_cbranch_vccnz .LBB73_1237
; %bb.1236:
	s_load_dwordx2 s[60:61], s[34:35], 0x18
	s_load_dword s62, s[34:35], 0x20
	s_load_dword s63, s[34:35], 0xe0
	s_nop 0
	s_load_dwordx2 s[34:35], s[34:35], 0xd8
	s_waitcnt lgkmcnt(0)
	v_mul_hi_u32 v3, s61, v1
	v_add_u32_e32 v3, v1, v3
	v_lshrrev_b32_e32 v3, s62, v3
	v_mul_lo_u32 v3, v3, s60
	v_sub_u32_e32 v3, v1, v3
	v_mad_u64_u32 v[0:1], s[60:61], v3, s34, v[0:1]
	v_mad_u64_u32 v[4:5], s[34:35], v3, s35, v[4:5]
	;; [unrolled: 1-line block ×3, first 2 shown]
.LBB73_1237:
	s_mov_b64 s[34:35], 0
	s_branch .LBB73_1239
.LBB73_1238:
	s_mov_b64 s[34:35], -1
                                        ; implicit-def: $vgpr2
                                        ; implicit-def: $vgpr4
                                        ; implicit-def: $vgpr0
.LBB73_1239:
	s_andn2_b64 vcc, exec, s[34:35]
	s_cbranch_vccnz .LBB73_1242
; %bb.1240:
	s_waitcnt lgkmcnt(0)
	v_mul_hi_u32 v0, s17, v9
	v_add_u32_e32 v0, v9, v0
	s_waitcnt vmcnt(0)
	v_lshrrev_b32_e32 v1, s18, v0
	v_mul_lo_u32 v0, v1, s16
	v_sub_u32_e32 v3, v9, v0
	v_mul_lo_u32 v0, v3, s12
	v_mul_lo_u32 v2, v3, s14
	s_andn2_b64 vcc, exec, s[30:31]
	v_mul_lo_u32 v4, v3, s13
	s_cbranch_vccnz .LBB73_1242
; %bb.1241:
	v_mul_hi_u32 v3, s28, v1
	v_add_u32_e32 v3, v1, v3
	v_lshrrev_b32_e32 v3, s29, v3
	v_mul_lo_u32 v3, v3, s19
	v_sub_u32_e32 v3, v1, v3
	v_mad_u64_u32 v[0:1], s[12:13], v3, s15, v[0:1]
	v_mad_u64_u32 v[4:5], s[12:13], v3, s26, v[4:5]
	;; [unrolled: 1-line block ×3, first 2 shown]
.LBB73_1242:
	s_waitcnt vmcnt(0) lgkmcnt(0)
	v_mov_b32_e32 v1, s11
	v_add_co_u32_e32 v4, vcc, s10, v4
	v_addc_co_u32_e32 v5, vcc, 0, v1, vcc
	v_and_b32_e32 v3, 0xff, v8
	v_cmp_gt_i16_e32 vcc, 11, v3
	s_cbranch_vccnz .LBB73_1249
; %bb.1243:
	v_cmp_lt_i16_e32 vcc, 25, v3
	s_mov_b64 s[12:13], 0
	s_cbranch_vccz .LBB73_1251
; %bb.1244:
	v_cmp_lt_i16_e32 vcc, 28, v3
	s_cbranch_vccz .LBB73_1252
; %bb.1245:
	v_cmp_lt_i16_e32 vcc, 43, v3
	;; [unrolled: 3-line block ×3, first 2 shown]
	s_cbranch_vccz .LBB73_1254
; %bb.1247:
	v_cmp_eq_u16_e32 vcc, 46, v3
	s_mov_b64 s[16:17], 0
	s_cbranch_vccz .LBB73_1257
; %bb.1248:
	global_load_dword v1, v[4:5], off
	s_mov_b64 s[10:11], 0
	s_mov_b64 s[14:15], -1
	s_waitcnt vmcnt(0)
	v_lshlrev_b32_e32 v1, 16, v1
	s_branch .LBB73_1258
.LBB73_1249:
	s_mov_b64 s[16:17], -1
	s_mov_b64 s[14:15], 0
	s_mov_b64 s[12:13], 0
	;; [unrolled: 1-line block ×3, first 2 shown]
                                        ; implicit-def: $vgpr1
	s_branch .LBB73_1321
.LBB73_1250:
	s_mov_b64 s[60:61], 0
	s_branch .LBB73_969
.LBB73_1251:
	s_mov_b64 s[16:17], -1
	s_mov_b64 s[14:15], 0
	s_mov_b64 s[10:11], s[0:1]
                                        ; implicit-def: $vgpr1
	s_branch .LBB73_1287
.LBB73_1252:
	s_mov_b64 s[16:17], -1
	s_mov_b64 s[14:15], 0
	s_mov_b64 s[10:11], s[0:1]
                                        ; implicit-def: $vgpr1
	s_branch .LBB73_1268
.LBB73_1253:
	s_mov_b64 s[16:17], -1
	s_mov_b64 s[14:15], 0
	s_mov_b64 s[10:11], s[0:1]
                                        ; implicit-def: $vgpr1
	s_branch .LBB73_1263
.LBB73_1254:
	s_mov_b64 s[16:17], -1
	s_mov_b64 s[14:15], 0
	s_mov_b64 s[10:11], s[0:1]
                                        ; implicit-def: $vgpr1
	s_branch .LBB73_1258
.LBB73_1255:
	s_or_saveexec_b64 s[62:63], s[62:63]
                                        ; implicit-def: $sgpr64
	s_xor_b64 exec, exec, s[62:63]
	s_cbranch_execz .LBB73_1139
.LBB73_1256:
	s_mov_b32 s64, 0x46000000
	v_add_f32_e64 v3, |v2|, s64
	v_and_b32_e32 v3, 0xff, v3
	v_cmp_ne_u32_e32 vcc, 0, v3
	s_andn2_b64 s[60:61], s[60:61], exec
	s_and_b64 s[66:67], vcc, exec
	s_mov_b32 s64, 0
	s_or_b64 s[60:61], s[60:61], s[66:67]
	s_or_b64 exec, exec, s[62:63]
	v_mov_b32_e32 v4, s64
	s_and_saveexec_b64 s[62:63], s[60:61]
	s_cbranch_execnz .LBB73_1140
	s_branch .LBB73_1141
.LBB73_1257:
	s_mov_b64 s[10:11], -1
                                        ; implicit-def: $vgpr1
	s_mov_b64 s[14:15], 0
.LBB73_1258:
	s_and_b64 vcc, exec, s[16:17]
	s_cbranch_vccz .LBB73_1262
; %bb.1259:
	v_cmp_eq_u16_e32 vcc, 44, v3
	s_cbranch_vccz .LBB73_1261
; %bb.1260:
	global_load_ubyte v1, v[4:5], off
	s_movk_i32 s14, 0xff
	v_mov_b32_e32 v8, 0x7f800001
	v_mov_b32_e32 v9, 0x400000
	s_mov_b64 s[10:11], 0
	s_waitcnt vmcnt(0)
	v_lshlrev_b32_e32 v10, 23, v1
	v_cmp_ne_u32_e32 vcc, s14, v1
	v_cndmask_b32_e32 v8, v8, v10, vcc
	v_cmp_ne_u32_e32 vcc, 0, v1
	v_cndmask_b32_e32 v1, v9, v8, vcc
	s_mov_b64 s[14:15], -1
	s_branch .LBB73_1262
.LBB73_1261:
	s_mov_b64 s[10:11], -1
                                        ; implicit-def: $vgpr1
.LBB73_1262:
	s_mov_b64 s[16:17], 0
.LBB73_1263:
	s_and_b64 vcc, exec, s[16:17]
	s_cbranch_vccz .LBB73_1267
; %bb.1264:
	v_cmp_eq_u16_e32 vcc, 29, v3
	s_cbranch_vccz .LBB73_1266
; %bb.1265:
	global_load_dwordx2 v[8:9], v[4:5], off
	s_mov_b64 s[10:11], 0
	s_mov_b64 s[14:15], -1
	s_mov_b64 s[16:17], 0
	s_waitcnt vmcnt(0)
	v_ffbh_u32_e32 v1, v9
	v_min_u32_e32 v1, 32, v1
	v_lshlrev_b64 v[8:9], v1, v[8:9]
	v_min_u32_e32 v8, 1, v8
	v_or_b32_e32 v8, v9, v8
	v_cvt_f32_u32_e32 v8, v8
	v_sub_u32_e32 v1, 32, v1
	v_ldexp_f32 v1, v8, v1
	s_branch .LBB73_1268
.LBB73_1266:
	s_mov_b64 s[10:11], -1
                                        ; implicit-def: $vgpr1
.LBB73_1267:
	s_mov_b64 s[16:17], 0
.LBB73_1268:
	s_and_b64 vcc, exec, s[16:17]
	s_cbranch_vccz .LBB73_1286
; %bb.1269:
	v_cmp_gt_i16_e32 vcc, 27, v3
	s_cbranch_vccnz .LBB73_1272
; %bb.1270:
	v_cmp_lt_i16_e32 vcc, 27, v3
	s_cbranch_vccz .LBB73_1273
; %bb.1271:
	global_load_dword v1, v[4:5], off
	s_mov_b64 s[14:15], 0
	s_waitcnt vmcnt(0)
	v_cvt_f32_u32_e32 v1, v1
	s_branch .LBB73_1274
.LBB73_1272:
	s_mov_b64 s[14:15], -1
                                        ; implicit-def: $vgpr1
	s_branch .LBB73_1277
.LBB73_1273:
	s_mov_b64 s[14:15], -1
                                        ; implicit-def: $vgpr1
.LBB73_1274:
	s_andn2_b64 vcc, exec, s[14:15]
	s_cbranch_vccnz .LBB73_1276
; %bb.1275:
	global_load_ushort v1, v[4:5], off
	s_waitcnt vmcnt(0)
	v_cvt_f32_u32_e32 v1, v1
.LBB73_1276:
	s_mov_b64 s[14:15], 0
.LBB73_1277:
	s_andn2_b64 vcc, exec, s[14:15]
	s_cbranch_vccnz .LBB73_1285
; %bb.1278:
	global_load_ubyte v8, v[4:5], off
	s_movk_i32 s14, 0x7f
                                        ; implicit-def: $sgpr26
	s_waitcnt vmcnt(0)
	v_cmp_lt_i16_e32 vcc, s14, v8
	s_mov_b64 s[14:15], 0
	s_and_saveexec_b64 s[16:17], vcc
	s_xor_b64 s[16:17], exec, s[16:17]
	s_cbranch_execz .LBB73_1299
; %bb.1279:
	s_movk_i32 s14, 0x80
	v_cmp_eq_u16_e32 vcc, s14, v8
	s_mov_b64 s[14:15], -1
                                        ; implicit-def: $sgpr26
	s_and_saveexec_b64 s[18:19], vcc
; %bb.1280:
	s_mov_b32 s26, 0x7f800001
	s_xor_b64 s[14:15], exec, -1
; %bb.1281:
	s_or_b64 exec, exec, s[18:19]
	s_and_b64 s[14:15], s[14:15], exec
	s_or_saveexec_b64 s[16:17], s[16:17]
	v_mov_b32_e32 v1, s26
	s_xor_b64 exec, exec, s[16:17]
	s_cbranch_execnz .LBB73_1300
.LBB73_1282:
	s_or_b64 exec, exec, s[16:17]
	s_and_saveexec_b64 s[16:17], s[14:15]
	s_cbranch_execz .LBB73_1284
.LBB73_1283:
	v_lshlrev_b32_e32 v1, 24, v8
	v_and_b32_e32 v8, 0xffff, v8
	v_and_b32_e32 v9, 7, v8
	v_ffbh_u32_e32 v11, v9
	v_min_u32_e32 v11, 32, v11
	v_subrev_u32_e32 v12, 28, v11
	v_bfe_u32 v10, v8, 3, 4
	v_lshlrev_b32_e32 v8, v12, v8
	v_sub_u32_e32 v11, 29, v11
	v_and_b32_e32 v8, 7, v8
	v_cmp_eq_u32_e32 vcc, 0, v10
	v_cndmask_b32_e32 v10, v10, v11, vcc
	v_cndmask_b32_e32 v8, v9, v8, vcc
	v_mov_b32_e32 v9, 0x3b800000
	v_lshlrev_b32_e32 v8, 20, v8
	v_and_b32_e32 v1, 0x80000000, v1
	v_lshl_add_u32 v9, v10, 23, v9
	v_or3_b32 v1, v1, v9, v8
.LBB73_1284:
	s_or_b64 exec, exec, s[16:17]
.LBB73_1285:
	s_mov_b64 s[14:15], -1
.LBB73_1286:
	s_mov_b64 s[16:17], 0
.LBB73_1287:
	s_and_b64 vcc, exec, s[16:17]
	s_cbranch_vccz .LBB73_1320
; %bb.1288:
	v_cmp_lt_i16_e32 vcc, 22, v3
	s_cbranch_vccz .LBB73_1298
; %bb.1289:
	v_cmp_gt_i16_e32 vcc, 24, v3
	s_cbranch_vccnz .LBB73_1301
; %bb.1290:
	v_cmp_lt_i16_e32 vcc, 24, v3
	s_cbranch_vccz .LBB73_1302
; %bb.1291:
	global_load_ubyte v8, v[4:5], off
	s_movk_i32 s12, 0x7f
                                        ; implicit-def: $sgpr18
	s_waitcnt vmcnt(0)
	v_cmp_lt_i16_e32 vcc, s12, v8
	s_mov_b64 s[12:13], 0
	s_and_saveexec_b64 s[14:15], vcc
	s_xor_b64 s[14:15], exec, s[14:15]
	s_cbranch_execz .LBB73_1314
; %bb.1292:
	s_movk_i32 s12, 0x80
	v_cmp_eq_u16_e32 vcc, s12, v8
	s_mov_b64 s[12:13], -1
                                        ; implicit-def: $sgpr18
	s_and_saveexec_b64 s[16:17], vcc
; %bb.1293:
	s_mov_b32 s18, 0x7f800001
	s_xor_b64 s[12:13], exec, -1
; %bb.1294:
	s_or_b64 exec, exec, s[16:17]
	s_and_b64 s[12:13], s[12:13], exec
	s_or_saveexec_b64 s[14:15], s[14:15]
	v_mov_b32_e32 v1, s18
	s_xor_b64 exec, exec, s[14:15]
	s_cbranch_execnz .LBB73_1315
.LBB73_1295:
	s_or_b64 exec, exec, s[14:15]
	s_and_saveexec_b64 s[14:15], s[12:13]
	s_cbranch_execz .LBB73_1297
.LBB73_1296:
	v_lshlrev_b32_e32 v1, 24, v8
	v_and_b32_e32 v8, 0xffff, v8
	v_and_b32_e32 v9, 3, v8
	v_ffbh_u32_e32 v11, v9
	v_min_u32_e32 v11, 32, v11
	v_subrev_u32_e32 v12, 29, v11
	v_bfe_u32 v10, v8, 2, 5
	v_lshlrev_b32_e32 v8, v12, v8
	v_sub_u32_e32 v11, 30, v11
	v_and_b32_e32 v8, 3, v8
	v_cmp_eq_u32_e32 vcc, 0, v10
	v_cndmask_b32_e32 v10, v10, v11, vcc
	v_cndmask_b32_e32 v8, v9, v8, vcc
	v_mov_b32_e32 v9, 0x37800000
	v_lshlrev_b32_e32 v8, 21, v8
	v_and_b32_e32 v1, 0x80000000, v1
	v_lshl_add_u32 v9, v10, 23, v9
	v_or3_b32 v1, v1, v9, v8
.LBB73_1297:
	s_or_b64 exec, exec, s[14:15]
	s_mov_b64 s[12:13], 0
	s_branch .LBB73_1303
.LBB73_1298:
	s_mov_b64 s[12:13], -1
                                        ; implicit-def: $vgpr1
	s_branch .LBB73_1309
.LBB73_1299:
	s_or_saveexec_b64 s[16:17], s[16:17]
	v_mov_b32_e32 v1, s26
	s_xor_b64 exec, exec, s[16:17]
	s_cbranch_execz .LBB73_1282
.LBB73_1300:
	v_cmp_ne_u16_e32 vcc, 0, v8
	s_andn2_b64 s[14:15], s[14:15], exec
	s_and_b64 s[18:19], vcc, exec
	v_mov_b32_e32 v1, 0
	s_or_b64 s[14:15], s[14:15], s[18:19]
	s_or_b64 exec, exec, s[16:17]
	s_and_saveexec_b64 s[16:17], s[14:15]
	s_cbranch_execnz .LBB73_1283
	s_branch .LBB73_1284
.LBB73_1301:
	s_mov_b64 s[12:13], -1
                                        ; implicit-def: $vgpr1
	s_branch .LBB73_1306
.LBB73_1302:
	s_mov_b64 s[12:13], -1
                                        ; implicit-def: $vgpr1
.LBB73_1303:
	s_and_b64 vcc, exec, s[12:13]
	s_cbranch_vccz .LBB73_1305
; %bb.1304:
	global_load_ubyte v1, v[4:5], off
	s_mov_b32 s12, 0x7f800000
	s_waitcnt vmcnt(0)
	v_lshlrev_b32_e32 v1, 24, v1
	v_and_b32_e32 v8, 0x7f000000, v1
	v_ffbh_u32_e32 v9, v8
	v_min_u32_e32 v9, 32, v9
	v_sub_u32_e64 v9, v9, 4 clamp
	v_lshlrev_b32_e32 v11, v9, v8
	v_lshlrev_b32_e32 v9, 23, v9
	v_lshrrev_b32_e32 v11, 4, v11
	v_add_u32_e32 v10, 0x1000000, v8
	v_sub_u32_e32 v9, v11, v9
	v_ashrrev_i32_e32 v10, 8, v10
	v_add_u32_e32 v9, 0x3c000000, v9
	v_and_or_b32 v9, v10, s12, v9
	v_cmp_ne_u32_e32 vcc, 0, v8
	v_cndmask_b32_e32 v8, 0, v9, vcc
	s_brev_b32 s12, 1
	v_and_or_b32 v1, v1, s12, v8
.LBB73_1305:
	s_mov_b64 s[12:13], 0
.LBB73_1306:
	s_andn2_b64 vcc, exec, s[12:13]
	s_cbranch_vccnz .LBB73_1308
; %bb.1307:
	global_load_ubyte v1, v[4:5], off
	s_movk_i32 s12, 0x7f00
	s_brev_b32 s13, 16
	s_waitcnt vmcnt(0)
	v_lshlrev_b16_e32 v8, 8, v1
	v_lshlrev_b32_e32 v1, 25, v1
	v_lshrrev_b32_e32 v9, 4, v1
	v_and_or_b32 v10, v8, s12, 0.5
	v_or_b32_e32 v9, 0x70000000, v9
	v_add_f32_e32 v10, -0.5, v10
	v_mul_f32_e32 v9, 0x7800000, v9
	v_cmp_gt_u32_e32 vcc, s13, v1
	v_bfe_i32 v8, v8, 0, 16
	v_cndmask_b32_e32 v1, v9, v10, vcc
	s_brev_b32 s12, 1
	v_and_or_b32 v1, v8, s12, v1
.LBB73_1308:
	s_mov_b64 s[12:13], 0
	s_mov_b64 s[14:15], -1
.LBB73_1309:
	s_andn2_b64 vcc, exec, s[12:13]
	s_mov_b64 s[12:13], 0
	s_cbranch_vccnz .LBB73_1320
; %bb.1310:
	v_cmp_lt_i16_e32 vcc, 14, v3
	s_cbranch_vccz .LBB73_1313
; %bb.1311:
	v_cmp_eq_u16_e32 vcc, 15, v3
	s_cbranch_vccz .LBB73_1316
; %bb.1312:
	global_load_ushort v1, v[4:5], off
	s_mov_b64 s[10:11], 0
	s_mov_b64 s[14:15], -1
	s_waitcnt vmcnt(0)
	v_lshlrev_b32_e32 v1, 16, v1
	s_branch .LBB73_1317
.LBB73_1313:
	s_mov_b64 s[16:17], -1
                                        ; implicit-def: $vgpr1
	s_branch .LBB73_1318
.LBB73_1314:
	s_or_saveexec_b64 s[14:15], s[14:15]
	v_mov_b32_e32 v1, s18
	s_xor_b64 exec, exec, s[14:15]
	s_cbranch_execz .LBB73_1295
.LBB73_1315:
	v_cmp_ne_u16_e32 vcc, 0, v8
	s_andn2_b64 s[12:13], s[12:13], exec
	s_and_b64 s[16:17], vcc, exec
	v_mov_b32_e32 v1, 0
	s_or_b64 s[12:13], s[12:13], s[16:17]
	s_or_b64 exec, exec, s[14:15]
	s_and_saveexec_b64 s[14:15], s[12:13]
	s_cbranch_execnz .LBB73_1296
	s_branch .LBB73_1297
.LBB73_1316:
	s_mov_b64 s[10:11], -1
                                        ; implicit-def: $vgpr1
.LBB73_1317:
	s_mov_b64 s[16:17], 0
.LBB73_1318:
	s_and_b64 vcc, exec, s[16:17]
	s_cbranch_vccz .LBB73_1320
; %bb.1319:
	v_cmp_ne_u16_e32 vcc, 11, v3
	s_andn2_b64 s[10:11], s[10:11], exec
	s_and_b64 s[16:17], vcc, exec
	s_mov_b64 s[12:13], -1
	s_or_b64 s[10:11], s[10:11], s[16:17]
                                        ; implicit-def: $vgpr1
.LBB73_1320:
	s_mov_b64 s[16:17], 0
.LBB73_1321:
	s_and_b64 s[60:61], s[12:13], exec
	s_andn2_b64 s[12:13], s[0:1], exec
	s_and_b64 s[10:11], s[10:11], exec
	s_and_b64 s[62:63], s[14:15], exec
	;; [unrolled: 1-line block ×3, first 2 shown]
	s_or_b64 s[64:65], s[12:13], s[10:11]
.LBB73_1322:
	s_or_b64 exec, exec, s[54:55]
	s_andn2_b64 s[0:1], s[0:1], exec
	s_waitcnt lgkmcnt(0)
	s_and_b64 s[10:11], s[64:65], exec
	s_and_b64 s[62:63], s[62:63], exec
	;; [unrolled: 1-line block ×4, first 2 shown]
	s_or_b64 s[0:1], s[0:1], s[10:11]
.LBB73_1323:
	s_or_b64 exec, exec, s[52:53]
	s_waitcnt lgkmcnt(0)
	s_andn2_b64 s[10:11], s[48:49], exec
	s_and_b64 s[12:13], s[58:59], exec
	s_or_b64 s[48:49], s[10:11], s[12:13]
	s_andn2_b64 s[10:11], s[46:47], exec
	s_and_b64 s[12:13], s[56:57], exec
	s_or_b64 s[46:47], s[10:11], s[12:13]
	s_andn2_b64 s[10:11], s[44:45], exec
	s_and_b64 s[0:1], s[0:1], exec
	s_and_b64 s[56:57], s[62:63], exec
	;; [unrolled: 1-line block ×4, first 2 shown]
	s_or_b64 s[44:45], s[10:11], s[0:1]
.LBB73_1324:
	s_or_b64 exec, exec, s[50:51]
	s_andn2_b64 s[0:1], s[36:37], exec
	s_waitcnt lgkmcnt(0)
	s_and_b64 s[10:11], s[48:49], exec
	s_or_b64 s[36:37], s[0:1], s[10:11]
	s_andn2_b64 s[0:1], s[38:39], exec
	s_and_b64 s[10:11], s[46:47], exec
	s_or_b64 s[38:39], s[0:1], s[10:11]
	s_andn2_b64 s[0:1], s[40:41], exec
	s_and_b64 s[10:11], s[44:45], exec
	s_and_b64 s[48:49], s[56:57], exec
	;; [unrolled: 1-line block ×4, first 2 shown]
	s_or_b64 s[40:41], s[0:1], s[10:11]
	s_or_b64 exec, exec, s[42:43]
	s_mov_b64 s[10:11], 0
	s_and_saveexec_b64 s[0:1], s[40:41]
	s_cbranch_execz .LBB73_415
.LBB73_1325:
	s_mov_b64 s[10:11], exec
	s_andn2_b64 s[46:47], s[46:47], exec
	s_trap 2
                                        ; implicit-def: $vgpr1
	s_or_b64 exec, exec, s[0:1]
	s_and_saveexec_b64 s[0:1], s[46:47]
	s_xor_b64 s[0:1], exec, s[0:1]
	s_cbranch_execnz .LBB73_416
.LBB73_1326:
	s_or_b64 exec, exec, s[0:1]
	s_and_saveexec_b64 s[0:1], s[50:51]
	s_cbranch_execz .LBB73_1372
.LBB73_1327:
	v_cmp_gt_i16_e32 vcc, 5, v3
	s_cbranch_vccnz .LBB73_1332
; %bb.1328:
	v_cmp_gt_i16_e32 vcc, 8, v3
	s_cbranch_vccnz .LBB73_1333
; %bb.1329:
	;; [unrolled: 3-line block ×3, first 2 shown]
	v_cmp_lt_i16_e32 vcc, 9, v3
	s_cbranch_vccz .LBB73_1335
; %bb.1331:
	s_waitcnt vmcnt(0)
	global_load_dwordx2 v[8:9], v[4:5], off
	s_mov_b64 s[12:13], 0
	s_waitcnt vmcnt(0)
	v_cvt_f32_f64_e32 v1, v[8:9]
	s_branch .LBB73_1336
.LBB73_1332:
                                        ; implicit-def: $vgpr1
	s_branch .LBB73_1353
.LBB73_1333:
                                        ; implicit-def: $vgpr1
	s_branch .LBB73_1342
.LBB73_1334:
	s_mov_b64 s[12:13], -1
                                        ; implicit-def: $vgpr1
	s_branch .LBB73_1339
.LBB73_1335:
	s_mov_b64 s[12:13], -1
                                        ; implicit-def: $vgpr1
.LBB73_1336:
	s_andn2_b64 vcc, exec, s[12:13]
	s_cbranch_vccnz .LBB73_1338
; %bb.1337:
	s_waitcnt vmcnt(0)
	global_load_dword v1, v[4:5], off
.LBB73_1338:
	s_mov_b64 s[12:13], 0
.LBB73_1339:
	s_andn2_b64 vcc, exec, s[12:13]
	s_cbranch_vccnz .LBB73_1341
; %bb.1340:
	s_waitcnt vmcnt(0)
	global_load_dword v1, v[4:5], off
	s_waitcnt vmcnt(0)
	v_cvt_f32_f16_e32 v1, v1
.LBB73_1341:
	s_cbranch_execnz .LBB73_1352
.LBB73_1342:
	v_cmp_gt_i16_e32 vcc, 6, v3
	s_cbranch_vccnz .LBB73_1345
; %bb.1343:
	v_cmp_lt_i16_e32 vcc, 6, v3
	s_cbranch_vccz .LBB73_1346
; %bb.1344:
	s_waitcnt vmcnt(0)
	global_load_dwordx2 v[8:9], v[4:5], off
	s_mov_b64 s[12:13], 0
	s_waitcnt vmcnt(0)
	v_cvt_f32_f64_e32 v1, v[8:9]
	s_branch .LBB73_1347
.LBB73_1345:
	s_mov_b64 s[12:13], -1
                                        ; implicit-def: $vgpr1
	s_branch .LBB73_1350
.LBB73_1346:
	s_mov_b64 s[12:13], -1
                                        ; implicit-def: $vgpr1
.LBB73_1347:
	s_andn2_b64 vcc, exec, s[12:13]
	s_cbranch_vccnz .LBB73_1349
; %bb.1348:
	s_waitcnt vmcnt(0)
	global_load_dword v1, v[4:5], off
.LBB73_1349:
	s_mov_b64 s[12:13], 0
.LBB73_1350:
	s_andn2_b64 vcc, exec, s[12:13]
	s_cbranch_vccnz .LBB73_1352
; %bb.1351:
	s_waitcnt vmcnt(0)
	global_load_ushort v1, v[4:5], off
	s_waitcnt vmcnt(0)
	v_cvt_f32_f16_e32 v1, v1
.LBB73_1352:
	s_cbranch_execnz .LBB73_1371
.LBB73_1353:
	v_cmp_gt_i16_e32 vcc, 2, v3
	s_cbranch_vccnz .LBB73_1357
; %bb.1354:
	v_cmp_gt_i16_e32 vcc, 3, v3
	s_cbranch_vccnz .LBB73_1358
; %bb.1355:
	v_cmp_lt_i16_e32 vcc, 3, v3
	s_cbranch_vccz .LBB73_1359
; %bb.1356:
	s_waitcnt vmcnt(0)
	global_load_dwordx2 v[8:9], v[4:5], off
	s_mov_b64 s[12:13], 0
	s_waitcnt vmcnt(0)
	v_xor_b32_e32 v10, v8, v9
	v_ffbh_i32_e32 v1, v9
	v_ashrrev_i32_e32 v10, 31, v10
	v_add_u32_e32 v1, -1, v1
	v_add_u32_e32 v10, 32, v10
	v_min_u32_e32 v1, v1, v10
	v_lshlrev_b64 v[8:9], v1, v[8:9]
	v_min_u32_e32 v8, 1, v8
	v_or_b32_e32 v8, v9, v8
	v_cvt_f32_i32_e32 v8, v8
	v_sub_u32_e32 v1, 32, v1
	v_ldexp_f32 v1, v8, v1
	s_branch .LBB73_1360
.LBB73_1357:
                                        ; implicit-def: $vgpr1
	s_branch .LBB73_1366
.LBB73_1358:
	s_mov_b64 s[12:13], -1
                                        ; implicit-def: $vgpr1
	s_branch .LBB73_1363
.LBB73_1359:
	s_mov_b64 s[12:13], -1
                                        ; implicit-def: $vgpr1
.LBB73_1360:
	s_andn2_b64 vcc, exec, s[12:13]
	s_cbranch_vccnz .LBB73_1362
; %bb.1361:
	s_waitcnt vmcnt(0)
	global_load_dword v1, v[4:5], off
	s_waitcnt vmcnt(0)
	v_cvt_f32_i32_e32 v1, v1
.LBB73_1362:
	s_mov_b64 s[12:13], 0
.LBB73_1363:
	s_andn2_b64 vcc, exec, s[12:13]
	s_cbranch_vccnz .LBB73_1365
; %bb.1364:
	s_waitcnt vmcnt(0)
	global_load_sshort v1, v[4:5], off
	s_waitcnt vmcnt(0)
	v_cvt_f32_i32_e32 v1, v1
.LBB73_1365:
	s_cbranch_execnz .LBB73_1371
.LBB73_1366:
	v_cmp_lt_i16_e32 vcc, 0, v3
	s_cbranch_vccz .LBB73_1368
; %bb.1367:
	s_waitcnt vmcnt(0)
	global_load_sbyte v1, v[4:5], off
	s_mov_b64 s[12:13], 0
	s_waitcnt vmcnt(0)
	v_cvt_f32_i32_e32 v1, v1
	s_branch .LBB73_1369
.LBB73_1368:
	s_mov_b64 s[12:13], -1
                                        ; implicit-def: $vgpr1
.LBB73_1369:
	s_andn2_b64 vcc, exec, s[12:13]
	s_cbranch_vccnz .LBB73_1371
; %bb.1370:
	s_waitcnt vmcnt(0)
	global_load_ubyte v1, v[4:5], off
	s_waitcnt vmcnt(0)
	v_cvt_f32_ubyte0_e32 v1, v1
.LBB73_1371:
	s_or_b64 s[48:49], s[48:49], exec
.LBB73_1372:
	s_or_b64 exec, exec, s[0:1]
	s_mov_b64 s[14:15], 0
	s_mov_b64 s[18:19], 0
	s_mov_b64 s[16:17], 0
                                        ; implicit-def: $vgpr3
                                        ; implicit-def: $vgpr4_vgpr5
                                        ; implicit-def: $vgpr8
	s_and_saveexec_b64 s[0:1], s[48:49]
	s_cbranch_execz .LBB73_1380
; %bb.1373:
	v_mov_b32_e32 v3, s25
	s_waitcnt vmcnt(0)
	v_add_co_u32_e32 v4, vcc, s24, v2
	v_addc_co_u32_e32 v5, vcc, 0, v3, vcc
	v_and_b32_e32 v3, 0xff, v7
	v_cmp_gt_i16_e32 vcc, 11, v3
	s_cbranch_vccnz .LBB73_1383
; %bb.1374:
	v_cmp_lt_i16_e32 vcc, 25, v3
	s_cbranch_vccz .LBB73_1384
; %bb.1375:
	v_cmp_lt_i16_e32 vcc, 28, v3
	s_cbranch_vccz .LBB73_1385
	;; [unrolled: 3-line block ×4, first 2 shown]
; %bb.1378:
	v_cmp_eq_u16_e32 vcc, 46, v3
	s_cbranch_vccz .LBB73_1388
; %bb.1379:
	global_load_dword v2, v[4:5], off
	s_mov_b64 s[12:13], 0
	s_mov_b64 s[16:17], -1
	s_waitcnt vmcnt(0)
	v_lshlrev_b32_e32 v8, 16, v2
	s_branch .LBB73_1390
.LBB73_1380:
	s_or_b64 exec, exec, s[0:1]
	s_and_saveexec_b64 s[0:1], s[38:39]
	s_cbranch_execnz .LBB73_1453
.LBB73_1381:
	s_or_b64 exec, exec, s[0:1]
	s_and_saveexec_b64 s[0:1], s[14:15]
	s_xor_b64 s[0:1], exec, s[0:1]
	s_cbranch_execz .LBB73_1454
.LBB73_1382:
	s_waitcnt vmcnt(0)
	global_load_ubyte v2, v[4:5], off
	s_or_b64 s[16:17], s[16:17], exec
	s_waitcnt vmcnt(0)
	v_cmp_ne_u16_e32 vcc, 0, v2
	v_cndmask_b32_e64 v8, 0, 1.0, vcc
	s_or_b64 exec, exec, s[0:1]
	s_and_saveexec_b64 s[0:1], s[18:19]
	s_cbranch_execz .LBB73_1500
	s_branch .LBB73_1455
.LBB73_1383:
	s_mov_b64 s[18:19], -1
                                        ; implicit-def: $vgpr8
	s_mov_b64 s[12:13], s[38:39]
	s_branch .LBB73_1452
.LBB73_1384:
	s_mov_b64 s[12:13], s[38:39]
                                        ; implicit-def: $vgpr8
	s_cbranch_execnz .LBB73_1419
	s_branch .LBB73_1451
.LBB73_1385:
	s_mov_b64 s[18:19], -1
	s_mov_b64 s[12:13], s[38:39]
                                        ; implicit-def: $vgpr8
	s_branch .LBB73_1400
.LBB73_1386:
	s_mov_b64 s[18:19], -1
	s_mov_b64 s[12:13], s[38:39]
                                        ; implicit-def: $vgpr8
	s_branch .LBB73_1395
.LBB73_1387:
	s_mov_b64 s[18:19], -1
	s_mov_b64 s[12:13], s[38:39]
	s_branch .LBB73_1389
.LBB73_1388:
	s_mov_b64 s[12:13], -1
.LBB73_1389:
                                        ; implicit-def: $vgpr8
.LBB73_1390:
	s_and_b64 vcc, exec, s[18:19]
	s_cbranch_vccz .LBB73_1394
; %bb.1391:
	v_cmp_eq_u16_e32 vcc, 44, v3
	s_cbranch_vccz .LBB73_1393
; %bb.1392:
	global_load_ubyte v2, v[4:5], off
	s_movk_i32 s16, 0xff
	v_mov_b32_e32 v7, 0x7f800001
	v_mov_b32_e32 v8, 0x400000
	s_mov_b64 s[12:13], 0
	s_waitcnt vmcnt(0)
	v_lshlrev_b32_e32 v9, 23, v2
	v_cmp_ne_u32_e32 vcc, s16, v2
	v_cndmask_b32_e32 v7, v7, v9, vcc
	v_cmp_ne_u32_e32 vcc, 0, v2
	v_cndmask_b32_e32 v8, v8, v7, vcc
	s_mov_b64 s[16:17], -1
	s_branch .LBB73_1394
.LBB73_1393:
	s_mov_b64 s[12:13], -1
                                        ; implicit-def: $vgpr8
.LBB73_1394:
	s_mov_b64 s[18:19], 0
.LBB73_1395:
	s_and_b64 vcc, exec, s[18:19]
	s_cbranch_vccz .LBB73_1399
; %bb.1396:
	v_cmp_eq_u16_e32 vcc, 29, v3
	s_cbranch_vccz .LBB73_1398
; %bb.1397:
	global_load_dwordx2 v[8:9], v[4:5], off
	s_mov_b64 s[12:13], 0
	s_mov_b64 s[16:17], -1
	s_mov_b64 s[18:19], 0
	s_waitcnt vmcnt(0)
	v_ffbh_u32_e32 v2, v9
	v_min_u32_e32 v2, 32, v2
	v_lshlrev_b64 v[8:9], v2, v[8:9]
	v_min_u32_e32 v7, 1, v8
	v_or_b32_e32 v7, v9, v7
	v_cvt_f32_u32_e32 v7, v7
	v_sub_u32_e32 v2, 32, v2
	v_ldexp_f32 v8, v7, v2
	s_branch .LBB73_1400
.LBB73_1398:
	s_mov_b64 s[12:13], -1
                                        ; implicit-def: $vgpr8
.LBB73_1399:
	s_mov_b64 s[18:19], 0
.LBB73_1400:
	s_and_b64 vcc, exec, s[18:19]
	s_cbranch_vccz .LBB73_1418
; %bb.1401:
	v_cmp_gt_i16_e32 vcc, 27, v3
	s_cbranch_vccnz .LBB73_1404
; %bb.1402:
	v_cmp_lt_i16_e32 vcc, 27, v3
	s_cbranch_vccz .LBB73_1405
; %bb.1403:
	global_load_dword v2, v[4:5], off
	s_mov_b64 s[16:17], 0
	s_waitcnt vmcnt(0)
	v_cvt_f32_u32_e32 v8, v2
	s_branch .LBB73_1406
.LBB73_1404:
	s_mov_b64 s[16:17], -1
                                        ; implicit-def: $vgpr8
	s_branch .LBB73_1409
.LBB73_1405:
	s_mov_b64 s[16:17], -1
                                        ; implicit-def: $vgpr8
.LBB73_1406:
	s_andn2_b64 vcc, exec, s[16:17]
	s_cbranch_vccnz .LBB73_1408
; %bb.1407:
	global_load_ushort v2, v[4:5], off
	s_waitcnt vmcnt(0)
	v_cvt_f32_u32_e32 v8, v2
.LBB73_1408:
	s_mov_b64 s[16:17], 0
.LBB73_1409:
	s_andn2_b64 vcc, exec, s[16:17]
	s_cbranch_vccnz .LBB73_1417
; %bb.1410:
	global_load_ubyte v2, v[4:5], off
	s_movk_i32 s16, 0x7f
                                        ; implicit-def: $sgpr26
	s_waitcnt vmcnt(0)
	v_cmp_lt_i16_e32 vcc, s16, v2
	s_mov_b64 s[16:17], 0
	s_and_saveexec_b64 s[18:19], vcc
	s_xor_b64 s[18:19], exec, s[18:19]
	s_cbranch_execz .LBB73_1430
; %bb.1411:
	s_movk_i32 s16, 0x80
	v_cmp_eq_u16_e32 vcc, s16, v2
	s_mov_b64 s[16:17], -1
                                        ; implicit-def: $sgpr26
	s_and_saveexec_b64 s[24:25], vcc
; %bb.1412:
	s_mov_b32 s26, 0x7f800001
	s_xor_b64 s[16:17], exec, -1
; %bb.1413:
	s_or_b64 exec, exec, s[24:25]
	s_and_b64 s[16:17], s[16:17], exec
	s_or_saveexec_b64 s[18:19], s[18:19]
	v_mov_b32_e32 v8, s26
	s_xor_b64 exec, exec, s[18:19]
	s_cbranch_execnz .LBB73_1431
.LBB73_1414:
	s_or_b64 exec, exec, s[18:19]
	s_and_saveexec_b64 s[18:19], s[16:17]
	s_cbranch_execz .LBB73_1416
.LBB73_1415:
	v_lshlrev_b32_e32 v7, 24, v2
	v_and_b32_e32 v2, 0xffff, v2
	v_and_b32_e32 v8, 7, v2
	v_ffbh_u32_e32 v10, v8
	v_min_u32_e32 v10, 32, v10
	v_subrev_u32_e32 v11, 28, v10
	v_bfe_u32 v9, v2, 3, 4
	v_lshlrev_b32_e32 v2, v11, v2
	v_sub_u32_e32 v10, 29, v10
	v_and_b32_e32 v2, 7, v2
	v_cmp_eq_u32_e32 vcc, 0, v9
	v_cndmask_b32_e32 v9, v9, v10, vcc
	v_cndmask_b32_e32 v2, v8, v2, vcc
	v_mov_b32_e32 v8, 0x3b800000
	v_lshlrev_b32_e32 v2, 20, v2
	v_and_b32_e32 v7, 0x80000000, v7
	v_lshl_add_u32 v8, v9, 23, v8
	v_or3_b32 v8, v7, v8, v2
.LBB73_1416:
	s_or_b64 exec, exec, s[18:19]
.LBB73_1417:
	s_mov_b64 s[16:17], -1
.LBB73_1418:
	s_branch .LBB73_1451
.LBB73_1419:
	v_cmp_lt_i16_e32 vcc, 22, v3
	s_cbranch_vccz .LBB73_1429
; %bb.1420:
	v_cmp_gt_i16_e32 vcc, 24, v3
	s_cbranch_vccnz .LBB73_1432
; %bb.1421:
	v_cmp_lt_i16_e32 vcc, 24, v3
	s_cbranch_vccz .LBB73_1433
; %bb.1422:
	global_load_ubyte v2, v[4:5], off
	s_movk_i32 s14, 0x7f
                                        ; implicit-def: $sgpr24
	s_waitcnt vmcnt(0)
	v_cmp_lt_i16_e32 vcc, s14, v2
	s_mov_b64 s[14:15], 0
	s_and_saveexec_b64 s[16:17], vcc
	s_xor_b64 s[16:17], exec, s[16:17]
	s_cbranch_execz .LBB73_1445
; %bb.1423:
	s_movk_i32 s14, 0x80
	v_cmp_eq_u16_e32 vcc, s14, v2
	s_mov_b64 s[14:15], -1
                                        ; implicit-def: $sgpr24
	s_and_saveexec_b64 s[18:19], vcc
; %bb.1424:
	s_mov_b32 s24, 0x7f800001
	s_xor_b64 s[14:15], exec, -1
; %bb.1425:
	s_or_b64 exec, exec, s[18:19]
	s_and_b64 s[14:15], s[14:15], exec
	s_or_saveexec_b64 s[16:17], s[16:17]
	v_mov_b32_e32 v8, s24
	s_xor_b64 exec, exec, s[16:17]
	s_cbranch_execnz .LBB73_1446
.LBB73_1426:
	s_or_b64 exec, exec, s[16:17]
	s_and_saveexec_b64 s[16:17], s[14:15]
	s_cbranch_execz .LBB73_1428
.LBB73_1427:
	v_lshlrev_b32_e32 v7, 24, v2
	v_and_b32_e32 v2, 0xffff, v2
	v_and_b32_e32 v8, 3, v2
	v_ffbh_u32_e32 v10, v8
	v_min_u32_e32 v10, 32, v10
	v_subrev_u32_e32 v11, 29, v10
	v_bfe_u32 v9, v2, 2, 5
	v_lshlrev_b32_e32 v2, v11, v2
	v_sub_u32_e32 v10, 30, v10
	v_and_b32_e32 v2, 3, v2
	v_cmp_eq_u32_e32 vcc, 0, v9
	v_cndmask_b32_e32 v9, v9, v10, vcc
	v_cndmask_b32_e32 v2, v8, v2, vcc
	v_mov_b32_e32 v8, 0x37800000
	v_lshlrev_b32_e32 v2, 21, v2
	v_and_b32_e32 v7, 0x80000000, v7
	v_lshl_add_u32 v8, v9, 23, v8
	v_or3_b32 v8, v7, v8, v2
.LBB73_1428:
	s_or_b64 exec, exec, s[16:17]
	s_mov_b64 s[14:15], 0
	s_branch .LBB73_1434
.LBB73_1429:
	s_mov_b64 s[14:15], -1
                                        ; implicit-def: $vgpr8
	s_branch .LBB73_1440
.LBB73_1430:
	s_or_saveexec_b64 s[18:19], s[18:19]
	v_mov_b32_e32 v8, s26
	s_xor_b64 exec, exec, s[18:19]
	s_cbranch_execz .LBB73_1414
.LBB73_1431:
	v_cmp_ne_u16_e32 vcc, 0, v2
	s_andn2_b64 s[16:17], s[16:17], exec
	s_and_b64 s[24:25], vcc, exec
	v_mov_b32_e32 v8, 0
	s_or_b64 s[16:17], s[16:17], s[24:25]
	s_or_b64 exec, exec, s[18:19]
	s_and_saveexec_b64 s[18:19], s[16:17]
	s_cbranch_execnz .LBB73_1415
	s_branch .LBB73_1416
.LBB73_1432:
	s_mov_b64 s[14:15], -1
                                        ; implicit-def: $vgpr8
	s_branch .LBB73_1437
.LBB73_1433:
	s_mov_b64 s[14:15], -1
                                        ; implicit-def: $vgpr8
.LBB73_1434:
	s_and_b64 vcc, exec, s[14:15]
	s_cbranch_vccz .LBB73_1436
; %bb.1435:
	global_load_ubyte v2, v[4:5], off
	s_mov_b32 s14, 0x7f800000
	s_waitcnt vmcnt(0)
	v_lshlrev_b32_e32 v2, 24, v2
	v_and_b32_e32 v7, 0x7f000000, v2
	v_ffbh_u32_e32 v8, v7
	v_min_u32_e32 v8, 32, v8
	v_sub_u32_e64 v8, v8, 4 clamp
	v_lshlrev_b32_e32 v10, v8, v7
	v_lshlrev_b32_e32 v8, 23, v8
	v_lshrrev_b32_e32 v10, 4, v10
	v_add_u32_e32 v9, 0x1000000, v7
	v_sub_u32_e32 v8, v10, v8
	v_ashrrev_i32_e32 v9, 8, v9
	v_add_u32_e32 v8, 0x3c000000, v8
	v_and_or_b32 v8, v9, s14, v8
	v_cmp_ne_u32_e32 vcc, 0, v7
	v_cndmask_b32_e32 v7, 0, v8, vcc
	s_brev_b32 s14, 1
	v_and_or_b32 v8, v2, s14, v7
.LBB73_1436:
	s_mov_b64 s[14:15], 0
.LBB73_1437:
	s_andn2_b64 vcc, exec, s[14:15]
	s_cbranch_vccnz .LBB73_1439
; %bb.1438:
	global_load_ubyte v2, v[4:5], off
	s_movk_i32 s14, 0x7f00
	s_brev_b32 s15, 16
	s_waitcnt vmcnt(0)
	v_lshlrev_b16_e32 v7, 8, v2
	v_lshlrev_b32_e32 v2, 25, v2
	v_lshrrev_b32_e32 v8, 4, v2
	v_and_or_b32 v9, v7, s14, 0.5
	v_or_b32_e32 v8, 0x70000000, v8
	v_add_f32_e32 v9, -0.5, v9
	v_mul_f32_e32 v8, 0x7800000, v8
	v_cmp_gt_u32_e32 vcc, s15, v2
	v_bfe_i32 v7, v7, 0, 16
	v_cndmask_b32_e32 v2, v8, v9, vcc
	s_brev_b32 s14, 1
	v_and_or_b32 v8, v7, s14, v2
.LBB73_1439:
	s_mov_b64 s[14:15], 0
	s_mov_b64 s[16:17], -1
.LBB73_1440:
	s_andn2_b64 vcc, exec, s[14:15]
	s_mov_b64 s[14:15], 0
	s_cbranch_vccnz .LBB73_1451
; %bb.1441:
	v_cmp_lt_i16_e32 vcc, 14, v3
	s_cbranch_vccz .LBB73_1444
; %bb.1442:
	v_cmp_eq_u16_e32 vcc, 15, v3
	s_cbranch_vccz .LBB73_1447
; %bb.1443:
	global_load_ushort v2, v[4:5], off
	s_mov_b64 s[12:13], 0
	s_mov_b64 s[16:17], -1
	s_waitcnt vmcnt(0)
	v_lshlrev_b32_e32 v8, 16, v2
	s_branch .LBB73_1448
.LBB73_1444:
	s_mov_b64 s[18:19], -1
                                        ; implicit-def: $vgpr8
	s_branch .LBB73_1449
.LBB73_1445:
	s_or_saveexec_b64 s[16:17], s[16:17]
	v_mov_b32_e32 v8, s24
	s_xor_b64 exec, exec, s[16:17]
	s_cbranch_execz .LBB73_1426
.LBB73_1446:
	v_cmp_ne_u16_e32 vcc, 0, v2
	s_andn2_b64 s[14:15], s[14:15], exec
	s_and_b64 s[18:19], vcc, exec
	v_mov_b32_e32 v8, 0
	s_or_b64 s[14:15], s[14:15], s[18:19]
	s_or_b64 exec, exec, s[16:17]
	s_and_saveexec_b64 s[16:17], s[14:15]
	s_cbranch_execnz .LBB73_1427
	s_branch .LBB73_1428
.LBB73_1447:
	s_mov_b64 s[12:13], -1
                                        ; implicit-def: $vgpr8
.LBB73_1448:
	s_mov_b64 s[18:19], 0
.LBB73_1449:
	s_and_b64 vcc, exec, s[18:19]
	s_cbranch_vccz .LBB73_1451
; %bb.1450:
	v_cmp_ne_u16_e32 vcc, 11, v3
	s_andn2_b64 s[12:13], s[12:13], exec
	s_and_b64 s[18:19], vcc, exec
	s_mov_b64 s[14:15], -1
	s_or_b64 s[12:13], s[12:13], s[18:19]
                                        ; implicit-def: $vgpr8
.LBB73_1451:
	s_mov_b64 s[18:19], 0
.LBB73_1452:
	s_andn2_b64 s[24:25], s[38:39], exec
	s_and_b64 s[12:13], s[12:13], exec
	s_and_b64 s[16:17], s[16:17], exec
	;; [unrolled: 1-line block ×4, first 2 shown]
	s_or_b64 s[38:39], s[24:25], s[12:13]
	s_or_b64 exec, exec, s[0:1]
	s_and_saveexec_b64 s[0:1], s[38:39]
	s_cbranch_execz .LBB73_1381
.LBB73_1453:
	s_or_b64 s[10:11], s[10:11], exec
	s_andn2_b64 s[14:15], s[14:15], exec
	s_trap 2
                                        ; implicit-def: $vgpr8
	s_or_b64 exec, exec, s[0:1]
	s_and_saveexec_b64 s[0:1], s[14:15]
	s_xor_b64 s[0:1], exec, s[0:1]
	s_cbranch_execnz .LBB73_1382
.LBB73_1454:
	s_or_b64 exec, exec, s[0:1]
	s_and_saveexec_b64 s[0:1], s[18:19]
	s_cbranch_execz .LBB73_1500
.LBB73_1455:
	v_cmp_gt_i16_e32 vcc, 5, v3
	s_cbranch_vccnz .LBB73_1460
; %bb.1456:
	v_cmp_gt_i16_e32 vcc, 8, v3
	s_cbranch_vccnz .LBB73_1461
; %bb.1457:
	;; [unrolled: 3-line block ×3, first 2 shown]
	v_cmp_lt_i16_e32 vcc, 9, v3
	s_cbranch_vccz .LBB73_1463
; %bb.1459:
	s_waitcnt vmcnt(0)
	global_load_dwordx2 v[8:9], v[4:5], off
	s_mov_b64 s[12:13], 0
	s_waitcnt vmcnt(0)
	v_cvt_f32_f64_e32 v8, v[8:9]
	s_branch .LBB73_1464
.LBB73_1460:
                                        ; implicit-def: $vgpr8
	s_branch .LBB73_1481
.LBB73_1461:
                                        ; implicit-def: $vgpr8
	s_branch .LBB73_1470
.LBB73_1462:
	s_mov_b64 s[12:13], -1
                                        ; implicit-def: $vgpr8
	s_branch .LBB73_1467
.LBB73_1463:
	s_mov_b64 s[12:13], -1
                                        ; implicit-def: $vgpr8
.LBB73_1464:
	s_andn2_b64 vcc, exec, s[12:13]
	s_cbranch_vccnz .LBB73_1466
; %bb.1465:
	s_waitcnt vmcnt(0)
	global_load_dword v8, v[4:5], off
.LBB73_1466:
	s_mov_b64 s[12:13], 0
.LBB73_1467:
	s_andn2_b64 vcc, exec, s[12:13]
	s_cbranch_vccnz .LBB73_1469
; %bb.1468:
	s_waitcnt vmcnt(0)
	global_load_dword v2, v[4:5], off
	s_waitcnt vmcnt(0)
	v_cvt_f32_f16_e32 v8, v2
.LBB73_1469:
	s_cbranch_execnz .LBB73_1480
.LBB73_1470:
	v_cmp_gt_i16_e32 vcc, 6, v3
	s_cbranch_vccnz .LBB73_1473
; %bb.1471:
	v_cmp_lt_i16_e32 vcc, 6, v3
	s_cbranch_vccz .LBB73_1474
; %bb.1472:
	s_waitcnt vmcnt(0)
	global_load_dwordx2 v[8:9], v[4:5], off
	s_mov_b64 s[12:13], 0
	s_waitcnt vmcnt(0)
	v_cvt_f32_f64_e32 v8, v[8:9]
	s_branch .LBB73_1475
.LBB73_1473:
	s_mov_b64 s[12:13], -1
                                        ; implicit-def: $vgpr8
	s_branch .LBB73_1478
.LBB73_1474:
	s_mov_b64 s[12:13], -1
                                        ; implicit-def: $vgpr8
.LBB73_1475:
	s_andn2_b64 vcc, exec, s[12:13]
	s_cbranch_vccnz .LBB73_1477
; %bb.1476:
	s_waitcnt vmcnt(0)
	global_load_dword v8, v[4:5], off
.LBB73_1477:
	s_mov_b64 s[12:13], 0
.LBB73_1478:
	s_andn2_b64 vcc, exec, s[12:13]
	s_cbranch_vccnz .LBB73_1480
; %bb.1479:
	s_waitcnt vmcnt(0)
	global_load_ushort v2, v[4:5], off
	s_waitcnt vmcnt(0)
	v_cvt_f32_f16_e32 v8, v2
.LBB73_1480:
	s_cbranch_execnz .LBB73_1499
.LBB73_1481:
	v_cmp_gt_i16_e32 vcc, 2, v3
	s_cbranch_vccnz .LBB73_1485
; %bb.1482:
	v_cmp_gt_i16_e32 vcc, 3, v3
	s_cbranch_vccnz .LBB73_1486
; %bb.1483:
	v_cmp_lt_i16_e32 vcc, 3, v3
	s_cbranch_vccz .LBB73_1487
; %bb.1484:
	s_waitcnt vmcnt(0)
	global_load_dwordx2 v[8:9], v[4:5], off
	s_mov_b64 s[12:13], 0
	s_waitcnt vmcnt(0)
	v_xor_b32_e32 v7, v8, v9
	v_ffbh_i32_e32 v2, v9
	v_ashrrev_i32_e32 v7, 31, v7
	v_add_u32_e32 v2, -1, v2
	v_add_u32_e32 v7, 32, v7
	v_min_u32_e32 v2, v2, v7
	v_lshlrev_b64 v[8:9], v2, v[8:9]
	v_min_u32_e32 v7, 1, v8
	v_or_b32_e32 v7, v9, v7
	v_cvt_f32_i32_e32 v7, v7
	v_sub_u32_e32 v2, 32, v2
	v_ldexp_f32 v8, v7, v2
	s_branch .LBB73_1488
.LBB73_1485:
                                        ; implicit-def: $vgpr8
	s_branch .LBB73_1494
.LBB73_1486:
	s_mov_b64 s[12:13], -1
                                        ; implicit-def: $vgpr8
	s_branch .LBB73_1491
.LBB73_1487:
	s_mov_b64 s[12:13], -1
                                        ; implicit-def: $vgpr8
.LBB73_1488:
	s_andn2_b64 vcc, exec, s[12:13]
	s_cbranch_vccnz .LBB73_1490
; %bb.1489:
	s_waitcnt vmcnt(0)
	global_load_dword v2, v[4:5], off
	s_waitcnt vmcnt(0)
	v_cvt_f32_i32_e32 v8, v2
.LBB73_1490:
	s_mov_b64 s[12:13], 0
.LBB73_1491:
	s_andn2_b64 vcc, exec, s[12:13]
	s_cbranch_vccnz .LBB73_1493
; %bb.1492:
	s_waitcnt vmcnt(0)
	global_load_sshort v2, v[4:5], off
	s_waitcnt vmcnt(0)
	v_cvt_f32_i32_e32 v8, v2
.LBB73_1493:
	s_cbranch_execnz .LBB73_1499
.LBB73_1494:
	v_cmp_lt_i16_e32 vcc, 0, v3
	s_cbranch_vccz .LBB73_1496
; %bb.1495:
	s_waitcnt vmcnt(0)
	global_load_sbyte v2, v[4:5], off
	s_mov_b64 s[12:13], 0
	s_waitcnt vmcnt(0)
	v_cvt_f32_i32_e32 v8, v2
	s_branch .LBB73_1497
.LBB73_1496:
	s_mov_b64 s[12:13], -1
                                        ; implicit-def: $vgpr8
.LBB73_1497:
	s_andn2_b64 vcc, exec, s[12:13]
	s_cbranch_vccnz .LBB73_1499
; %bb.1498:
	s_waitcnt vmcnt(0)
	global_load_ubyte v2, v[4:5], off
	s_waitcnt vmcnt(0)
	v_cvt_f32_ubyte0_e32 v8, v2
.LBB73_1499:
	s_or_b64 s[16:17], s[16:17], exec
.LBB73_1500:
	s_or_b64 exec, exec, s[0:1]
	s_mov_b64 s[18:19], 0
	s_mov_b64 s[14:15], 0
                                        ; implicit-def: $vgpr7
                                        ; implicit-def: $vgpr4_vgpr5
                                        ; implicit-def: $vgpr2
	s_and_saveexec_b64 s[12:13], s[16:17]
	s_cbranch_execz .LBB73_1530
; %bb.1501:
	s_waitcnt vmcnt(0)
	v_trunc_f32_e32 v2, v8
	s_mov_b32 s0, 0x2f800000
	v_mul_f32_e64 v3, |v2|, s0
	v_floor_f32_e32 v3, v3
	s_mov_b32 s0, 0xcf800000
	v_cvt_u32_f32_e32 v4, v3
	v_fma_f32 v3, v3, s0, |v2|
	v_cvt_u32_f32_e32 v3, v3
	v_ashrrev_i32_e32 v2, 31, v2
	v_xor_b32_e32 v5, v4, v2
	v_xor_b32_e32 v3, v3, v2
	v_sub_co_u32_e32 v4, vcc, v3, v2
	v_subb_co_u32_e32 v5, vcc, v5, v2, vcc
	v_cmp_lt_i64_e32 vcc, -1, v[4:5]
	v_mov_b32_e32 v2, 0
	s_and_saveexec_b64 s[0:1], vcc
	s_cbranch_execz .LBB73_1513
; %bb.1502:
	v_cmp_lt_i64_e32 vcc, 0, v[4:5]
	v_mov_b32_e32 v2, 1.0
	s_and_saveexec_b64 s[14:15], vcc
	s_cbranch_execz .LBB73_1512
; %bb.1503:
	v_cmp_ne_u64_e32 vcc, 1, v[4:5]
                                        ; implicit-def: $vgpr2
	s_and_saveexec_b64 s[16:17], vcc
	s_xor_b64 s[16:17], exec, s[16:17]
	s_cbranch_execz .LBB73_1509
; %bb.1504:
	s_mov_b64 s[18:19], 0x81
	v_cmp_gt_u64_e32 vcc, s[18:19], v[4:5]
	v_mov_b32_e32 v2, 0x7fc00000
	s_and_saveexec_b64 s[18:19], vcc
	s_cbranch_execz .LBB73_1508
; %bb.1505:
	s_mov_b64 s[26:27], 1
	s_mov_b64 s[24:25], 0
	v_mov_b32_e32 v3, 1.0
	v_mov_b32_e32 v2, v1
.LBB73_1506:                            ; =>This Inner Loop Header: Depth=1
	s_flbit_i32_b32 s28, s27
	s_min_u32 s30, s28, 32
	s_lshl_b64 s[28:29], s[26:27], s30
	s_min_u32 s28, s28, 1
	s_or_b32 s28, s29, s28
	v_cvt_f32_u32_e32 v7, s28
	s_sub_i32 s30, 32, s30
	s_add_u32 s26, s26, 1
	s_addc_u32 s27, s27, 0
	v_ldexp_f32 v7, v7, s30
	v_cmp_eq_u64_e32 vcc, s[26:27], v[4:5]
	v_mul_f32_e32 v7, v3, v7
	s_or_b64 s[24:25], vcc, s[24:25]
	v_mov_b32_e32 v3, v2
	v_fma_f32 v2, v1, v2, -v7
	s_andn2_b64 exec, exec, s[24:25]
	s_cbranch_execnz .LBB73_1506
; %bb.1507:
	s_or_b64 exec, exec, s[24:25]
.LBB73_1508:
	s_or_b64 exec, exec, s[18:19]
                                        ; implicit-def: $vgpr1
.LBB73_1509:
	s_andn2_saveexec_b64 s[16:17], s[16:17]
; %bb.1510:
	v_mov_b32_e32 v2, v1
; %bb.1511:
	s_or_b64 exec, exec, s[16:17]
.LBB73_1512:
	s_or_b64 exec, exec, s[14:15]
.LBB73_1513:
	s_or_b64 exec, exec, s[0:1]
	v_mov_b32_e32 v1, s9
	v_add_co_u32_e32 v4, vcc, s8, v0
	v_addc_co_u32_e32 v5, vcc, 0, v1, vcc
	v_and_b32_e32 v7, 0xff, v6
	v_cmp_gt_i16_e32 vcc, 11, v7
	s_cbranch_vccnz .LBB73_1533
; %bb.1514:
	v_cmp_lt_i16_e32 vcc, 25, v7
	s_mov_b64 s[14:15], -1
	s_mov_b64 s[0:1], s[36:37]
	s_cbranch_vccz .LBB73_1551
; %bb.1515:
	v_cmp_lt_i16_e32 vcc, 28, v7
	s_mov_b64 s[8:9], -1
	s_mov_b64 s[0:1], s[36:37]
	s_cbranch_vccz .LBB73_1535
; %bb.1516:
	v_cmp_lt_i16_e32 vcc, 43, v7
	s_mov_b64 s[0:1], s[36:37]
	s_cbranch_vccz .LBB73_1527
; %bb.1517:
	v_cmp_lt_i16_e32 vcc, 45, v7
	s_mov_b64 s[0:1], s[36:37]
	s_cbranch_vccz .LBB73_1521
; %bb.1518:
	v_cmp_eq_u16_e32 vcc, 46, v7
	s_mov_b64 s[0:1], -1
	s_cbranch_vccz .LBB73_1520
; %bb.1519:
	v_bfe_u32 v0, v2, 16, 1
	s_movk_i32 s0, 0x7fff
	v_add3_u32 v0, v2, v0, s0
	v_lshrrev_b32_e32 v0, 16, v0
	v_mov_b32_e32 v1, 0x7fc0
	v_cmp_o_f32_e32 vcc, v2, v2
	v_cndmask_b32_e32 v0, v1, v0, vcc
	global_store_dword v[4:5], v0, off
	s_mov_b64 s[0:1], 0
.LBB73_1520:
	s_mov_b64 s[8:9], 0
.LBB73_1521:
	s_and_b64 vcc, exec, s[8:9]
	s_cbranch_vccz .LBB73_1526
; %bb.1522:
	v_cmp_eq_u16_e32 vcc, 44, v7
	s_mov_b64 s[0:1], -1
	s_cbranch_vccz .LBB73_1526
; %bb.1523:
	v_bfe_u32 v0, v2, 23, 8
	s_movk_i32 s0, 0xff
	v_cmp_ne_u32_e32 vcc, s0, v0
	v_mov_b32_e32 v1, 0xff
	s_and_saveexec_b64 s[8:9], vcc
; %bb.1524:
	s_mov_b32 s0, 0x3fffff
	v_and_b32_e32 v3, 0x400000, v2
	v_and_or_b32 v0, v2, s0, v0
	v_cmp_ne_u32_e32 vcc, 0, v3
	v_cmp_ne_u32_e64 s[0:1], 0, v0
	s_and_b64 s[0:1], vcc, s[0:1]
	v_lshrrev_b32_e32 v1, 23, v2
	v_cndmask_b32_e64 v0, 0, 1, s[0:1]
	v_add_u32_e32 v1, v1, v0
; %bb.1525:
	s_or_b64 exec, exec, s[8:9]
	s_mov_b64 s[0:1], 0
	global_store_byte v[4:5], v1, off
.LBB73_1526:
	s_mov_b64 s[8:9], 0
.LBB73_1527:
	s_and_b64 vcc, exec, s[8:9]
	s_cbranch_vccz .LBB73_1534
; %bb.1528:
	v_cmp_eq_u16_e32 vcc, 29, v7
	s_mov_b64 s[0:1], -1
	s_cbranch_vccz .LBB73_1534
; %bb.1529:
	v_trunc_f32_e32 v0, v2
	v_mul_f32_e32 v1, 0x2f800000, v0
	v_floor_f32_e32 v3, v1
	v_fmac_f32_e32 v0, 0xcf800000, v3
	v_cvt_u32_f32_e32 v1, v3
	v_cvt_u32_f32_e32 v0, v0
	s_mov_b64 s[0:1], 0
	s_mov_b64 s[8:9], 0
	global_store_dwordx2 v[4:5], v[0:1], off
	s_branch .LBB73_1535
.LBB73_1530:
	s_or_b64 exec, exec, s[12:13]
	s_and_saveexec_b64 s[0:1], s[36:37]
	s_cbranch_execnz .LBB73_1593
.LBB73_1531:
	s_or_b64 exec, exec, s[0:1]
	s_and_saveexec_b64 s[0:1], s[18:19]
	s_xor_b64 s[0:1], exec, s[0:1]
	s_cbranch_execz .LBB73_1594
.LBB73_1532:
	v_cmp_neq_f32_e32 vcc, 0, v2
	v_cndmask_b32_e64 v0, 0, 1, vcc
	s_waitcnt vmcnt(0)
	global_store_byte v[4:5], v0, off
	s_or_b64 exec, exec, s[0:1]
	s_and_saveexec_b64 s[0:1], s[14:15]
	s_xor_b64 s[0:1], exec, s[0:1]
	s_cbranch_execz .LBB73_1632
	s_branch .LBB73_1595
.LBB73_1533:
	s_mov_b64 s[16:17], 0
	s_mov_b64 s[8:9], -1
	s_mov_b64 s[0:1], s[36:37]
	s_branch .LBB73_1592
.LBB73_1534:
	s_mov_b64 s[8:9], 0
.LBB73_1535:
	s_and_b64 vcc, exec, s[8:9]
	s_cbranch_vccz .LBB73_1550
; %bb.1536:
	v_cmp_gt_i16_e32 vcc, 27, v7
	s_mov_b64 s[8:9], -1
	s_cbranch_vccnz .LBB73_1542
; %bb.1537:
	v_cmp_lt_i16_e32 vcc, 27, v7
	s_cbranch_vccz .LBB73_1539
; %bb.1538:
	v_cvt_u32_f32_e32 v0, v2
	s_mov_b64 s[8:9], 0
	global_store_dword v[4:5], v0, off
.LBB73_1539:
	s_andn2_b64 vcc, exec, s[8:9]
	s_cbranch_vccnz .LBB73_1541
; %bb.1540:
	v_cvt_u32_f32_e32 v0, v2
	global_store_short v[4:5], v0, off
.LBB73_1541:
	s_mov_b64 s[8:9], 0
.LBB73_1542:
	s_andn2_b64 vcc, exec, s[8:9]
	s_cbranch_vccnz .LBB73_1550
; %bb.1543:
	v_and_b32_e32 v0, 0x7fffffff, v2
	s_mov_b32 s8, 0x43800000
	v_cmp_gt_u32_e32 vcc, s8, v0
	v_mov_b32_e32 v1, 0x80
	s_and_saveexec_b64 s[8:9], vcc
	s_cbranch_execz .LBB73_1549
; %bb.1544:
	s_mov_b32 s14, 0x3bffffff
	v_cmp_lt_u32_e32 vcc, s14, v0
	s_mov_b64 s[14:15], 0
                                        ; implicit-def: $vgpr0
	s_and_saveexec_b64 s[16:17], vcc
	s_xor_b64 s[16:17], exec, s[16:17]
	s_cbranch_execz .LBB73_1687
; %bb.1545:
	v_bfe_u32 v0, v2, 20, 1
	s_mov_b32 s18, 0x487ffff
	v_add3_u32 v0, v2, v0, s18
	s_mov_b64 s[14:15], exec
	v_lshrrev_b32_e32 v0, 20, v0
	s_or_saveexec_b64 s[16:17], s[16:17]
                                        ; implicit-def: $sgpr18
	s_xor_b64 exec, exec, s[16:17]
	s_cbranch_execnz .LBB73_1688
.LBB73_1546:
	s_or_b64 exec, exec, s[16:17]
	v_mov_b32_e32 v1, s18
	s_and_saveexec_b64 s[16:17], s[14:15]
.LBB73_1547:
	v_lshrrev_b32_e32 v1, 24, v2
	s_movk_i32 s14, 0x80
	v_and_or_b32 v1, v1, s14, v0
.LBB73_1548:
	s_or_b64 exec, exec, s[16:17]
.LBB73_1549:
	s_or_b64 exec, exec, s[8:9]
	global_store_byte v[4:5], v1, off
.LBB73_1550:
	s_mov_b64 s[14:15], 0
.LBB73_1551:
	s_mov_b64 s[8:9], 0
	s_and_b64 vcc, exec, s[14:15]
	s_cbranch_vccz .LBB73_1591
; %bb.1552:
	v_cmp_lt_i16_e32 vcc, 22, v7
	s_mov_b64 s[14:15], -1
	s_cbranch_vccz .LBB73_1584
; %bb.1553:
	v_cmp_gt_i16_e32 vcc, 24, v7
	s_cbranch_vccnz .LBB73_1573
; %bb.1554:
	v_cmp_lt_i16_e32 vcc, 24, v7
	s_cbranch_vccz .LBB73_1562
; %bb.1555:
	v_and_b32_e32 v0, 0x7fffffff, v2
	s_mov_b32 s14, 0x47800000
	v_cmp_gt_u32_e32 vcc, s14, v0
	v_mov_b32_e32 v1, 0x80
	s_and_saveexec_b64 s[14:15], vcc
	s_cbranch_execz .LBB73_1561
; %bb.1556:
	s_mov_b32 s16, 0x37ffffff
	v_cmp_lt_u32_e32 vcc, s16, v0
	s_mov_b64 s[16:17], 0
                                        ; implicit-def: $vgpr0
	s_and_saveexec_b64 s[18:19], vcc
	s_xor_b64 s[18:19], exec, s[18:19]
	s_cbranch_execz .LBB73_1812
; %bb.1557:
	v_bfe_u32 v0, v2, 21, 1
	s_mov_b32 s24, 0x88fffff
	v_add3_u32 v0, v2, v0, s24
	s_mov_b64 s[16:17], exec
	v_lshrrev_b32_e32 v0, 21, v0
	s_or_saveexec_b64 s[18:19], s[18:19]
                                        ; implicit-def: $sgpr24
	s_xor_b64 exec, exec, s[18:19]
	s_cbranch_execnz .LBB73_1813
.LBB73_1558:
	s_or_b64 exec, exec, s[18:19]
	v_mov_b32_e32 v1, s24
	s_and_saveexec_b64 s[18:19], s[16:17]
.LBB73_1559:
	v_lshrrev_b32_e32 v1, 24, v2
	s_movk_i32 s16, 0x80
	v_and_or_b32 v1, v1, s16, v0
.LBB73_1560:
	s_or_b64 exec, exec, s[18:19]
.LBB73_1561:
	s_or_b64 exec, exec, s[14:15]
	s_mov_b64 s[14:15], 0
	global_store_byte v[4:5], v1, off
.LBB73_1562:
	s_and_b64 vcc, exec, s[14:15]
	s_cbranch_vccz .LBB73_1572
; %bb.1563:
	v_and_b32_e32 v1, 0x7fffffff, v2
	s_mov_b32 s14, 0x43f00000
	v_cmp_gt_u32_e32 vcc, s14, v1
                                        ; implicit-def: $vgpr0
	s_and_saveexec_b64 s[14:15], vcc
	s_xor_b64 s[14:15], exec, s[14:15]
	s_cbranch_execz .LBB73_1569
; %bb.1564:
	s_mov_b32 s16, 0x3c7fffff
	v_cmp_lt_u32_e32 vcc, s16, v1
                                        ; implicit-def: $vgpr0
	s_and_saveexec_b64 s[16:17], vcc
	s_xor_b64 s[16:17], exec, s[16:17]
; %bb.1565:
	v_bfe_u32 v0, v2, 20, 1
	s_mov_b32 s18, 0x407ffff
	v_add3_u32 v0, v2, v0, s18
	v_lshrrev_b32_e32 v1, 20, v0
	v_and_b32_e32 v0, 0xff00000, v0
	s_mov_b32 s18, 0x7f00000
	v_mov_b32_e32 v3, 0x7e
	v_cmp_ne_u32_e32 vcc, s18, v0
	v_cndmask_b32_e32 v0, v3, v1, vcc
; %bb.1566:
	s_andn2_saveexec_b64 s[16:17], s[16:17]
; %bb.1567:
	s_mov_b32 s18, 0x46800000
	v_add_f32_e64 v0, |v2|, s18
; %bb.1568:
	s_or_b64 exec, exec, s[16:17]
                                        ; implicit-def: $vgpr1
.LBB73_1569:
	s_andn2_saveexec_b64 s[14:15], s[14:15]
; %bb.1570:
	s_mov_b32 s16, 0x7f800000
	v_mov_b32_e32 v0, 0x7e
	v_mov_b32_e32 v3, 0x7f
	v_cmp_lt_u32_e32 vcc, s16, v1
	v_cndmask_b32_e32 v0, v0, v3, vcc
; %bb.1571:
	s_or_b64 exec, exec, s[14:15]
	v_lshrrev_b32_e32 v1, 24, v2
	s_movk_i32 s14, 0x80
	v_and_or_b32 v0, v1, s14, v0
	global_store_byte v[4:5], v0, off
.LBB73_1572:
	s_mov_b64 s[14:15], 0
.LBB73_1573:
	s_andn2_b64 vcc, exec, s[14:15]
	s_cbranch_vccnz .LBB73_1583
; %bb.1574:
	v_and_b32_e32 v1, 0x7fffffff, v2
	s_mov_b32 s14, 0x47800000
	v_cmp_gt_u32_e32 vcc, s14, v1
                                        ; implicit-def: $vgpr0
	s_and_saveexec_b64 s[14:15], vcc
	s_xor_b64 s[14:15], exec, s[14:15]
	s_cbranch_execz .LBB73_1580
; %bb.1575:
	s_mov_b32 s16, 0x387fffff
	v_cmp_lt_u32_e32 vcc, s16, v1
                                        ; implicit-def: $vgpr0
	s_and_saveexec_b64 s[16:17], vcc
	s_xor_b64 s[16:17], exec, s[16:17]
; %bb.1576:
	v_bfe_u32 v0, v2, 21, 1
	s_mov_b32 s18, 0x80fffff
	v_add3_u32 v0, v2, v0, s18
	v_lshrrev_b32_e32 v0, 21, v0
; %bb.1577:
	s_andn2_saveexec_b64 s[16:17], s[16:17]
; %bb.1578:
	s_mov_b32 s18, 0x43000000
	v_add_f32_e64 v0, |v2|, s18
; %bb.1579:
	s_or_b64 exec, exec, s[16:17]
                                        ; implicit-def: $vgpr1
.LBB73_1580:
	s_andn2_saveexec_b64 s[14:15], s[14:15]
; %bb.1581:
	s_mov_b32 s16, 0x7f800000
	v_mov_b32_e32 v0, 0x7c
	v_mov_b32_e32 v3, 0x7f
	v_cmp_lt_u32_e32 vcc, s16, v1
	v_cndmask_b32_e32 v0, v0, v3, vcc
; %bb.1582:
	s_or_b64 exec, exec, s[14:15]
	v_lshrrev_b32_e32 v1, 24, v2
	s_movk_i32 s14, 0x80
	v_and_or_b32 v0, v1, s14, v0
	global_store_byte v[4:5], v0, off
.LBB73_1583:
	s_mov_b64 s[14:15], 0
.LBB73_1584:
	s_andn2_b64 vcc, exec, s[14:15]
	s_mov_b64 s[16:17], 0
	s_cbranch_vccnz .LBB73_1592
; %bb.1585:
	v_cmp_lt_i16_e32 vcc, 14, v7
	s_mov_b64 s[14:15], -1
	s_cbranch_vccz .LBB73_1589
; %bb.1586:
	v_cmp_eq_u16_e32 vcc, 15, v7
	s_mov_b64 s[0:1], -1
	s_cbranch_vccz .LBB73_1588
; %bb.1587:
	v_bfe_u32 v0, v2, 16, 1
	s_movk_i32 s0, 0x7fff
	v_add3_u32 v0, v2, v0, s0
	v_lshrrev_b32_e32 v0, 16, v0
	v_mov_b32_e32 v1, 0x7fc0
	v_cmp_o_f32_e32 vcc, v2, v2
	v_cndmask_b32_e32 v0, v1, v0, vcc
	global_store_short v[4:5], v0, off
	s_mov_b64 s[0:1], 0
.LBB73_1588:
	s_mov_b64 s[14:15], 0
.LBB73_1589:
	s_and_b64 vcc, exec, s[14:15]
	s_cbranch_vccz .LBB73_1592
; %bb.1590:
	v_cmp_ne_u16_e32 vcc, 11, v7
	s_andn2_b64 s[0:1], s[0:1], exec
	s_and_b64 s[14:15], vcc, exec
	s_mov_b64 s[16:17], -1
	s_or_b64 s[0:1], s[0:1], s[14:15]
	s_branch .LBB73_1592
.LBB73_1591:
	s_mov_b64 s[16:17], 0
.LBB73_1592:
	s_and_b64 s[14:15], s[8:9], exec
	s_andn2_b64 s[8:9], s[36:37], exec
	s_and_b64 s[0:1], s[0:1], exec
	s_and_b64 s[18:19], s[16:17], exec
	s_or_b64 s[36:37], s[8:9], s[0:1]
	s_or_b64 exec, exec, s[12:13]
	s_and_saveexec_b64 s[0:1], s[36:37]
	s_cbranch_execz .LBB73_1531
.LBB73_1593:
	s_or_b64 s[10:11], s[10:11], exec
	s_andn2_b64 s[18:19], s[18:19], exec
	s_trap 2
	s_or_b64 exec, exec, s[0:1]
	s_and_saveexec_b64 s[0:1], s[18:19]
	s_xor_b64 s[0:1], exec, s[0:1]
	s_cbranch_execnz .LBB73_1532
.LBB73_1594:
	s_or_b64 exec, exec, s[0:1]
	s_and_saveexec_b64 s[0:1], s[14:15]
	s_xor_b64 s[0:1], exec, s[0:1]
	s_cbranch_execz .LBB73_1632
.LBB73_1595:
	s_waitcnt vmcnt(0)
	v_cmp_gt_i16_e32 vcc, 5, v7
	s_mov_b64 s[8:9], -1
	s_cbranch_vccnz .LBB73_1616
; %bb.1596:
	v_cmp_gt_i16_e32 vcc, 8, v7
	s_cbranch_vccnz .LBB73_1606
; %bb.1597:
	v_cmp_gt_i16_e32 vcc, 9, v7
	s_cbranch_vccnz .LBB73_1603
; %bb.1598:
	v_cmp_lt_i16_e32 vcc, 9, v7
	s_cbranch_vccz .LBB73_1600
; %bb.1599:
	v_mov_b32_e32 v10, 0
	v_cvt_f64_f32_e32 v[8:9], v2
	v_mov_b32_e32 v11, v10
	s_mov_b64 s[8:9], 0
	global_store_dwordx4 v[4:5], v[8:11], off
.LBB73_1600:
	s_andn2_b64 vcc, exec, s[8:9]
	s_cbranch_vccnz .LBB73_1602
; %bb.1601:
	v_mov_b32_e32 v3, 0
	global_store_dwordx2 v[4:5], v[2:3], off
.LBB73_1602:
	s_mov_b64 s[8:9], 0
.LBB73_1603:
	s_andn2_b64 vcc, exec, s[8:9]
	s_cbranch_vccnz .LBB73_1605
; %bb.1604:
	v_cvt_f16_f32_e32 v0, v2
	global_store_dword v[4:5], v0, off
.LBB73_1605:
	s_mov_b64 s[8:9], 0
.LBB73_1606:
	s_andn2_b64 vcc, exec, s[8:9]
	s_cbranch_vccnz .LBB73_1615
; %bb.1607:
	v_cmp_gt_i16_e32 vcc, 6, v7
	s_mov_b64 s[8:9], -1
	s_cbranch_vccnz .LBB73_1613
; %bb.1608:
	v_cmp_lt_i16_e32 vcc, 6, v7
	s_cbranch_vccz .LBB73_1610
; %bb.1609:
	v_cvt_f64_f32_e32 v[0:1], v2
	s_mov_b64 s[8:9], 0
	global_store_dwordx2 v[4:5], v[0:1], off
.LBB73_1610:
	s_andn2_b64 vcc, exec, s[8:9]
	s_cbranch_vccnz .LBB73_1612
; %bb.1611:
	global_store_dword v[4:5], v2, off
.LBB73_1612:
	s_mov_b64 s[8:9], 0
.LBB73_1613:
	s_andn2_b64 vcc, exec, s[8:9]
	s_cbranch_vccnz .LBB73_1615
; %bb.1614:
	v_cvt_f16_f32_e32 v0, v2
	global_store_short v[4:5], v0, off
.LBB73_1615:
	s_mov_b64 s[8:9], 0
.LBB73_1616:
	s_andn2_b64 vcc, exec, s[8:9]
	s_cbranch_vccnz .LBB73_1632
; %bb.1617:
	v_cmp_gt_i16_e32 vcc, 2, v7
	s_mov_b64 s[8:9], -1
	s_cbranch_vccnz .LBB73_1627
; %bb.1618:
	v_cmp_gt_i16_e32 vcc, 3, v7
	s_cbranch_vccnz .LBB73_1624
; %bb.1619:
	v_cmp_lt_i16_e32 vcc, 3, v7
	s_cbranch_vccz .LBB73_1621
; %bb.1620:
	v_trunc_f32_e32 v0, v2
	s_mov_b32 s8, 0x2f800000
	v_mul_f32_e64 v1, |v0|, s8
	v_floor_f32_e32 v1, v1
	s_mov_b32 s8, 0xcf800000
	v_cvt_u32_f32_e32 v3, v1
	v_fma_f32 v1, v1, s8, |v0|
	v_cvt_u32_f32_e32 v1, v1
	v_ashrrev_i32_e32 v6, 31, v0
	v_xor_b32_e32 v3, v3, v6
	s_mov_b64 s[8:9], 0
	v_xor_b32_e32 v0, v1, v6
	v_sub_co_u32_e32 v0, vcc, v0, v6
	v_subb_co_u32_e32 v1, vcc, v3, v6, vcc
	global_store_dwordx2 v[4:5], v[0:1], off
.LBB73_1621:
	s_andn2_b64 vcc, exec, s[8:9]
	s_cbranch_vccnz .LBB73_1623
; %bb.1622:
	v_cvt_i32_f32_e32 v0, v2
	global_store_dword v[4:5], v0, off
.LBB73_1623:
	s_mov_b64 s[8:9], 0
.LBB73_1624:
	s_andn2_b64 vcc, exec, s[8:9]
	s_cbranch_vccnz .LBB73_1626
; %bb.1625:
	v_cvt_i32_f32_e32 v0, v2
	global_store_short v[4:5], v0, off
.LBB73_1626:
	s_mov_b64 s[8:9], 0
.LBB73_1627:
	s_andn2_b64 vcc, exec, s[8:9]
	s_cbranch_vccnz .LBB73_1632
; %bb.1628:
	v_cmp_lt_i16_e32 vcc, 0, v7
	s_mov_b64 s[8:9], -1
	s_cbranch_vccz .LBB73_1630
; %bb.1629:
	v_cvt_i32_f32_e32 v0, v2
	s_mov_b64 s[8:9], 0
	global_store_byte v[4:5], v0, off
.LBB73_1630:
	s_andn2_b64 vcc, exec, s[8:9]
	s_cbranch_vccnz .LBB73_1632
; %bb.1631:
	v_trunc_f32_e32 v0, v2
	s_mov_b32 s8, 0x2f800000
	v_mul_f32_e64 v1, |v0|, s8
	v_floor_f32_e32 v1, v1
	s_mov_b32 s8, 0xcf800000
	v_fma_f32 v1, v1, s8, |v0|
	v_cvt_u32_f32_e32 v1, v1
	v_ashrrev_i32_e32 v0, 31, v0
	v_xor_b32_e32 v1, v1, v0
	v_sub_u32_e32 v0, v1, v0
	global_store_byte v[4:5], v0, off
.LBB73_1632:
	s_or_b64 exec, exec, s[0:1]
	s_and_b64 s[12:13], s[10:11], exec
                                        ; implicit-def: $vgpr24
                                        ; implicit-def: $vgpr9
.LBB73_1633:
	s_or_saveexec_b64 s[14:15], s[22:23]
	s_mov_b64 s[0:1], 0
                                        ; implicit-def: $vgpr0_vgpr1
                                        ; implicit-def: $vgpr2
                                        ; implicit-def: $vgpr8
	s_xor_b64 exec, exec, s[14:15]
	s_cbranch_execz .LBB73_2766
; %bb.1634:
	v_cndmask_b32_e64 v0, 0, 1, s[20:21]
	v_cmp_ne_u32_e64 s[0:1], 1, v0
	s_andn2_b64 vcc, exec, s[20:21]
	s_cbranch_vccnz .LBB73_1640
; %bb.1635:
	s_cmp_lg_u32 s33, 0
	v_mov_b32_e32 v10, 0
	v_mov_b32_e32 v22, 0
	;; [unrolled: 1-line block ×3, first 2 shown]
	s_cbranch_scc0 .LBB73_1641
; %bb.1636:
	s_min_u32 s8, s68, 15
	s_add_i32 s6, s8, 1
	s_and_b32 s9, s6, 30
	s_add_u32 s6, s2, 0xffffffec
	s_addc_u32 s7, s3, -1
	v_mov_b32_e32 v6, 0
	v_mov_b32_e32 v0, v9
	;; [unrolled: 1-line block ×4, first 2 shown]
.LBB73_1637:                            ; =>This Inner Loop Header: Depth=1
	s_mov_b64 s[10:11], s[6:7]
	s_load_dwordx4 s[16:19], s[10:11], 0x18
	s_load_dwordx2 s[24:25], s[10:11], 0x28
	s_load_dwordx2 s[26:27], s[10:11], 0xe8
	s_load_dwordx4 s[20:23], s[10:11], 0xd8
	s_add_u32 s6, s10, 24
	s_waitcnt vmcnt(0) lgkmcnt(0)
	v_mul_hi_u32 v1, s17, v0
	v_add_u32_e32 v1, v0, v1
	v_lshrrev_b32_e32 v1, s18, v1
	v_mul_lo_u32 v2, v1, s16
	v_mul_hi_u32 v3, s24, v1
	v_sub_u32_e32 v0, v0, v2
	v_add_u32_e32 v2, v1, v3
	v_mul_lo_u32 v3, v0, s20
	v_mul_lo_u32 v4, v0, s21
	;; [unrolled: 1-line block ×3, first 2 shown]
	v_lshrrev_b32_e32 v0, s25, v2
	v_mul_lo_u32 v2, v0, s19
	v_sub_u32_e32 v1, v1, v2
	s_addc_u32 s7, s11, 0
	s_add_i32 s9, s9, -2
	v_mul_lo_u32 v2, v1, s23
	v_mul_lo_u32 v7, v1, s26
	;; [unrolled: 1-line block ×3, first 2 shown]
	s_cmp_lg_u32 s9, 0
	v_add3_u32 v6, v3, v6, v2
	v_add3_u32 v10, v5, v10, v1
	;; [unrolled: 1-line block ×3, first 2 shown]
	s_cbranch_scc1 .LBB73_1637
; %bb.1638:
	s_bitcmp1_b32 s8, 0
	s_cselect_b64 s[8:9], -1, 0
	s_and_b64 vcc, exec, s[8:9]
	s_cbranch_vccnz .LBB73_1641
; %bb.1639:
	s_load_dwordx2 s[8:9], s[6:7], 0x18
	s_load_dword s16, s[6:7], 0x20
	s_load_dword s17, s[6:7], 0xe0
	s_load_dwordx2 s[10:11], s[6:7], 0xd8
	s_waitcnt lgkmcnt(0)
	v_mul_hi_u32 v1, s9, v0
	v_add_u32_e32 v1, v0, v1
	v_lshrrev_b32_e32 v1, s16, v1
	v_mul_lo_u32 v1, v1, s8
	v_sub_u32_e32 v0, v0, v1
	v_mad_u64_u32 v[6:7], s[6:7], v0, s10, v[6:7]
	v_mad_u64_u32 v[22:23], s[6:7], v0, s11, v[22:23]
	;; [unrolled: 1-line block ×3, first 2 shown]
	s_cbranch_execz .LBB73_1642
	s_branch .LBB73_1644
.LBB73_1640:
                                        ; implicit-def: $vgpr10
                                        ; implicit-def: $vgpr22
                                        ; implicit-def: $vgpr6
	s_branch .LBB73_1642
.LBB73_1641:
	s_cbranch_execnz .LBB73_1644
.LBB73_1642:
	s_load_dwordx4 s[8:11], s[2:3], 0x4
	s_load_dwordx4 s[16:19], s[2:3], 0xc4
	s_cmp_lt_u32 s33, 2
	s_waitcnt lgkmcnt(0)
	v_mul_hi_u32 v0, s9, v9
	v_add_u32_e32 v0, v9, v0
	v_lshrrev_b32_e32 v0, s10, v0
	s_waitcnt vmcnt(0)
	v_mul_lo_u32 v1, v0, s8
	v_sub_u32_e32 v1, v9, v1
	v_mul_lo_u32 v6, v1, s16
	v_mul_lo_u32 v10, v1, s18
	;; [unrolled: 1-line block ×3, first 2 shown]
	s_cbranch_scc1 .LBB73_1644
; %bb.1643:
	s_load_dwordx4 s[8:11], s[2:3], 0x10
	s_load_dwordx4 s[16:19], s[2:3], 0xd0
	s_waitcnt lgkmcnt(0)
	v_mul_hi_u32 v1, s9, v0
	v_add_u32_e32 v1, v0, v1
	v_lshrrev_b32_e32 v1, s10, v1
	v_mul_lo_u32 v1, v1, s8
	v_sub_u32_e32 v0, v0, v1
	v_mad_u64_u32 v[6:7], s[6:7], v0, s16, v[6:7]
	v_mad_u64_u32 v[22:23], s[6:7], v0, s17, v[22:23]
	;; [unrolled: 1-line block ×3, first 2 shown]
.LBB73_1644:
	s_and_b64 vcc, exec, s[0:1]
	v_add_u32_e32 v0, 0x80, v9
	s_cbranch_vccnz .LBB73_1650
; %bb.1645:
	s_cmp_lg_u32 s33, 0
	v_mov_b32_e32 v14, 0
	v_mov_b32_e32 v20, 0
	s_waitcnt vmcnt(0)
	v_mov_b32_e32 v4, 0
	s_cbranch_scc0 .LBB73_1651
; %bb.1646:
	s_min_u32 s8, s68, 15
	s_add_i32 s6, s8, 1
	s_and_b32 s9, s6, 30
	s_add_u32 s6, s2, 0xffffffec
	s_addc_u32 s7, s3, -1
	v_mov_b32_e32 v4, 0
	v_mov_b32_e32 v1, v0
	;; [unrolled: 1-line block ×4, first 2 shown]
.LBB73_1647:                            ; =>This Inner Loop Header: Depth=1
	s_mov_b64 s[10:11], s[6:7]
	s_load_dwordx4 s[16:19], s[10:11], 0x18
	s_load_dwordx2 s[24:25], s[10:11], 0x28
	s_load_dwordx2 s[26:27], s[10:11], 0xe8
	s_load_dwordx4 s[20:23], s[10:11], 0xd8
	s_add_u32 s6, s10, 24
	s_waitcnt lgkmcnt(0)
	v_mul_hi_u32 v2, s17, v1
	v_add_u32_e32 v2, v1, v2
	v_lshrrev_b32_e32 v2, s18, v2
	v_mul_lo_u32 v3, v2, s16
	v_mul_hi_u32 v5, s24, v2
	v_sub_u32_e32 v1, v1, v3
	v_add_u32_e32 v3, v2, v5
	v_mul_lo_u32 v5, v1, s20
	v_mul_lo_u32 v7, v1, s21
	;; [unrolled: 1-line block ×3, first 2 shown]
	v_lshrrev_b32_e32 v1, s25, v3
	v_mul_lo_u32 v3, v1, s19
	v_sub_u32_e32 v2, v2, v3
	s_addc_u32 s7, s11, 0
	s_add_i32 s9, s9, -2
	v_mul_lo_u32 v3, v2, s23
	v_mul_lo_u32 v11, v2, s26
	;; [unrolled: 1-line block ×3, first 2 shown]
	s_cmp_lg_u32 s9, 0
	v_add3_u32 v4, v5, v4, v3
	v_add3_u32 v14, v8, v14, v2
	;; [unrolled: 1-line block ×3, first 2 shown]
	s_cbranch_scc1 .LBB73_1647
; %bb.1648:
	s_bitcmp1_b32 s8, 0
	s_cselect_b64 s[8:9], -1, 0
	s_and_b64 vcc, exec, s[8:9]
	s_cbranch_vccnz .LBB73_1651
; %bb.1649:
	s_load_dwordx2 s[8:9], s[6:7], 0x18
	s_load_dword s16, s[6:7], 0x20
	s_load_dword s17, s[6:7], 0xe0
	s_load_dwordx2 s[10:11], s[6:7], 0xd8
	s_waitcnt lgkmcnt(0)
	v_mul_hi_u32 v2, s9, v1
	v_add_u32_e32 v2, v1, v2
	v_lshrrev_b32_e32 v2, s16, v2
	v_mul_lo_u32 v2, v2, s8
	v_sub_u32_e32 v1, v1, v2
	v_mad_u64_u32 v[4:5], s[6:7], v1, s10, v[4:5]
	v_mad_u64_u32 v[20:21], s[6:7], v1, s11, v[20:21]
	;; [unrolled: 1-line block ×3, first 2 shown]
	s_cbranch_execz .LBB73_1652
	s_branch .LBB73_1654
.LBB73_1650:
                                        ; implicit-def: $vgpr14
                                        ; implicit-def: $vgpr20
                                        ; implicit-def: $vgpr4
	s_branch .LBB73_1652
.LBB73_1651:
	s_cbranch_execnz .LBB73_1654
.LBB73_1652:
	s_load_dwordx4 s[8:11], s[2:3], 0x4
	s_load_dwordx4 s[16:19], s[2:3], 0xc4
	s_cmp_lt_u32 s33, 2
	s_waitcnt vmcnt(0) lgkmcnt(0)
	v_mul_hi_u32 v1, s9, v0
	v_add_u32_e32 v1, v0, v1
	v_lshrrev_b32_e32 v1, s10, v1
	v_mul_lo_u32 v2, v1, s8
	v_sub_u32_e32 v0, v0, v2
	v_mul_lo_u32 v4, v0, s16
	v_mul_lo_u32 v14, v0, s18
	;; [unrolled: 1-line block ×3, first 2 shown]
	s_cbranch_scc1 .LBB73_1654
; %bb.1653:
	s_load_dwordx4 s[8:11], s[2:3], 0x10
	s_load_dwordx4 s[16:19], s[2:3], 0xd0
	s_waitcnt lgkmcnt(0)
	v_mul_hi_u32 v0, s9, v1
	v_add_u32_e32 v0, v1, v0
	v_lshrrev_b32_e32 v0, s10, v0
	v_mul_lo_u32 v0, v0, s8
	v_sub_u32_e32 v0, v1, v0
	v_mad_u64_u32 v[4:5], s[6:7], v0, s16, v[4:5]
	v_mad_u64_u32 v[20:21], s[6:7], v0, s17, v[20:21]
	;; [unrolled: 1-line block ×3, first 2 shown]
.LBB73_1654:
	s_and_b64 vcc, exec, s[0:1]
	v_add_u32_e32 v0, 0x100, v9
	s_cbranch_vccnz .LBB73_1660
; %bb.1655:
	s_cmp_lg_u32 s33, 0
	v_mov_b32_e32 v16, 0
	v_mov_b32_e32 v18, 0
	v_mov_b32_e32 v2, 0
	s_cbranch_scc0 .LBB73_1661
; %bb.1656:
	s_min_u32 s8, s68, 15
	s_add_i32 s6, s8, 1
	s_and_b32 s9, s6, 30
	s_add_u32 s6, s2, 0xffffffec
	s_addc_u32 s7, s3, -1
	v_mov_b32_e32 v2, 0
	s_waitcnt vmcnt(0)
	v_mov_b32_e32 v1, v0
	v_mov_b32_e32 v18, 0
	;; [unrolled: 1-line block ×3, first 2 shown]
.LBB73_1657:                            ; =>This Inner Loop Header: Depth=1
	s_mov_b64 s[10:11], s[6:7]
	s_load_dwordx4 s[16:19], s[10:11], 0x18
	s_load_dwordx2 s[24:25], s[10:11], 0x28
	s_load_dwordx2 s[26:27], s[10:11], 0xe8
	s_load_dwordx4 s[20:23], s[10:11], 0xd8
	s_add_u32 s6, s10, 24
	s_waitcnt lgkmcnt(0)
	v_mul_hi_u32 v3, s17, v1
	v_add_u32_e32 v3, v1, v3
	v_lshrrev_b32_e32 v3, s18, v3
	v_mul_lo_u32 v5, v3, s16
	v_mul_hi_u32 v7, s24, v3
	v_sub_u32_e32 v1, v1, v5
	v_add_u32_e32 v5, v3, v7
	v_mul_lo_u32 v7, v1, s20
	v_mul_lo_u32 v8, v1, s21
	;; [unrolled: 1-line block ×3, first 2 shown]
	v_lshrrev_b32_e32 v1, s25, v5
	v_mul_lo_u32 v5, v1, s19
	v_sub_u32_e32 v3, v3, v5
	s_addc_u32 s7, s11, 0
	s_add_i32 s9, s9, -2
	v_mul_lo_u32 v5, v3, s23
	v_mul_lo_u32 v11, v3, s26
	;; [unrolled: 1-line block ×3, first 2 shown]
	s_cmp_lg_u32 s9, 0
	v_add3_u32 v2, v7, v2, v5
	v_add3_u32 v16, v9, v16, v3
	;; [unrolled: 1-line block ×3, first 2 shown]
	s_cbranch_scc1 .LBB73_1657
; %bb.1658:
	s_bitcmp1_b32 s8, 0
	s_cselect_b64 s[8:9], -1, 0
	s_and_b64 vcc, exec, s[8:9]
	s_cbranch_vccnz .LBB73_1661
; %bb.1659:
	s_load_dwordx2 s[8:9], s[6:7], 0x18
	s_load_dword s16, s[6:7], 0x20
	s_load_dword s17, s[6:7], 0xe0
	s_load_dwordx2 s[10:11], s[6:7], 0xd8
	s_waitcnt lgkmcnt(0)
	v_mul_hi_u32 v3, s9, v1
	v_add_u32_e32 v3, v1, v3
	v_lshrrev_b32_e32 v3, s16, v3
	v_mul_lo_u32 v3, v3, s8
	v_sub_u32_e32 v1, v1, v3
	v_mad_u64_u32 v[2:3], s[6:7], v1, s10, v[2:3]
	v_mad_u64_u32 v[18:19], s[6:7], v1, s11, v[18:19]
	;; [unrolled: 1-line block ×3, first 2 shown]
	s_cbranch_execz .LBB73_1662
	s_branch .LBB73_1664
.LBB73_1660:
                                        ; implicit-def: $vgpr16
                                        ; implicit-def: $vgpr18
                                        ; implicit-def: $vgpr2
	s_branch .LBB73_1662
.LBB73_1661:
	s_cbranch_execnz .LBB73_1664
.LBB73_1662:
	s_load_dwordx4 s[8:11], s[2:3], 0x4
	s_load_dwordx4 s[16:19], s[2:3], 0xc4
	s_cmp_lt_u32 s33, 2
	s_waitcnt vmcnt(0) lgkmcnt(0)
	v_mul_hi_u32 v1, s9, v0
	v_add_u32_e32 v1, v0, v1
	v_lshrrev_b32_e32 v1, s10, v1
	v_mul_lo_u32 v2, v1, s8
	v_sub_u32_e32 v0, v0, v2
	v_mul_lo_u32 v2, v0, s16
	v_mul_lo_u32 v16, v0, s18
	;; [unrolled: 1-line block ×3, first 2 shown]
	s_cbranch_scc1 .LBB73_1664
; %bb.1663:
	s_load_dwordx4 s[8:11], s[2:3], 0x10
	s_load_dwordx4 s[16:19], s[2:3], 0xd0
	s_waitcnt lgkmcnt(0)
	v_mul_hi_u32 v0, s9, v1
	v_add_u32_e32 v0, v1, v0
	v_lshrrev_b32_e32 v0, s10, v0
	v_mul_lo_u32 v0, v0, s8
	v_sub_u32_e32 v0, v1, v0
	v_mad_u64_u32 v[2:3], s[6:7], v0, s16, v[2:3]
	v_mad_u64_u32 v[18:19], s[6:7], v0, s17, v[18:19]
	;; [unrolled: 1-line block ×3, first 2 shown]
.LBB73_1664:
	s_and_b64 vcc, exec, s[0:1]
	s_cbranch_vccnz .LBB73_1670
; %bb.1665:
	s_cmp_lg_u32 s33, 0
	s_waitcnt vmcnt(0)
	v_mov_b32_e32 v8, 0
	v_mov_b32_e32 v12, 0
	;; [unrolled: 1-line block ×3, first 2 shown]
	s_cbranch_scc0 .LBB73_1671
; %bb.1666:
	s_min_u32 s6, s68, 15
	s_add_i32 s0, s6, 1
	s_and_b32 s7, s0, 30
	s_add_u32 s0, s2, 0xffffffec
	s_addc_u32 s1, s3, -1
	v_mov_b32_e32 v0, 0
	v_mov_b32_e32 v1, v24
	;; [unrolled: 1-line block ×4, first 2 shown]
.LBB73_1667:                            ; =>This Inner Loop Header: Depth=1
	s_mov_b64 s[20:21], s[0:1]
	s_load_dwordx4 s[8:11], s[20:21], 0x18
	s_load_dwordx2 s[22:23], s[20:21], 0x28
	s_load_dwordx2 s[24:25], s[20:21], 0xe8
	s_load_dwordx4 s[16:19], s[20:21], 0xd8
	s_add_u32 s0, s20, 24
	s_waitcnt lgkmcnt(0)
	v_mul_hi_u32 v3, s9, v1
	v_add_u32_e32 v3, v1, v3
	v_lshrrev_b32_e32 v3, s10, v3
	v_mul_lo_u32 v5, v3, s8
	v_mul_hi_u32 v7, s22, v3
	v_sub_u32_e32 v1, v1, v5
	v_add_u32_e32 v5, v3, v7
	v_mul_lo_u32 v7, v1, s16
	v_mul_lo_u32 v9, v1, s17
	;; [unrolled: 1-line block ×3, first 2 shown]
	v_lshrrev_b32_e32 v1, s23, v5
	v_mul_lo_u32 v5, v1, s11
	v_sub_u32_e32 v3, v3, v5
	s_addc_u32 s1, s21, 0
	s_add_i32 s7, s7, -2
	v_mul_lo_u32 v5, v3, s19
	v_mul_lo_u32 v13, v3, s24
	;; [unrolled: 1-line block ×3, first 2 shown]
	s_cmp_lg_u32 s7, 0
	v_add3_u32 v0, v7, v0, v5
	v_add3_u32 v8, v11, v8, v3
	;; [unrolled: 1-line block ×3, first 2 shown]
	s_cbranch_scc1 .LBB73_1667
; %bb.1668:
	s_bitcmp1_b32 s6, 0
	s_cselect_b64 s[6:7], -1, 0
	s_and_b64 vcc, exec, s[6:7]
	s_cbranch_vccnz .LBB73_1671
; %bb.1669:
	s_load_dwordx2 s[6:7], s[0:1], 0x18
	s_load_dword s10, s[0:1], 0x20
	s_load_dword s11, s[0:1], 0xe0
	s_load_dwordx2 s[8:9], s[0:1], 0xd8
	s_waitcnt lgkmcnt(0)
	v_mul_hi_u32 v3, s7, v1
	v_add_u32_e32 v3, v1, v3
	v_lshrrev_b32_e32 v3, s10, v3
	v_mul_lo_u32 v3, v3, s6
	v_sub_u32_e32 v3, v1, v3
	v_mad_u64_u32 v[0:1], s[0:1], v3, s8, v[0:1]
	v_mad_u64_u32 v[12:13], s[0:1], v3, s9, v[12:13]
	;; [unrolled: 1-line block ×3, first 2 shown]
	s_cbranch_execz .LBB73_1672
	s_branch .LBB73_1674
.LBB73_1670:
                                        ; implicit-def: $vgpr8
                                        ; implicit-def: $vgpr12
                                        ; implicit-def: $vgpr0
	s_branch .LBB73_1672
.LBB73_1671:
	s_cbranch_execnz .LBB73_1674
.LBB73_1672:
	s_load_dwordx4 s[8:11], s[2:3], 0x4
	s_load_dwordx4 s[16:19], s[2:3], 0xc4
	s_cmp_lt_u32 s33, 2
	s_waitcnt lgkmcnt(0)
	v_mul_hi_u32 v0, s9, v24
	v_add_u32_e32 v0, v24, v0
	s_waitcnt vmcnt(0)
	v_lshrrev_b32_e32 v1, s10, v0
	v_mul_lo_u32 v0, v1, s8
	v_sub_u32_e32 v3, v24, v0
	v_mul_lo_u32 v0, v3, s16
	v_mul_lo_u32 v8, v3, s18
	;; [unrolled: 1-line block ×3, first 2 shown]
	s_cbranch_scc1 .LBB73_1674
; %bb.1673:
	s_load_dwordx4 s[8:11], s[2:3], 0x10
	s_load_dwordx4 s[16:19], s[2:3], 0xd0
	s_waitcnt lgkmcnt(0)
	v_mul_hi_u32 v3, s9, v1
	v_add_u32_e32 v3, v1, v3
	v_lshrrev_b32_e32 v3, s10, v3
	v_mul_lo_u32 v3, v3, s8
	v_sub_u32_e32 v3, v1, v3
	v_mad_u64_u32 v[0:1], s[0:1], v3, s16, v[0:1]
	v_mad_u64_u32 v[12:13], s[0:1], v3, s17, v[12:13]
	;; [unrolled: 1-line block ×3, first 2 shown]
.LBB73_1674:
	s_load_dword s26, s[4:5], 0x1a8
	s_load_dwordx4 s[8:11], s[2:3], 0x188
	s_waitcnt lgkmcnt(0)
	s_lshr_b32 s27, s26, 16
	s_waitcnt vmcnt(0)
	v_mov_b32_e32 v1, s11
	v_add_co_u32_e32 v22, vcc, s10, v22
	v_addc_co_u32_e32 v23, vcc, 0, v1, vcc
	v_mov_b32_e32 v1, 11
	v_cmp_lt_i16_sdwa s[0:1], s27, v1 src0_sel:BYTE_0 src1_sel:DWORD
	s_and_b64 vcc, exec, s[0:1]
	s_cbranch_vccnz .LBB73_1681
; %bb.1675:
	v_mov_b32_e32 v1, 25
	v_cmp_gt_i16_sdwa s[0:1], s27, v1 src0_sel:BYTE_0 src1_sel:DWORD
	s_mov_b64 s[6:7], 0
	s_and_b64 vcc, exec, s[0:1]
	s_cbranch_vccz .LBB73_1683
; %bb.1676:
	v_mov_b32_e32 v1, 28
	v_cmp_gt_i16_sdwa s[0:1], s27, v1 src0_sel:BYTE_0 src1_sel:DWORD
	s_and_b64 vcc, exec, s[0:1]
	s_cbranch_vccz .LBB73_1684
; %bb.1677:
	v_mov_b32_e32 v1, 43
	v_cmp_gt_i16_sdwa s[0:1], s27, v1 src0_sel:BYTE_0 src1_sel:DWORD
	;; [unrolled: 5-line block ×3, first 2 shown]
	s_and_b64 vcc, exec, s[0:1]
	s_cbranch_vccz .LBB73_1686
; %bb.1679:
	v_mov_b32_e32 v1, 46
	v_cmp_eq_u16_sdwa s[0:1], s27, v1 src0_sel:BYTE_0 src1_sel:DWORD
	s_mov_b64 s[4:5], 0
	s_and_b64 vcc, exec, s[0:1]
	s_cbranch_vccz .LBB73_1689
; %bb.1680:
	global_load_dword v1, v[22:23], off
	s_mov_b64 s[0:1], 0
	s_mov_b64 s[16:17], -1
	s_waitcnt vmcnt(0)
	v_lshlrev_b32_e32 v1, 16, v1
	s_branch .LBB73_1690
.LBB73_1681:
	s_mov_b64 s[16:17], 0
                                        ; implicit-def: $vgpr1
	s_mov_b64 s[4:5], s[12:13]
	s_cbranch_execnz .LBB73_1753
.LBB73_1682:
	s_andn2_b64 vcc, exec, s[16:17]
	s_cbranch_vccz .LBB73_1798
	s_branch .LBB73_2763
.LBB73_1683:
	s_mov_b64 s[16:17], 0
	s_mov_b64 s[0:1], 0
                                        ; implicit-def: $vgpr1
	s_cbranch_execnz .LBB73_1718
	s_branch .LBB73_1749
.LBB73_1684:
	s_mov_b64 s[4:5], -1
	s_mov_b64 s[16:17], 0
	s_mov_b64 s[0:1], 0
                                        ; implicit-def: $vgpr1
	s_branch .LBB73_1699
.LBB73_1685:
	s_mov_b64 s[16:17], 0
	s_mov_b64 s[0:1], 0
                                        ; implicit-def: $vgpr1
	s_cbranch_execnz .LBB73_1695
	s_branch .LBB73_1698
.LBB73_1686:
	s_mov_b64 s[4:5], -1
	s_mov_b64 s[16:17], 0
	s_mov_b64 s[0:1], 0
                                        ; implicit-def: $vgpr1
	s_branch .LBB73_1690
.LBB73_1687:
	s_or_saveexec_b64 s[16:17], s[16:17]
                                        ; implicit-def: $sgpr18
	s_xor_b64 exec, exec, s[16:17]
	s_cbranch_execz .LBB73_1546
.LBB73_1688:
	s_mov_b32 s18, 0x46000000
	v_add_f32_e64 v0, |v2|, s18
	v_and_b32_e32 v0, 0xff, v0
	v_cmp_ne_u32_e32 vcc, 0, v0
	s_andn2_b64 s[14:15], s[14:15], exec
	s_and_b64 s[24:25], vcc, exec
	s_mov_b32 s18, 0
	s_or_b64 s[14:15], s[14:15], s[24:25]
	s_or_b64 exec, exec, s[16:17]
	v_mov_b32_e32 v1, s18
	s_and_saveexec_b64 s[16:17], s[14:15]
	s_cbranch_execnz .LBB73_1547
	s_branch .LBB73_1548
.LBB73_1689:
	s_mov_b64 s[0:1], -1
                                        ; implicit-def: $vgpr1
	s_mov_b64 s[16:17], 0
.LBB73_1690:
	s_and_b64 vcc, exec, s[4:5]
	s_cbranch_vccz .LBB73_1693
; %bb.1691:
	v_mov_b32_e32 v1, 44
	v_cmp_eq_u16_sdwa s[0:1], s27, v1 src0_sel:BYTE_0 src1_sel:DWORD
	s_and_b64 vcc, exec, s[0:1]
	s_cbranch_vccz .LBB73_1694
; %bb.1692:
	global_load_ubyte v1, v[22:23], off
	s_movk_i32 s4, 0xff
	v_mov_b32_e32 v3, 0x7f800001
	v_mov_b32_e32 v5, 0x400000
	s_mov_b64 s[0:1], 0
	s_mov_b64 s[16:17], -1
	s_waitcnt vmcnt(0)
	v_lshlrev_b32_e32 v7, 23, v1
	v_cmp_ne_u32_e32 vcc, s4, v1
	v_cndmask_b32_e32 v3, v3, v7, vcc
	v_cmp_ne_u32_e32 vcc, 0, v1
	v_cndmask_b32_e32 v1, v5, v3, vcc
.LBB73_1693:
	s_branch .LBB73_1698
.LBB73_1694:
	s_mov_b64 s[0:1], -1
                                        ; implicit-def: $vgpr1
	s_branch .LBB73_1698
.LBB73_1695:
	v_mov_b32_e32 v1, 29
	v_cmp_eq_u16_sdwa s[0:1], s27, v1 src0_sel:BYTE_0 src1_sel:DWORD
	s_and_b64 vcc, exec, s[0:1]
	s_cbranch_vccz .LBB73_1697
; %bb.1696:
	global_load_dwordx2 v[24:25], v[22:23], off
	s_mov_b64 s[0:1], 0
	s_mov_b64 s[16:17], -1
	s_mov_b64 s[4:5], 0
	s_waitcnt vmcnt(0)
	v_ffbh_u32_e32 v1, v25
	v_min_u32_e32 v1, 32, v1
	v_lshlrev_b64 v[24:25], v1, v[24:25]
	v_min_u32_e32 v3, 1, v24
	v_or_b32_e32 v3, v25, v3
	v_cvt_f32_u32_e32 v3, v3
	v_sub_u32_e32 v1, 32, v1
	v_ldexp_f32 v1, v3, v1
	s_branch .LBB73_1699
.LBB73_1697:
	s_mov_b64 s[0:1], -1
                                        ; implicit-def: $vgpr1
.LBB73_1698:
	s_mov_b64 s[4:5], 0
.LBB73_1699:
	s_and_b64 vcc, exec, s[4:5]
	s_cbranch_vccz .LBB73_1717
; %bb.1700:
	v_mov_b32_e32 v1, 27
	v_cmp_lt_i16_sdwa s[4:5], s27, v1 src0_sel:BYTE_0 src1_sel:DWORD
	s_and_b64 vcc, exec, s[4:5]
	s_cbranch_vccnz .LBB73_1703
; %bb.1701:
	v_cmp_gt_i16_sdwa s[4:5], s27, v1 src0_sel:BYTE_0 src1_sel:DWORD
	s_and_b64 vcc, exec, s[4:5]
	s_cbranch_vccz .LBB73_1704
; %bb.1702:
	global_load_dword v1, v[22:23], off
	s_mov_b64 s[4:5], 0
	s_waitcnt vmcnt(0)
	v_cvt_f32_u32_e32 v1, v1
	s_branch .LBB73_1705
.LBB73_1703:
	s_mov_b64 s[4:5], -1
                                        ; implicit-def: $vgpr1
	s_branch .LBB73_1708
.LBB73_1704:
	s_mov_b64 s[4:5], -1
                                        ; implicit-def: $vgpr1
.LBB73_1705:
	s_andn2_b64 vcc, exec, s[4:5]
	s_cbranch_vccnz .LBB73_1707
; %bb.1706:
	global_load_ushort v1, v[22:23], off
	s_waitcnt vmcnt(0)
	v_cvt_f32_u32_e32 v1, v1
.LBB73_1707:
	s_mov_b64 s[4:5], 0
.LBB73_1708:
	s_andn2_b64 vcc, exec, s[4:5]
	s_cbranch_vccnz .LBB73_1716
; %bb.1709:
	global_load_ubyte v3, v[22:23], off
	s_movk_i32 s4, 0x7f
                                        ; implicit-def: $sgpr20
	s_waitcnt vmcnt(0)
	v_cmp_lt_i16_e32 vcc, s4, v3
	s_mov_b64 s[4:5], 0
	s_and_saveexec_b64 s[16:17], vcc
	s_xor_b64 s[16:17], exec, s[16:17]
	s_cbranch_execz .LBB73_1729
; %bb.1710:
	s_movk_i32 s4, 0x80
	v_cmp_eq_u16_e32 vcc, s4, v3
	s_mov_b64 s[4:5], -1
                                        ; implicit-def: $sgpr20
	s_and_saveexec_b64 s[18:19], vcc
; %bb.1711:
	s_mov_b32 s20, 0x7f800001
	s_xor_b64 s[4:5], exec, -1
; %bb.1712:
	s_or_b64 exec, exec, s[18:19]
	s_and_b64 s[4:5], s[4:5], exec
	s_or_saveexec_b64 s[16:17], s[16:17]
	v_mov_b32_e32 v1, s20
	s_xor_b64 exec, exec, s[16:17]
	s_cbranch_execnz .LBB73_1730
.LBB73_1713:
	s_or_b64 exec, exec, s[16:17]
	s_and_saveexec_b64 s[16:17], s[4:5]
	s_cbranch_execz .LBB73_1715
.LBB73_1714:
	v_lshlrev_b32_e32 v1, 24, v3
	v_and_b32_e32 v3, 0xffff, v3
	v_and_b32_e32 v5, 7, v3
	v_ffbh_u32_e32 v9, v5
	v_min_u32_e32 v9, 32, v9
	v_subrev_u32_e32 v11, 28, v9
	v_bfe_u32 v7, v3, 3, 4
	v_lshlrev_b32_e32 v3, v11, v3
	v_sub_u32_e32 v9, 29, v9
	v_and_b32_e32 v3, 7, v3
	v_cmp_eq_u32_e32 vcc, 0, v7
	v_cndmask_b32_e32 v7, v7, v9, vcc
	v_cndmask_b32_e32 v3, v5, v3, vcc
	v_mov_b32_e32 v5, 0x3b800000
	v_lshlrev_b32_e32 v3, 20, v3
	v_and_b32_e32 v1, 0x80000000, v1
	v_lshl_add_u32 v5, v7, 23, v5
	v_or3_b32 v1, v1, v5, v3
.LBB73_1715:
	s_or_b64 exec, exec, s[16:17]
.LBB73_1716:
	s_mov_b64 s[16:17], -1
.LBB73_1717:
	s_branch .LBB73_1749
.LBB73_1718:
	v_mov_b32_e32 v1, 22
	v_cmp_gt_i16_sdwa s[4:5], s27, v1 src0_sel:BYTE_0 src1_sel:DWORD
	s_and_b64 vcc, exec, s[4:5]
	s_cbranch_vccz .LBB73_1728
; %bb.1719:
	v_mov_b32_e32 v1, 24
	v_cmp_lt_i16_sdwa s[4:5], s27, v1 src0_sel:BYTE_0 src1_sel:DWORD
	s_and_b64 vcc, exec, s[4:5]
	s_cbranch_vccnz .LBB73_1731
; %bb.1720:
	v_cmp_gt_i16_sdwa s[4:5], s27, v1 src0_sel:BYTE_0 src1_sel:DWORD
	s_and_b64 vcc, exec, s[4:5]
	s_cbranch_vccz .LBB73_1732
; %bb.1721:
	global_load_ubyte v3, v[22:23], off
	s_movk_i32 s4, 0x7f
                                        ; implicit-def: $sgpr18
	s_waitcnt vmcnt(0)
	v_cmp_lt_i16_e32 vcc, s4, v3
	s_mov_b64 s[4:5], 0
	s_and_saveexec_b64 s[6:7], vcc
	s_xor_b64 s[6:7], exec, s[6:7]
	s_cbranch_execz .LBB73_1743
; %bb.1722:
	s_movk_i32 s4, 0x80
	v_cmp_eq_u16_e32 vcc, s4, v3
	s_mov_b64 s[4:5], -1
                                        ; implicit-def: $sgpr18
	s_and_saveexec_b64 s[16:17], vcc
; %bb.1723:
	s_mov_b32 s18, 0x7f800001
	s_xor_b64 s[4:5], exec, -1
; %bb.1724:
	s_or_b64 exec, exec, s[16:17]
	s_and_b64 s[4:5], s[4:5], exec
	s_or_saveexec_b64 s[6:7], s[6:7]
	v_mov_b32_e32 v1, s18
	s_xor_b64 exec, exec, s[6:7]
	s_cbranch_execnz .LBB73_1744
.LBB73_1725:
	s_or_b64 exec, exec, s[6:7]
	s_and_saveexec_b64 s[6:7], s[4:5]
	s_cbranch_execz .LBB73_1727
.LBB73_1726:
	v_lshlrev_b32_e32 v1, 24, v3
	v_and_b32_e32 v3, 0xffff, v3
	v_and_b32_e32 v5, 3, v3
	v_ffbh_u32_e32 v9, v5
	v_min_u32_e32 v9, 32, v9
	v_subrev_u32_e32 v11, 29, v9
	v_bfe_u32 v7, v3, 2, 5
	v_lshlrev_b32_e32 v3, v11, v3
	v_sub_u32_e32 v9, 30, v9
	v_and_b32_e32 v3, 3, v3
	v_cmp_eq_u32_e32 vcc, 0, v7
	v_cndmask_b32_e32 v7, v7, v9, vcc
	v_cndmask_b32_e32 v3, v5, v3, vcc
	v_mov_b32_e32 v5, 0x37800000
	v_lshlrev_b32_e32 v3, 21, v3
	v_and_b32_e32 v1, 0x80000000, v1
	v_lshl_add_u32 v5, v7, 23, v5
	v_or3_b32 v1, v1, v5, v3
.LBB73_1727:
	s_or_b64 exec, exec, s[6:7]
	s_mov_b64 s[4:5], 0
	s_branch .LBB73_1733
.LBB73_1728:
                                        ; implicit-def: $vgpr1
	s_mov_b64 s[6:7], 0
	s_branch .LBB73_1739
.LBB73_1729:
	s_or_saveexec_b64 s[16:17], s[16:17]
	v_mov_b32_e32 v1, s20
	s_xor_b64 exec, exec, s[16:17]
	s_cbranch_execz .LBB73_1713
.LBB73_1730:
	v_cmp_ne_u16_e32 vcc, 0, v3
	s_andn2_b64 s[4:5], s[4:5], exec
	s_and_b64 s[18:19], vcc, exec
	v_mov_b32_e32 v1, 0
	s_or_b64 s[4:5], s[4:5], s[18:19]
	s_or_b64 exec, exec, s[16:17]
	s_and_saveexec_b64 s[16:17], s[4:5]
	s_cbranch_execnz .LBB73_1714
	s_branch .LBB73_1715
.LBB73_1731:
	s_mov_b64 s[4:5], -1
                                        ; implicit-def: $vgpr1
	s_branch .LBB73_1736
.LBB73_1732:
	s_mov_b64 s[4:5], -1
                                        ; implicit-def: $vgpr1
.LBB73_1733:
	s_and_b64 vcc, exec, s[4:5]
	s_cbranch_vccz .LBB73_1735
; %bb.1734:
	global_load_ubyte v1, v[22:23], off
	s_mov_b32 s4, 0x7f800000
	s_waitcnt vmcnt(0)
	v_lshlrev_b32_e32 v1, 24, v1
	v_and_b32_e32 v3, 0x7f000000, v1
	v_ffbh_u32_e32 v5, v3
	v_min_u32_e32 v5, 32, v5
	v_sub_u32_e64 v5, v5, 4 clamp
	v_lshlrev_b32_e32 v9, v5, v3
	v_lshlrev_b32_e32 v5, 23, v5
	v_lshrrev_b32_e32 v9, 4, v9
	v_add_u32_e32 v7, 0x1000000, v3
	v_sub_u32_e32 v5, v9, v5
	v_ashrrev_i32_e32 v7, 8, v7
	v_add_u32_e32 v5, 0x3c000000, v5
	v_and_or_b32 v5, v7, s4, v5
	v_cmp_ne_u32_e32 vcc, 0, v3
	v_cndmask_b32_e32 v3, 0, v5, vcc
	s_brev_b32 s4, 1
	v_and_or_b32 v1, v1, s4, v3
.LBB73_1735:
	s_mov_b64 s[4:5], 0
.LBB73_1736:
	s_andn2_b64 vcc, exec, s[4:5]
	s_cbranch_vccnz .LBB73_1738
; %bb.1737:
	global_load_ubyte v1, v[22:23], off
	s_movk_i32 s4, 0x7f00
	s_brev_b32 s5, 16
	s_waitcnt vmcnt(0)
	v_lshlrev_b16_e32 v3, 8, v1
	v_lshlrev_b32_e32 v1, 25, v1
	v_lshrrev_b32_e32 v5, 4, v1
	v_and_or_b32 v7, v3, s4, 0.5
	v_or_b32_e32 v5, 0x70000000, v5
	v_add_f32_e32 v7, -0.5, v7
	v_mul_f32_e32 v5, 0x7800000, v5
	v_cmp_gt_u32_e32 vcc, s5, v1
	v_bfe_i32 v3, v3, 0, 16
	v_cndmask_b32_e32 v1, v5, v7, vcc
	s_brev_b32 s4, 1
	v_and_or_b32 v1, v3, s4, v1
.LBB73_1738:
	s_mov_b64 s[16:17], -1
	s_mov_b64 s[6:7], 0
	s_cbranch_execnz .LBB73_1749
.LBB73_1739:
	v_mov_b32_e32 v1, 14
	v_cmp_gt_i16_sdwa s[4:5], s27, v1 src0_sel:BYTE_0 src1_sel:DWORD
	s_and_b64 vcc, exec, s[4:5]
	s_cbranch_vccz .LBB73_1742
; %bb.1740:
	v_mov_b32_e32 v1, 15
	v_cmp_eq_u16_sdwa s[0:1], s27, v1 src0_sel:BYTE_0 src1_sel:DWORD
	s_and_b64 vcc, exec, s[0:1]
	s_cbranch_vccz .LBB73_1745
; %bb.1741:
	global_load_ushort v1, v[22:23], off
	s_mov_b64 s[0:1], 0
	s_mov_b64 s[16:17], -1
	s_waitcnt vmcnt(0)
	v_lshlrev_b32_e32 v1, 16, v1
	s_branch .LBB73_1746
.LBB73_1742:
	s_mov_b64 s[4:5], -1
                                        ; implicit-def: $vgpr1
	s_branch .LBB73_1747
.LBB73_1743:
	s_or_saveexec_b64 s[6:7], s[6:7]
	v_mov_b32_e32 v1, s18
	s_xor_b64 exec, exec, s[6:7]
	s_cbranch_execz .LBB73_1725
.LBB73_1744:
	v_cmp_ne_u16_e32 vcc, 0, v3
	s_andn2_b64 s[4:5], s[4:5], exec
	s_and_b64 s[16:17], vcc, exec
	v_mov_b32_e32 v1, 0
	s_or_b64 s[4:5], s[4:5], s[16:17]
	s_or_b64 exec, exec, s[6:7]
	s_and_saveexec_b64 s[6:7], s[4:5]
	s_cbranch_execnz .LBB73_1726
	s_branch .LBB73_1727
.LBB73_1745:
	s_mov_b64 s[0:1], -1
                                        ; implicit-def: $vgpr1
.LBB73_1746:
	s_mov_b64 s[4:5], 0
.LBB73_1747:
	s_and_b64 vcc, exec, s[4:5]
	s_cbranch_vccz .LBB73_1749
; %bb.1748:
	v_mov_b32_e32 v1, 11
	v_cmp_ne_u16_sdwa s[0:1], s27, v1 src0_sel:BYTE_0 src1_sel:DWORD
	s_mov_b64 s[6:7], -1
                                        ; implicit-def: $vgpr1
.LBB73_1749:
	s_and_b64 vcc, exec, s[0:1]
	s_mov_b64 s[4:5], s[12:13]
	s_cbranch_vccnz .LBB73_1810
; %bb.1750:
	s_andn2_b64 vcc, exec, s[6:7]
	s_cbranch_vccnz .LBB73_1752
.LBB73_1751:
	global_load_ubyte v1, v[22:23], off
	s_mov_b64 s[16:17], -1
	s_waitcnt vmcnt(0)
	v_cmp_ne_u16_e32 vcc, 0, v1
	v_cndmask_b32_e64 v1, 0, 1.0, vcc
.LBB73_1752:
	s_branch .LBB73_1682
.LBB73_1753:
	v_mov_b32_e32 v1, 5
	v_cmp_lt_i16_sdwa s[0:1], s27, v1 src0_sel:BYTE_0 src1_sel:DWORD
	s_and_b64 vcc, exec, s[0:1]
	s_cbranch_vccnz .LBB73_1758
; %bb.1754:
	v_mov_b32_e32 v1, 8
	v_cmp_lt_i16_sdwa s[0:1], s27, v1 src0_sel:BYTE_0 src1_sel:DWORD
	s_and_b64 vcc, exec, s[0:1]
	s_cbranch_vccnz .LBB73_1759
; %bb.1755:
	;; [unrolled: 5-line block ×3, first 2 shown]
	v_cmp_gt_i16_sdwa s[0:1], s27, v1 src0_sel:BYTE_0 src1_sel:DWORD
	s_and_b64 vcc, exec, s[0:1]
	s_cbranch_vccz .LBB73_1761
; %bb.1757:
	global_load_dwordx2 v[24:25], v[22:23], off
	s_mov_b64 s[0:1], 0
	s_waitcnt vmcnt(0)
	v_cvt_f32_f64_e32 v1, v[24:25]
	s_branch .LBB73_1762
.LBB73_1758:
                                        ; implicit-def: $vgpr1
	s_branch .LBB73_1779
.LBB73_1759:
                                        ; implicit-def: $vgpr1
	s_branch .LBB73_1768
.LBB73_1760:
	s_mov_b64 s[0:1], -1
                                        ; implicit-def: $vgpr1
	s_branch .LBB73_1765
.LBB73_1761:
	s_mov_b64 s[0:1], -1
                                        ; implicit-def: $vgpr1
.LBB73_1762:
	s_andn2_b64 vcc, exec, s[0:1]
	s_cbranch_vccnz .LBB73_1764
; %bb.1763:
	global_load_dword v1, v[22:23], off
.LBB73_1764:
	s_mov_b64 s[0:1], 0
.LBB73_1765:
	s_andn2_b64 vcc, exec, s[0:1]
	s_cbranch_vccnz .LBB73_1767
; %bb.1766:
	global_load_dword v1, v[22:23], off
	s_waitcnt vmcnt(0)
	v_cvt_f32_f16_e32 v1, v1
.LBB73_1767:
	s_cbranch_execnz .LBB73_1778
.LBB73_1768:
	s_waitcnt vmcnt(0)
	v_mov_b32_e32 v1, 6
	v_cmp_lt_i16_sdwa s[0:1], s27, v1 src0_sel:BYTE_0 src1_sel:DWORD
	s_and_b64 vcc, exec, s[0:1]
	s_cbranch_vccnz .LBB73_1771
; %bb.1769:
	v_cmp_gt_i16_sdwa s[0:1], s27, v1 src0_sel:BYTE_0 src1_sel:DWORD
	s_and_b64 vcc, exec, s[0:1]
	s_cbranch_vccz .LBB73_1772
; %bb.1770:
	global_load_dwordx2 v[24:25], v[22:23], off
	s_mov_b64 s[0:1], 0
	s_waitcnt vmcnt(0)
	v_cvt_f32_f64_e32 v1, v[24:25]
	s_branch .LBB73_1773
.LBB73_1771:
	s_mov_b64 s[0:1], -1
                                        ; implicit-def: $vgpr1
	s_branch .LBB73_1776
.LBB73_1772:
	s_mov_b64 s[0:1], -1
                                        ; implicit-def: $vgpr1
.LBB73_1773:
	s_andn2_b64 vcc, exec, s[0:1]
	s_cbranch_vccnz .LBB73_1775
; %bb.1774:
	global_load_dword v1, v[22:23], off
.LBB73_1775:
	s_mov_b64 s[0:1], 0
.LBB73_1776:
	s_andn2_b64 vcc, exec, s[0:1]
	s_cbranch_vccnz .LBB73_1778
; %bb.1777:
	global_load_ushort v1, v[22:23], off
	s_waitcnt vmcnt(0)
	v_cvt_f32_f16_e32 v1, v1
.LBB73_1778:
	s_cbranch_execnz .LBB73_1797
.LBB73_1779:
	s_waitcnt vmcnt(0)
	v_mov_b32_e32 v1, 2
	v_cmp_lt_i16_sdwa s[0:1], s27, v1 src0_sel:BYTE_0 src1_sel:DWORD
	s_and_b64 vcc, exec, s[0:1]
	s_cbranch_vccnz .LBB73_1783
; %bb.1780:
	v_mov_b32_e32 v1, 3
	v_cmp_lt_i16_sdwa s[0:1], s27, v1 src0_sel:BYTE_0 src1_sel:DWORD
	s_and_b64 vcc, exec, s[0:1]
	s_cbranch_vccnz .LBB73_1784
; %bb.1781:
	v_cmp_gt_i16_sdwa s[0:1], s27, v1 src0_sel:BYTE_0 src1_sel:DWORD
	s_and_b64 vcc, exec, s[0:1]
	s_cbranch_vccz .LBB73_1785
; %bb.1782:
	global_load_dwordx2 v[24:25], v[22:23], off
	s_mov_b64 s[0:1], 0
	s_waitcnt vmcnt(0)
	v_xor_b32_e32 v3, v24, v25
	v_ffbh_i32_e32 v1, v25
	v_ashrrev_i32_e32 v3, 31, v3
	v_add_u32_e32 v1, -1, v1
	v_add_u32_e32 v3, 32, v3
	v_min_u32_e32 v1, v1, v3
	v_lshlrev_b64 v[24:25], v1, v[24:25]
	v_min_u32_e32 v3, 1, v24
	v_or_b32_e32 v3, v25, v3
	v_cvt_f32_i32_e32 v3, v3
	v_sub_u32_e32 v1, 32, v1
	v_ldexp_f32 v1, v3, v1
	s_branch .LBB73_1786
.LBB73_1783:
                                        ; implicit-def: $vgpr1
	s_branch .LBB73_1792
.LBB73_1784:
	s_mov_b64 s[0:1], -1
                                        ; implicit-def: $vgpr1
	s_branch .LBB73_1789
.LBB73_1785:
	s_mov_b64 s[0:1], -1
                                        ; implicit-def: $vgpr1
.LBB73_1786:
	s_andn2_b64 vcc, exec, s[0:1]
	s_cbranch_vccnz .LBB73_1788
; %bb.1787:
	global_load_dword v1, v[22:23], off
	s_waitcnt vmcnt(0)
	v_cvt_f32_i32_e32 v1, v1
.LBB73_1788:
	s_mov_b64 s[0:1], 0
.LBB73_1789:
	s_andn2_b64 vcc, exec, s[0:1]
	s_cbranch_vccnz .LBB73_1791
; %bb.1790:
	global_load_sshort v1, v[22:23], off
	s_waitcnt vmcnt(0)
	v_cvt_f32_i32_e32 v1, v1
.LBB73_1791:
	s_cbranch_execnz .LBB73_1797
.LBB73_1792:
	v_mov_b32_e32 v1, 0
	v_cmp_gt_i16_sdwa s[0:1], s27, v1 src0_sel:BYTE_0 src1_sel:DWORD
	s_and_b64 vcc, exec, s[0:1]
	s_cbranch_vccz .LBB73_1794
; %bb.1793:
	global_load_sbyte v1, v[22:23], off
	s_mov_b64 s[0:1], 0
	s_waitcnt vmcnt(0)
	v_cvt_f32_i32_e32 v1, v1
	s_branch .LBB73_1795
.LBB73_1794:
	s_mov_b64 s[0:1], -1
                                        ; implicit-def: $vgpr1
.LBB73_1795:
	s_andn2_b64 vcc, exec, s[0:1]
	s_cbranch_vccnz .LBB73_1797
; %bb.1796:
	global_load_ubyte v1, v[22:23], off
	s_waitcnt vmcnt(0)
	v_cvt_f32_ubyte0_e32 v1, v1
.LBB73_1797:
.LBB73_1798:
	s_load_dwordx2 s[0:1], s[2:3], 0x198
	s_lshr_b32 s28, s26, 24
	v_cmp_lt_i16_e64 s[2:3], s28, 11
	s_waitcnt lgkmcnt(0)
	v_mov_b32_e32 v3, s1
	v_add_co_u32_e32 v10, vcc, s0, v10
	v_addc_co_u32_e32 v11, vcc, 0, v3, vcc
	s_and_b64 vcc, exec, s[2:3]
	s_cbranch_vccnz .LBB73_1805
; %bb.1799:
	v_cmp_gt_i16_e64 s[6:7], s28, 25
	s_mov_b64 s[16:17], 0
	s_and_b64 vcc, exec, s[6:7]
	s_cbranch_vccz .LBB73_1807
; %bb.1800:
	v_cmp_gt_i16_e64 s[6:7], s28, 28
	s_and_b64 vcc, exec, s[6:7]
	s_cbranch_vccz .LBB73_1808
; %bb.1801:
	v_cmp_gt_i16_e64 s[6:7], s28, 43
	;; [unrolled: 4-line block ×3, first 2 shown]
	s_and_b64 vcc, exec, s[6:7]
	s_cbranch_vccz .LBB73_1811
; %bb.1803:
	v_cmp_eq_u16_e64 s[6:7], s28, 46
	s_mov_b64 s[20:21], 0
	s_and_b64 vcc, exec, s[6:7]
	s_cbranch_vccz .LBB73_1814
; %bb.1804:
	global_load_dword v3, v[10:11], off
	s_mov_b64 s[6:7], 0
	s_mov_b64 s[18:19], -1
	s_waitcnt vmcnt(0)
	v_lshlrev_b32_e32 v3, 16, v3
	s_branch .LBB73_1815
.LBB73_1805:
	s_mov_b64 s[18:19], 0
                                        ; implicit-def: $vgpr3
	s_cbranch_execnz .LBB73_1880
.LBB73_1806:
	s_andn2_b64 vcc, exec, s[18:19]
	s_cbranch_vccnz .LBB73_2763
	s_branch .LBB73_1927
.LBB73_1807:
	s_mov_b64 s[18:19], 0
	s_mov_b64 s[6:7], 0
                                        ; implicit-def: $vgpr3
	s_cbranch_execnz .LBB73_1844
	s_branch .LBB73_1876
.LBB73_1808:
	s_mov_b64 s[20:21], -1
	s_mov_b64 s[18:19], 0
	s_mov_b64 s[6:7], 0
                                        ; implicit-def: $vgpr3
	s_branch .LBB73_1825
.LBB73_1809:
	s_mov_b64 s[20:21], -1
	s_mov_b64 s[18:19], 0
	s_mov_b64 s[6:7], 0
                                        ; implicit-def: $vgpr3
	s_branch .LBB73_1820
.LBB73_1810:
	s_or_b64 s[4:5], s[12:13], exec
	s_trap 2
                                        ; implicit-def: $vgpr1
	s_cbranch_execz .LBB73_1751
	s_branch .LBB73_1752
.LBB73_1811:
	s_mov_b64 s[20:21], -1
	s_mov_b64 s[18:19], 0
	s_mov_b64 s[6:7], 0
                                        ; implicit-def: $vgpr3
	s_branch .LBB73_1815
.LBB73_1812:
	s_or_saveexec_b64 s[18:19], s[18:19]
                                        ; implicit-def: $sgpr24
	s_xor_b64 exec, exec, s[18:19]
	s_cbranch_execz .LBB73_1558
.LBB73_1813:
	s_mov_b32 s24, 0x42800000
	v_add_f32_e64 v0, |v2|, s24
	v_and_b32_e32 v0, 0xff, v0
	v_cmp_ne_u32_e32 vcc, 0, v0
	s_andn2_b64 s[16:17], s[16:17], exec
	s_and_b64 s[26:27], vcc, exec
	s_mov_b32 s24, 0
	s_or_b64 s[16:17], s[16:17], s[26:27]
	s_or_b64 exec, exec, s[18:19]
	v_mov_b32_e32 v1, s24
	s_and_saveexec_b64 s[18:19], s[16:17]
	s_cbranch_execnz .LBB73_1559
	s_branch .LBB73_1560
.LBB73_1814:
	s_mov_b64 s[6:7], -1
                                        ; implicit-def: $vgpr3
	s_mov_b64 s[18:19], 0
.LBB73_1815:
	s_and_b64 vcc, exec, s[20:21]
	s_cbranch_vccz .LBB73_1819
; %bb.1816:
	v_cmp_eq_u16_e64 s[6:7], s28, 44
	s_and_b64 vcc, exec, s[6:7]
	s_cbranch_vccz .LBB73_1818
; %bb.1817:
	global_load_ubyte v3, v[10:11], off
	s_movk_i32 s18, 0xff
	v_mov_b32_e32 v5, 0x7f800001
	v_mov_b32_e32 v7, 0x400000
	s_mov_b64 s[6:7], 0
	s_waitcnt vmcnt(0)
	v_lshlrev_b32_e32 v9, 23, v3
	v_cmp_ne_u32_e32 vcc, s18, v3
	v_cndmask_b32_e32 v5, v5, v9, vcc
	v_cmp_ne_u32_e32 vcc, 0, v3
	v_cndmask_b32_e32 v3, v7, v5, vcc
	s_mov_b64 s[18:19], -1
	s_branch .LBB73_1819
.LBB73_1818:
	s_mov_b64 s[6:7], -1
                                        ; implicit-def: $vgpr3
.LBB73_1819:
	s_mov_b64 s[20:21], 0
.LBB73_1820:
	s_and_b64 vcc, exec, s[20:21]
	s_cbranch_vccz .LBB73_1824
; %bb.1821:
	v_cmp_eq_u16_e64 s[6:7], s28, 29
	s_and_b64 vcc, exec, s[6:7]
	s_cbranch_vccz .LBB73_1823
; %bb.1822:
	global_load_dwordx2 v[22:23], v[10:11], off
	s_mov_b64 s[6:7], 0
	s_mov_b64 s[18:19], -1
	s_mov_b64 s[20:21], 0
	s_waitcnt vmcnt(0)
	v_ffbh_u32_e32 v3, v23
	v_min_u32_e32 v3, 32, v3
	v_lshlrev_b64 v[22:23], v3, v[22:23]
	v_min_u32_e32 v5, 1, v22
	v_or_b32_e32 v5, v23, v5
	v_cvt_f32_u32_e32 v5, v5
	v_sub_u32_e32 v3, 32, v3
	v_ldexp_f32 v3, v5, v3
	s_branch .LBB73_1825
.LBB73_1823:
	s_mov_b64 s[6:7], -1
                                        ; implicit-def: $vgpr3
.LBB73_1824:
	s_mov_b64 s[20:21], 0
.LBB73_1825:
	s_and_b64 vcc, exec, s[20:21]
	s_cbranch_vccz .LBB73_1843
; %bb.1826:
	v_cmp_lt_i16_e64 s[18:19], s28, 27
	s_and_b64 vcc, exec, s[18:19]
	s_cbranch_vccnz .LBB73_1829
; %bb.1827:
	v_cmp_gt_i16_e64 s[18:19], s28, 27
	s_and_b64 vcc, exec, s[18:19]
	s_cbranch_vccz .LBB73_1830
; %bb.1828:
	global_load_dword v3, v[10:11], off
	s_mov_b64 s[18:19], 0
	s_waitcnt vmcnt(0)
	v_cvt_f32_u32_e32 v3, v3
	s_branch .LBB73_1831
.LBB73_1829:
	s_mov_b64 s[18:19], -1
                                        ; implicit-def: $vgpr3
	s_branch .LBB73_1834
.LBB73_1830:
	s_mov_b64 s[18:19], -1
                                        ; implicit-def: $vgpr3
.LBB73_1831:
	s_andn2_b64 vcc, exec, s[18:19]
	s_cbranch_vccnz .LBB73_1833
; %bb.1832:
	global_load_ushort v3, v[10:11], off
	s_waitcnt vmcnt(0)
	v_cvt_f32_u32_e32 v3, v3
.LBB73_1833:
	s_mov_b64 s[18:19], 0
.LBB73_1834:
	s_andn2_b64 vcc, exec, s[18:19]
	s_cbranch_vccnz .LBB73_1842
; %bb.1835:
	global_load_ubyte v5, v[10:11], off
	s_movk_i32 s18, 0x7f
                                        ; implicit-def: $sgpr24
	s_waitcnt vmcnt(0)
	v_cmp_lt_i16_e32 vcc, s18, v5
	s_mov_b64 s[18:19], 0
	s_and_saveexec_b64 s[20:21], vcc
	s_xor_b64 s[20:21], exec, s[20:21]
	s_cbranch_execz .LBB73_1855
; %bb.1836:
	s_movk_i32 s18, 0x80
	v_cmp_eq_u16_e32 vcc, s18, v5
	s_mov_b64 s[18:19], -1
                                        ; implicit-def: $sgpr24
	s_and_saveexec_b64 s[22:23], vcc
; %bb.1837:
	s_mov_b32 s24, 0x7f800001
	s_xor_b64 s[18:19], exec, -1
; %bb.1838:
	s_or_b64 exec, exec, s[22:23]
	s_and_b64 s[18:19], s[18:19], exec
	s_or_saveexec_b64 s[20:21], s[20:21]
	v_mov_b32_e32 v3, s24
	s_xor_b64 exec, exec, s[20:21]
	s_cbranch_execnz .LBB73_1856
.LBB73_1839:
	s_or_b64 exec, exec, s[20:21]
	s_and_saveexec_b64 s[20:21], s[18:19]
	s_cbranch_execz .LBB73_1841
.LBB73_1840:
	v_lshlrev_b32_e32 v3, 24, v5
	v_and_b32_e32 v5, 0xffff, v5
	v_and_b32_e32 v7, 7, v5
	v_ffbh_u32_e32 v13, v7
	v_min_u32_e32 v13, 32, v13
	v_subrev_u32_e32 v15, 28, v13
	v_bfe_u32 v9, v5, 3, 4
	v_lshlrev_b32_e32 v5, v15, v5
	v_sub_u32_e32 v13, 29, v13
	v_and_b32_e32 v5, 7, v5
	v_cmp_eq_u32_e32 vcc, 0, v9
	v_cndmask_b32_e32 v9, v9, v13, vcc
	v_cndmask_b32_e32 v5, v7, v5, vcc
	v_mov_b32_e32 v7, 0x3b800000
	v_lshlrev_b32_e32 v5, 20, v5
	v_and_b32_e32 v3, 0x80000000, v3
	v_lshl_add_u32 v7, v9, 23, v7
	v_or3_b32 v3, v3, v7, v5
.LBB73_1841:
	s_or_b64 exec, exec, s[20:21]
.LBB73_1842:
	s_mov_b64 s[18:19], -1
.LBB73_1843:
	s_branch .LBB73_1876
.LBB73_1844:
	v_cmp_gt_i16_e64 s[16:17], s28, 22
	s_and_b64 vcc, exec, s[16:17]
	s_cbranch_vccz .LBB73_1854
; %bb.1845:
	v_cmp_lt_i16_e64 s[16:17], s28, 24
	s_and_b64 vcc, exec, s[16:17]
	s_cbranch_vccnz .LBB73_1857
; %bb.1846:
	v_cmp_gt_i16_e64 s[16:17], s28, 24
	s_and_b64 vcc, exec, s[16:17]
	s_cbranch_vccz .LBB73_1858
; %bb.1847:
	global_load_ubyte v5, v[10:11], off
	s_movk_i32 s16, 0x7f
                                        ; implicit-def: $sgpr22
	s_waitcnt vmcnt(0)
	v_cmp_lt_i16_e32 vcc, s16, v5
	s_mov_b64 s[16:17], 0
	s_and_saveexec_b64 s[18:19], vcc
	s_xor_b64 s[18:19], exec, s[18:19]
	s_cbranch_execz .LBB73_1870
; %bb.1848:
	s_movk_i32 s16, 0x80
	v_cmp_eq_u16_e32 vcc, s16, v5
	s_mov_b64 s[16:17], -1
                                        ; implicit-def: $sgpr22
	s_and_saveexec_b64 s[20:21], vcc
; %bb.1849:
	s_mov_b32 s22, 0x7f800001
	s_xor_b64 s[16:17], exec, -1
; %bb.1850:
	s_or_b64 exec, exec, s[20:21]
	s_and_b64 s[16:17], s[16:17], exec
	s_or_saveexec_b64 s[18:19], s[18:19]
	v_mov_b32_e32 v3, s22
	s_xor_b64 exec, exec, s[18:19]
	s_cbranch_execnz .LBB73_1871
.LBB73_1851:
	s_or_b64 exec, exec, s[18:19]
	s_and_saveexec_b64 s[18:19], s[16:17]
	s_cbranch_execz .LBB73_1853
.LBB73_1852:
	v_lshlrev_b32_e32 v3, 24, v5
	v_and_b32_e32 v5, 0xffff, v5
	v_and_b32_e32 v7, 3, v5
	v_ffbh_u32_e32 v13, v7
	v_min_u32_e32 v13, 32, v13
	v_subrev_u32_e32 v15, 29, v13
	v_bfe_u32 v9, v5, 2, 5
	v_lshlrev_b32_e32 v5, v15, v5
	v_sub_u32_e32 v13, 30, v13
	v_and_b32_e32 v5, 3, v5
	v_cmp_eq_u32_e32 vcc, 0, v9
	v_cndmask_b32_e32 v9, v9, v13, vcc
	v_cndmask_b32_e32 v5, v7, v5, vcc
	v_mov_b32_e32 v7, 0x37800000
	v_lshlrev_b32_e32 v5, 21, v5
	v_and_b32_e32 v3, 0x80000000, v3
	v_lshl_add_u32 v7, v9, 23, v7
	v_or3_b32 v3, v3, v7, v5
.LBB73_1853:
	s_or_b64 exec, exec, s[18:19]
	s_mov_b64 s[16:17], 0
	s_branch .LBB73_1859
.LBB73_1854:
	s_mov_b64 s[16:17], -1
                                        ; implicit-def: $vgpr3
	s_branch .LBB73_1865
.LBB73_1855:
	s_or_saveexec_b64 s[20:21], s[20:21]
	v_mov_b32_e32 v3, s24
	s_xor_b64 exec, exec, s[20:21]
	s_cbranch_execz .LBB73_1839
.LBB73_1856:
	v_cmp_ne_u16_e32 vcc, 0, v5
	s_andn2_b64 s[18:19], s[18:19], exec
	s_and_b64 s[22:23], vcc, exec
	v_mov_b32_e32 v3, 0
	s_or_b64 s[18:19], s[18:19], s[22:23]
	s_or_b64 exec, exec, s[20:21]
	s_and_saveexec_b64 s[20:21], s[18:19]
	s_cbranch_execnz .LBB73_1840
	s_branch .LBB73_1841
.LBB73_1857:
	s_mov_b64 s[16:17], -1
                                        ; implicit-def: $vgpr3
	s_branch .LBB73_1862
.LBB73_1858:
	s_mov_b64 s[16:17], -1
                                        ; implicit-def: $vgpr3
.LBB73_1859:
	s_and_b64 vcc, exec, s[16:17]
	s_cbranch_vccz .LBB73_1861
; %bb.1860:
	global_load_ubyte v3, v[10:11], off
	s_mov_b32 s16, 0x7f800000
	s_waitcnt vmcnt(0)
	v_lshlrev_b32_e32 v3, 24, v3
	v_and_b32_e32 v5, 0x7f000000, v3
	v_ffbh_u32_e32 v7, v5
	v_min_u32_e32 v7, 32, v7
	v_sub_u32_e64 v7, v7, 4 clamp
	v_lshlrev_b32_e32 v13, v7, v5
	v_lshlrev_b32_e32 v7, 23, v7
	v_lshrrev_b32_e32 v13, 4, v13
	v_add_u32_e32 v9, 0x1000000, v5
	v_sub_u32_e32 v7, v13, v7
	v_ashrrev_i32_e32 v9, 8, v9
	v_add_u32_e32 v7, 0x3c000000, v7
	v_and_or_b32 v7, v9, s16, v7
	v_cmp_ne_u32_e32 vcc, 0, v5
	v_cndmask_b32_e32 v5, 0, v7, vcc
	s_brev_b32 s16, 1
	v_and_or_b32 v3, v3, s16, v5
.LBB73_1861:
	s_mov_b64 s[16:17], 0
.LBB73_1862:
	s_andn2_b64 vcc, exec, s[16:17]
	s_cbranch_vccnz .LBB73_1864
; %bb.1863:
	global_load_ubyte v3, v[10:11], off
	s_movk_i32 s16, 0x7f00
	s_brev_b32 s17, 16
	s_waitcnt vmcnt(0)
	v_lshlrev_b16_e32 v5, 8, v3
	v_lshlrev_b32_e32 v3, 25, v3
	v_lshrrev_b32_e32 v7, 4, v3
	v_and_or_b32 v9, v5, s16, 0.5
	v_or_b32_e32 v7, 0x70000000, v7
	v_add_f32_e32 v9, -0.5, v9
	v_mul_f32_e32 v7, 0x7800000, v7
	v_cmp_gt_u32_e32 vcc, s17, v3
	v_bfe_i32 v5, v5, 0, 16
	v_cndmask_b32_e32 v3, v7, v9, vcc
	s_brev_b32 s16, 1
	v_and_or_b32 v3, v5, s16, v3
.LBB73_1864:
	s_mov_b64 s[16:17], 0
	s_mov_b64 s[18:19], -1
.LBB73_1865:
	s_andn2_b64 vcc, exec, s[16:17]
	s_mov_b64 s[16:17], 0
	s_cbranch_vccnz .LBB73_1876
; %bb.1866:
	v_cmp_gt_i16_e64 s[16:17], s28, 14
	s_and_b64 vcc, exec, s[16:17]
	s_cbranch_vccz .LBB73_1869
; %bb.1867:
	v_cmp_eq_u16_e64 s[6:7], s28, 15
	s_and_b64 vcc, exec, s[6:7]
	s_cbranch_vccz .LBB73_1872
; %bb.1868:
	global_load_ushort v3, v[10:11], off
	s_mov_b64 s[6:7], 0
	s_mov_b64 s[18:19], -1
	s_waitcnt vmcnt(0)
	v_lshlrev_b32_e32 v3, 16, v3
	s_branch .LBB73_1873
.LBB73_1869:
	s_mov_b64 s[20:21], -1
                                        ; implicit-def: $vgpr3
	s_branch .LBB73_1874
.LBB73_1870:
	s_or_saveexec_b64 s[18:19], s[18:19]
	v_mov_b32_e32 v3, s22
	s_xor_b64 exec, exec, s[18:19]
	s_cbranch_execz .LBB73_1851
.LBB73_1871:
	v_cmp_ne_u16_e32 vcc, 0, v5
	s_andn2_b64 s[16:17], s[16:17], exec
	s_and_b64 s[20:21], vcc, exec
	v_mov_b32_e32 v3, 0
	s_or_b64 s[16:17], s[16:17], s[20:21]
	s_or_b64 exec, exec, s[18:19]
	s_and_saveexec_b64 s[18:19], s[16:17]
	s_cbranch_execnz .LBB73_1852
	s_branch .LBB73_1853
.LBB73_1872:
	s_mov_b64 s[6:7], -1
                                        ; implicit-def: $vgpr3
.LBB73_1873:
	s_mov_b64 s[20:21], 0
.LBB73_1874:
	s_mov_b64 s[16:17], 0
	s_and_b64 vcc, exec, s[20:21]
	s_cbranch_vccz .LBB73_1876
; %bb.1875:
	v_cmp_ne_u16_e64 s[6:7], s28, 11
	s_mov_b64 s[16:17], -1
                                        ; implicit-def: $vgpr3
.LBB73_1876:
	s_and_b64 vcc, exec, s[6:7]
	s_cbranch_vccnz .LBB73_1951
; %bb.1877:
	s_andn2_b64 vcc, exec, s[16:17]
	s_cbranch_vccnz .LBB73_1879
.LBB73_1878:
	global_load_ubyte v3, v[10:11], off
	s_mov_b64 s[18:19], -1
	s_waitcnt vmcnt(0)
	v_cmp_ne_u16_e32 vcc, 0, v3
	v_cndmask_b32_e64 v3, 0, 1.0, vcc
.LBB73_1879:
	s_branch .LBB73_1806
.LBB73_1880:
	v_cmp_lt_i16_e64 s[6:7], s28, 5
	s_and_b64 vcc, exec, s[6:7]
	s_cbranch_vccnz .LBB73_1885
; %bb.1881:
	v_cmp_lt_i16_e64 s[6:7], s28, 8
	s_and_b64 vcc, exec, s[6:7]
	s_cbranch_vccnz .LBB73_1886
; %bb.1882:
	;; [unrolled: 4-line block ×3, first 2 shown]
	v_cmp_gt_i16_e64 s[6:7], s28, 9
	s_and_b64 vcc, exec, s[6:7]
	s_cbranch_vccz .LBB73_1888
; %bb.1884:
	global_load_dwordx2 v[22:23], v[10:11], off
	s_mov_b64 s[6:7], 0
	s_waitcnt vmcnt(0)
	v_cvt_f32_f64_e32 v3, v[22:23]
	s_branch .LBB73_1889
.LBB73_1885:
                                        ; implicit-def: $vgpr3
	s_branch .LBB73_1907
.LBB73_1886:
	s_mov_b64 s[6:7], -1
                                        ; implicit-def: $vgpr3
	s_branch .LBB73_1895
.LBB73_1887:
	s_mov_b64 s[6:7], -1
                                        ; implicit-def: $vgpr3
	s_branch .LBB73_1892
.LBB73_1888:
	s_mov_b64 s[6:7], -1
                                        ; implicit-def: $vgpr3
.LBB73_1889:
	s_andn2_b64 vcc, exec, s[6:7]
	s_cbranch_vccnz .LBB73_1891
; %bb.1890:
	global_load_dword v3, v[10:11], off
.LBB73_1891:
	s_mov_b64 s[6:7], 0
.LBB73_1892:
	s_andn2_b64 vcc, exec, s[6:7]
	s_cbranch_vccnz .LBB73_1894
; %bb.1893:
	global_load_dword v3, v[10:11], off
	s_waitcnt vmcnt(0)
	v_cvt_f32_f16_e32 v3, v3
.LBB73_1894:
	s_mov_b64 s[6:7], 0
.LBB73_1895:
	s_andn2_b64 vcc, exec, s[6:7]
	s_cbranch_vccnz .LBB73_1906
; %bb.1896:
	v_cmp_lt_i16_e64 s[6:7], s28, 6
	s_and_b64 vcc, exec, s[6:7]
	s_cbranch_vccnz .LBB73_1899
; %bb.1897:
	v_cmp_gt_i16_e64 s[6:7], s28, 6
	s_and_b64 vcc, exec, s[6:7]
	s_cbranch_vccz .LBB73_1900
; %bb.1898:
	global_load_dwordx2 v[22:23], v[10:11], off
	s_mov_b64 s[6:7], 0
	s_waitcnt vmcnt(0)
	v_cvt_f32_f64_e32 v3, v[22:23]
	s_branch .LBB73_1901
.LBB73_1899:
	s_mov_b64 s[6:7], -1
                                        ; implicit-def: $vgpr3
	s_branch .LBB73_1904
.LBB73_1900:
	s_mov_b64 s[6:7], -1
                                        ; implicit-def: $vgpr3
.LBB73_1901:
	s_andn2_b64 vcc, exec, s[6:7]
	s_cbranch_vccnz .LBB73_1903
; %bb.1902:
	global_load_dword v3, v[10:11], off
.LBB73_1903:
	s_mov_b64 s[6:7], 0
.LBB73_1904:
	s_andn2_b64 vcc, exec, s[6:7]
	s_cbranch_vccnz .LBB73_1906
; %bb.1905:
	global_load_ushort v3, v[10:11], off
	s_waitcnt vmcnt(0)
	v_cvt_f32_f16_e32 v3, v3
.LBB73_1906:
	s_cbranch_execnz .LBB73_1926
.LBB73_1907:
	v_cmp_lt_i16_e64 s[6:7], s28, 2
	s_and_b64 vcc, exec, s[6:7]
	s_cbranch_vccnz .LBB73_1911
; %bb.1908:
	v_cmp_lt_i16_e64 s[6:7], s28, 3
	s_and_b64 vcc, exec, s[6:7]
	s_cbranch_vccnz .LBB73_1912
; %bb.1909:
	v_cmp_gt_i16_e64 s[6:7], s28, 3
	s_and_b64 vcc, exec, s[6:7]
	s_cbranch_vccz .LBB73_1913
; %bb.1910:
	global_load_dwordx2 v[22:23], v[10:11], off
	s_mov_b64 s[6:7], 0
	s_waitcnt vmcnt(0)
	v_xor_b32_e32 v5, v22, v23
	v_ffbh_i32_e32 v3, v23
	v_ashrrev_i32_e32 v5, 31, v5
	v_add_u32_e32 v3, -1, v3
	v_add_u32_e32 v5, 32, v5
	v_min_u32_e32 v3, v3, v5
	v_lshlrev_b64 v[22:23], v3, v[22:23]
	v_min_u32_e32 v5, 1, v22
	v_or_b32_e32 v5, v23, v5
	v_cvt_f32_i32_e32 v5, v5
	v_sub_u32_e32 v3, 32, v3
	v_ldexp_f32 v3, v5, v3
	s_branch .LBB73_1914
.LBB73_1911:
	s_mov_b64 s[6:7], -1
                                        ; implicit-def: $vgpr3
	s_branch .LBB73_1920
.LBB73_1912:
	s_mov_b64 s[6:7], -1
                                        ; implicit-def: $vgpr3
	s_branch .LBB73_1917
.LBB73_1913:
	s_mov_b64 s[6:7], -1
                                        ; implicit-def: $vgpr3
.LBB73_1914:
	s_andn2_b64 vcc, exec, s[6:7]
	s_cbranch_vccnz .LBB73_1916
; %bb.1915:
	global_load_dword v3, v[10:11], off
	s_waitcnt vmcnt(0)
	v_cvt_f32_i32_e32 v3, v3
.LBB73_1916:
	s_mov_b64 s[6:7], 0
.LBB73_1917:
	s_andn2_b64 vcc, exec, s[6:7]
	s_cbranch_vccnz .LBB73_1919
; %bb.1918:
	global_load_sshort v3, v[10:11], off
	s_waitcnt vmcnt(0)
	v_cvt_f32_i32_e32 v3, v3
.LBB73_1919:
	s_mov_b64 s[6:7], 0
.LBB73_1920:
	s_andn2_b64 vcc, exec, s[6:7]
	s_cbranch_vccnz .LBB73_1926
; %bb.1921:
	v_cmp_gt_i16_e64 s[6:7], s28, 0
	s_and_b64 vcc, exec, s[6:7]
	s_cbranch_vccz .LBB73_1923
; %bb.1922:
	global_load_sbyte v3, v[10:11], off
	s_mov_b64 s[6:7], 0
	s_waitcnt vmcnt(0)
	v_cvt_f32_i32_e32 v3, v3
	s_branch .LBB73_1924
.LBB73_1923:
	s_mov_b64 s[6:7], -1
                                        ; implicit-def: $vgpr3
.LBB73_1924:
	s_andn2_b64 vcc, exec, s[6:7]
	s_cbranch_vccnz .LBB73_1926
; %bb.1925:
	global_load_ubyte v3, v[10:11], off
	s_waitcnt vmcnt(0)
	v_cvt_f32_ubyte0_e32 v3, v3
.LBB73_1926:
.LBB73_1927:
	s_waitcnt vmcnt(0)
	v_trunc_f32_e32 v3, v3
	s_mov_b32 s6, 0x2f800000
	v_mul_f32_e64 v5, |v3|, s6
	v_floor_f32_e32 v5, v5
	s_mov_b32 s6, 0xcf800000
	v_cvt_u32_f32_e32 v7, v5
	v_fma_f32 v5, v5, s6, |v3|
	v_cvt_u32_f32_e32 v5, v5
	v_ashrrev_i32_e32 v3, 31, v3
	v_xor_b32_e32 v7, v7, v3
	v_mov_b32_e32 v10, 0
	v_xor_b32_e32 v5, v5, v3
	v_sub_co_u32_e32 v22, vcc, v5, v3
	v_subb_co_u32_e32 v23, vcc, v7, v3, vcc
	v_cmp_lt_i64_e32 vcc, -1, v[22:23]
	s_and_saveexec_b64 s[6:7], vcc
	s_cbranch_execz .LBB73_1939
; %bb.1928:
	v_cmp_lt_i64_e32 vcc, 0, v[22:23]
	v_mov_b32_e32 v10, 1.0
	s_and_saveexec_b64 s[16:17], vcc
	s_cbranch_execz .LBB73_1938
; %bb.1929:
	v_cmp_ne_u64_e32 vcc, 1, v[22:23]
                                        ; implicit-def: $vgpr10
	s_and_saveexec_b64 s[18:19], vcc
	s_xor_b64 s[18:19], exec, s[18:19]
	s_cbranch_execz .LBB73_1935
; %bb.1930:
	s_mov_b64 s[20:21], 0x81
	v_cmp_gt_u64_e32 vcc, s[20:21], v[22:23]
	v_mov_b32_e32 v10, 0x7fc00000
	s_and_saveexec_b64 s[20:21], vcc
	s_cbranch_execz .LBB73_1934
; %bb.1931:
	s_mov_b64 s[24:25], 1
	s_mov_b64 s[22:23], 0
	v_mov_b32_e32 v3, 1.0
	v_mov_b32_e32 v10, v1
.LBB73_1932:                            ; =>This Inner Loop Header: Depth=1
	s_flbit_i32_b32 s29, s25
	s_min_u32 s29, s29, 32
	s_lshl_b64 s[30:31], s[24:25], s29
	s_min_u32 s30, s30, 1
	s_or_b32 s30, s31, s30
	v_cvt_f32_u32_e32 v7, s30
	s_sub_i32 s29, 32, s29
	s_add_u32 s24, s24, 1
	s_addc_u32 s25, s25, 0
	v_ldexp_f32 v7, v7, s29
	v_mov_b32_e32 v5, v10
	v_cmp_eq_u64_e32 vcc, s[24:25], v[22:23]
	v_mul_f32_e32 v7, v3, v7
	s_or_b64 s[22:23], vcc, s[22:23]
	v_mov_b32_e32 v3, v10
	v_fma_f32 v10, v1, v5, -v7
	s_andn2_b64 exec, exec, s[22:23]
	s_cbranch_execnz .LBB73_1932
; %bb.1933:
	s_or_b64 exec, exec, s[22:23]
.LBB73_1934:
	s_or_b64 exec, exec, s[20:21]
                                        ; implicit-def: $vgpr1
.LBB73_1935:
	s_andn2_saveexec_b64 s[18:19], s[18:19]
; %bb.1936:
	v_mov_b32_e32 v10, v1
; %bb.1937:
	s_or_b64 exec, exec, s[18:19]
.LBB73_1938:
	s_or_b64 exec, exec, s[16:17]
.LBB73_1939:
	s_or_b64 exec, exec, s[6:7]
	v_mov_b32_e32 v1, s11
	v_add_co_u32_e32 v20, vcc, s10, v20
	v_addc_co_u32_e32 v21, vcc, 0, v1, vcc
	v_mov_b32_e32 v1, 11
	v_cmp_lt_i16_sdwa s[6:7], s27, v1 src0_sel:BYTE_0 src1_sel:DWORD
	s_and_b64 vcc, exec, s[6:7]
	s_cbranch_vccnz .LBB73_1946
; %bb.1940:
	v_mov_b32_e32 v1, 25
	v_cmp_gt_i16_sdwa s[6:7], s27, v1 src0_sel:BYTE_0 src1_sel:DWORD
	s_mov_b64 s[16:17], 0
	s_and_b64 vcc, exec, s[6:7]
	s_cbranch_vccz .LBB73_1948
; %bb.1941:
	v_mov_b32_e32 v1, 28
	v_cmp_gt_i16_sdwa s[6:7], s27, v1 src0_sel:BYTE_0 src1_sel:DWORD
	s_and_b64 vcc, exec, s[6:7]
	s_cbranch_vccz .LBB73_1949
; %bb.1942:
	v_mov_b32_e32 v1, 43
	v_cmp_gt_i16_sdwa s[6:7], s27, v1 src0_sel:BYTE_0 src1_sel:DWORD
	;; [unrolled: 5-line block ×3, first 2 shown]
	s_and_b64 vcc, exec, s[6:7]
	s_cbranch_vccz .LBB73_1952
; %bb.1944:
	v_mov_b32_e32 v1, 46
	v_cmp_eq_u16_sdwa s[6:7], s27, v1 src0_sel:BYTE_0 src1_sel:DWORD
	s_mov_b64 s[20:21], 0
	s_and_b64 vcc, exec, s[6:7]
	s_cbranch_vccz .LBB73_1953
; %bb.1945:
	global_load_dword v1, v[20:21], off
	s_mov_b64 s[6:7], 0
	s_mov_b64 s[18:19], -1
	s_waitcnt vmcnt(0)
	v_lshlrev_b32_e32 v1, 16, v1
	s_branch .LBB73_1954
.LBB73_1946:
	s_mov_b64 s[18:19], 0
                                        ; implicit-def: $vgpr1
	s_cbranch_execnz .LBB73_2020
.LBB73_1947:
	s_andn2_b64 vcc, exec, s[18:19]
	s_cbranch_vccnz .LBB73_2763
	s_branch .LBB73_2068
.LBB73_1948:
	s_mov_b64 s[20:21], -1
	s_mov_b64 s[18:19], 0
	s_mov_b64 s[6:7], 0
                                        ; implicit-def: $vgpr1
	s_branch .LBB73_1983
.LBB73_1949:
	s_mov_b64 s[20:21], -1
	s_mov_b64 s[18:19], 0
	s_mov_b64 s[6:7], 0
                                        ; implicit-def: $vgpr1
	s_branch .LBB73_1964
.LBB73_1950:
	s_mov_b64 s[20:21], -1
	s_mov_b64 s[18:19], 0
	s_mov_b64 s[6:7], 0
                                        ; implicit-def: $vgpr1
	s_branch .LBB73_1959
.LBB73_1951:
	s_trap 2
	s_or_b64 s[4:5], s[4:5], exec
                                        ; implicit-def: $vgpr3
	s_cbranch_execz .LBB73_1878
	s_branch .LBB73_1879
.LBB73_1952:
	s_mov_b64 s[20:21], -1
	s_mov_b64 s[18:19], 0
	s_mov_b64 s[6:7], 0
                                        ; implicit-def: $vgpr1
	s_branch .LBB73_1954
.LBB73_1953:
	s_mov_b64 s[6:7], -1
                                        ; implicit-def: $vgpr1
	s_mov_b64 s[18:19], 0
.LBB73_1954:
	s_and_b64 vcc, exec, s[20:21]
	s_cbranch_vccz .LBB73_1958
; %bb.1955:
	v_mov_b32_e32 v1, 44
	v_cmp_eq_u16_sdwa s[6:7], s27, v1 src0_sel:BYTE_0 src1_sel:DWORD
	s_and_b64 vcc, exec, s[6:7]
	s_cbranch_vccz .LBB73_1957
; %bb.1956:
	global_load_ubyte v1, v[20:21], off
	s_movk_i32 s18, 0xff
	v_mov_b32_e32 v3, 0x7f800001
	v_mov_b32_e32 v5, 0x400000
	s_mov_b64 s[6:7], 0
	s_waitcnt vmcnt(0)
	v_lshlrev_b32_e32 v7, 23, v1
	v_cmp_ne_u32_e32 vcc, s18, v1
	v_cndmask_b32_e32 v3, v3, v7, vcc
	v_cmp_ne_u32_e32 vcc, 0, v1
	v_cndmask_b32_e32 v1, v5, v3, vcc
	s_mov_b64 s[18:19], -1
	s_branch .LBB73_1958
.LBB73_1957:
	s_mov_b64 s[6:7], -1
                                        ; implicit-def: $vgpr1
.LBB73_1958:
	s_mov_b64 s[20:21], 0
.LBB73_1959:
	s_and_b64 vcc, exec, s[20:21]
	s_cbranch_vccz .LBB73_1963
; %bb.1960:
	v_mov_b32_e32 v1, 29
	v_cmp_eq_u16_sdwa s[6:7], s27, v1 src0_sel:BYTE_0 src1_sel:DWORD
	s_and_b64 vcc, exec, s[6:7]
	s_cbranch_vccz .LBB73_1962
; %bb.1961:
	global_load_dwordx2 v[22:23], v[20:21], off
	s_mov_b64 s[6:7], 0
	s_mov_b64 s[18:19], -1
	s_mov_b64 s[20:21], 0
	s_waitcnt vmcnt(0)
	v_ffbh_u32_e32 v1, v23
	v_min_u32_e32 v1, 32, v1
	v_lshlrev_b64 v[22:23], v1, v[22:23]
	v_min_u32_e32 v3, 1, v22
	v_or_b32_e32 v3, v23, v3
	v_cvt_f32_u32_e32 v3, v3
	v_sub_u32_e32 v1, 32, v1
	v_ldexp_f32 v1, v3, v1
	s_branch .LBB73_1964
.LBB73_1962:
	s_mov_b64 s[6:7], -1
                                        ; implicit-def: $vgpr1
.LBB73_1963:
	s_mov_b64 s[20:21], 0
.LBB73_1964:
	s_and_b64 vcc, exec, s[20:21]
	s_cbranch_vccz .LBB73_1982
; %bb.1965:
	v_mov_b32_e32 v1, 27
	v_cmp_lt_i16_sdwa s[18:19], s27, v1 src0_sel:BYTE_0 src1_sel:DWORD
	s_and_b64 vcc, exec, s[18:19]
	s_cbranch_vccnz .LBB73_1968
; %bb.1966:
	v_cmp_gt_i16_sdwa s[18:19], s27, v1 src0_sel:BYTE_0 src1_sel:DWORD
	s_and_b64 vcc, exec, s[18:19]
	s_cbranch_vccz .LBB73_1969
; %bb.1967:
	global_load_dword v1, v[20:21], off
	s_mov_b64 s[18:19], 0
	s_waitcnt vmcnt(0)
	v_cvt_f32_u32_e32 v1, v1
	s_branch .LBB73_1970
.LBB73_1968:
	s_mov_b64 s[18:19], -1
                                        ; implicit-def: $vgpr1
	s_branch .LBB73_1973
.LBB73_1969:
	s_mov_b64 s[18:19], -1
                                        ; implicit-def: $vgpr1
.LBB73_1970:
	s_andn2_b64 vcc, exec, s[18:19]
	s_cbranch_vccnz .LBB73_1972
; %bb.1971:
	global_load_ushort v1, v[20:21], off
	s_waitcnt vmcnt(0)
	v_cvt_f32_u32_e32 v1, v1
.LBB73_1972:
	s_mov_b64 s[18:19], 0
.LBB73_1973:
	s_andn2_b64 vcc, exec, s[18:19]
	s_cbranch_vccnz .LBB73_1981
; %bb.1974:
	global_load_ubyte v3, v[20:21], off
	s_movk_i32 s18, 0x7f
                                        ; implicit-def: $sgpr24
	s_waitcnt vmcnt(0)
	v_cmp_lt_i16_e32 vcc, s18, v3
	s_mov_b64 s[18:19], 0
	s_and_saveexec_b64 s[20:21], vcc
	s_xor_b64 s[20:21], exec, s[20:21]
	s_cbranch_execz .LBB73_1995
; %bb.1975:
	s_movk_i32 s18, 0x80
	v_cmp_eq_u16_e32 vcc, s18, v3
	s_mov_b64 s[18:19], -1
                                        ; implicit-def: $sgpr24
	s_and_saveexec_b64 s[22:23], vcc
; %bb.1976:
	s_mov_b32 s24, 0x7f800001
	s_xor_b64 s[18:19], exec, -1
; %bb.1977:
	s_or_b64 exec, exec, s[22:23]
	s_and_b64 s[18:19], s[18:19], exec
	s_or_saveexec_b64 s[20:21], s[20:21]
	v_mov_b32_e32 v1, s24
	s_xor_b64 exec, exec, s[20:21]
	s_cbranch_execnz .LBB73_1996
.LBB73_1978:
	s_or_b64 exec, exec, s[20:21]
	s_and_saveexec_b64 s[20:21], s[18:19]
	s_cbranch_execz .LBB73_1980
.LBB73_1979:
	v_lshlrev_b32_e32 v1, 24, v3
	v_and_b32_e32 v3, 0xffff, v3
	v_and_b32_e32 v5, 7, v3
	v_ffbh_u32_e32 v9, v5
	v_min_u32_e32 v9, 32, v9
	v_subrev_u32_e32 v11, 28, v9
	v_bfe_u32 v7, v3, 3, 4
	v_lshlrev_b32_e32 v3, v11, v3
	v_sub_u32_e32 v9, 29, v9
	v_and_b32_e32 v3, 7, v3
	v_cmp_eq_u32_e32 vcc, 0, v7
	v_cndmask_b32_e32 v7, v7, v9, vcc
	v_cndmask_b32_e32 v3, v5, v3, vcc
	v_mov_b32_e32 v5, 0x3b800000
	v_lshlrev_b32_e32 v3, 20, v3
	v_and_b32_e32 v1, 0x80000000, v1
	v_lshl_add_u32 v5, v7, 23, v5
	v_or3_b32 v1, v1, v5, v3
.LBB73_1980:
	s_or_b64 exec, exec, s[20:21]
.LBB73_1981:
	s_mov_b64 s[18:19], -1
.LBB73_1982:
	s_mov_b64 s[20:21], 0
.LBB73_1983:
	s_and_b64 vcc, exec, s[20:21]
	s_cbranch_vccz .LBB73_2016
; %bb.1984:
	v_mov_b32_e32 v1, 22
	v_cmp_gt_i16_sdwa s[16:17], s27, v1 src0_sel:BYTE_0 src1_sel:DWORD
	s_and_b64 vcc, exec, s[16:17]
	s_cbranch_vccz .LBB73_1994
; %bb.1985:
	v_mov_b32_e32 v1, 24
	v_cmp_lt_i16_sdwa s[16:17], s27, v1 src0_sel:BYTE_0 src1_sel:DWORD
	s_and_b64 vcc, exec, s[16:17]
	s_cbranch_vccnz .LBB73_1997
; %bb.1986:
	v_cmp_gt_i16_sdwa s[16:17], s27, v1 src0_sel:BYTE_0 src1_sel:DWORD
	s_and_b64 vcc, exec, s[16:17]
	s_cbranch_vccz .LBB73_1998
; %bb.1987:
	global_load_ubyte v3, v[20:21], off
	s_movk_i32 s16, 0x7f
                                        ; implicit-def: $sgpr22
	s_waitcnt vmcnt(0)
	v_cmp_lt_i16_e32 vcc, s16, v3
	s_mov_b64 s[16:17], 0
	s_and_saveexec_b64 s[18:19], vcc
	s_xor_b64 s[18:19], exec, s[18:19]
	s_cbranch_execz .LBB73_2010
; %bb.1988:
	s_movk_i32 s16, 0x80
	v_cmp_eq_u16_e32 vcc, s16, v3
	s_mov_b64 s[16:17], -1
                                        ; implicit-def: $sgpr22
	s_and_saveexec_b64 s[20:21], vcc
; %bb.1989:
	s_mov_b32 s22, 0x7f800001
	s_xor_b64 s[16:17], exec, -1
; %bb.1990:
	s_or_b64 exec, exec, s[20:21]
	s_and_b64 s[16:17], s[16:17], exec
	s_or_saveexec_b64 s[18:19], s[18:19]
	v_mov_b32_e32 v1, s22
	s_xor_b64 exec, exec, s[18:19]
	s_cbranch_execnz .LBB73_2011
.LBB73_1991:
	s_or_b64 exec, exec, s[18:19]
	s_and_saveexec_b64 s[18:19], s[16:17]
	s_cbranch_execz .LBB73_1993
.LBB73_1992:
	v_lshlrev_b32_e32 v1, 24, v3
	v_and_b32_e32 v3, 0xffff, v3
	v_and_b32_e32 v5, 3, v3
	v_ffbh_u32_e32 v9, v5
	v_min_u32_e32 v9, 32, v9
	v_subrev_u32_e32 v11, 29, v9
	v_bfe_u32 v7, v3, 2, 5
	v_lshlrev_b32_e32 v3, v11, v3
	v_sub_u32_e32 v9, 30, v9
	v_and_b32_e32 v3, 3, v3
	v_cmp_eq_u32_e32 vcc, 0, v7
	v_cndmask_b32_e32 v7, v7, v9, vcc
	v_cndmask_b32_e32 v3, v5, v3, vcc
	v_mov_b32_e32 v5, 0x37800000
	v_lshlrev_b32_e32 v3, 21, v3
	v_and_b32_e32 v1, 0x80000000, v1
	v_lshl_add_u32 v5, v7, 23, v5
	v_or3_b32 v1, v1, v5, v3
.LBB73_1993:
	s_or_b64 exec, exec, s[18:19]
	s_mov_b64 s[16:17], 0
	s_branch .LBB73_1999
.LBB73_1994:
	s_mov_b64 s[16:17], -1
                                        ; implicit-def: $vgpr1
	s_branch .LBB73_2005
.LBB73_1995:
	s_or_saveexec_b64 s[20:21], s[20:21]
	v_mov_b32_e32 v1, s24
	s_xor_b64 exec, exec, s[20:21]
	s_cbranch_execz .LBB73_1978
.LBB73_1996:
	v_cmp_ne_u16_e32 vcc, 0, v3
	s_andn2_b64 s[18:19], s[18:19], exec
	s_and_b64 s[22:23], vcc, exec
	v_mov_b32_e32 v1, 0
	s_or_b64 s[18:19], s[18:19], s[22:23]
	s_or_b64 exec, exec, s[20:21]
	s_and_saveexec_b64 s[20:21], s[18:19]
	s_cbranch_execnz .LBB73_1979
	s_branch .LBB73_1980
.LBB73_1997:
	s_mov_b64 s[16:17], -1
                                        ; implicit-def: $vgpr1
	s_branch .LBB73_2002
.LBB73_1998:
	s_mov_b64 s[16:17], -1
                                        ; implicit-def: $vgpr1
.LBB73_1999:
	s_and_b64 vcc, exec, s[16:17]
	s_cbranch_vccz .LBB73_2001
; %bb.2000:
	global_load_ubyte v1, v[20:21], off
	s_mov_b32 s16, 0x7f800000
	s_waitcnt vmcnt(0)
	v_lshlrev_b32_e32 v1, 24, v1
	v_and_b32_e32 v3, 0x7f000000, v1
	v_ffbh_u32_e32 v5, v3
	v_min_u32_e32 v5, 32, v5
	v_sub_u32_e64 v5, v5, 4 clamp
	v_lshlrev_b32_e32 v9, v5, v3
	v_lshlrev_b32_e32 v5, 23, v5
	v_lshrrev_b32_e32 v9, 4, v9
	v_add_u32_e32 v7, 0x1000000, v3
	v_sub_u32_e32 v5, v9, v5
	v_ashrrev_i32_e32 v7, 8, v7
	v_add_u32_e32 v5, 0x3c000000, v5
	v_and_or_b32 v5, v7, s16, v5
	v_cmp_ne_u32_e32 vcc, 0, v3
	v_cndmask_b32_e32 v3, 0, v5, vcc
	s_brev_b32 s16, 1
	v_and_or_b32 v1, v1, s16, v3
.LBB73_2001:
	s_mov_b64 s[16:17], 0
.LBB73_2002:
	s_andn2_b64 vcc, exec, s[16:17]
	s_cbranch_vccnz .LBB73_2004
; %bb.2003:
	global_load_ubyte v1, v[20:21], off
	s_movk_i32 s16, 0x7f00
	s_brev_b32 s17, 16
	s_waitcnt vmcnt(0)
	v_lshlrev_b16_e32 v3, 8, v1
	v_lshlrev_b32_e32 v1, 25, v1
	v_lshrrev_b32_e32 v5, 4, v1
	v_and_or_b32 v7, v3, s16, 0.5
	v_or_b32_e32 v5, 0x70000000, v5
	v_add_f32_e32 v7, -0.5, v7
	v_mul_f32_e32 v5, 0x7800000, v5
	v_cmp_gt_u32_e32 vcc, s17, v1
	v_bfe_i32 v3, v3, 0, 16
	v_cndmask_b32_e32 v1, v5, v7, vcc
	s_brev_b32 s16, 1
	v_and_or_b32 v1, v3, s16, v1
.LBB73_2004:
	s_mov_b64 s[16:17], 0
	s_mov_b64 s[18:19], -1
.LBB73_2005:
	s_andn2_b64 vcc, exec, s[16:17]
	s_mov_b64 s[16:17], 0
	s_cbranch_vccnz .LBB73_2016
; %bb.2006:
	v_mov_b32_e32 v1, 14
	v_cmp_gt_i16_sdwa s[16:17], s27, v1 src0_sel:BYTE_0 src1_sel:DWORD
	s_and_b64 vcc, exec, s[16:17]
	s_cbranch_vccz .LBB73_2009
; %bb.2007:
	v_mov_b32_e32 v1, 15
	v_cmp_eq_u16_sdwa s[6:7], s27, v1 src0_sel:BYTE_0 src1_sel:DWORD
	s_and_b64 vcc, exec, s[6:7]
	s_cbranch_vccz .LBB73_2012
; %bb.2008:
	global_load_ushort v1, v[20:21], off
	s_mov_b64 s[6:7], 0
	s_mov_b64 s[18:19], -1
	s_waitcnt vmcnt(0)
	v_lshlrev_b32_e32 v1, 16, v1
	s_branch .LBB73_2013
.LBB73_2009:
	s_mov_b64 s[20:21], -1
                                        ; implicit-def: $vgpr1
	s_branch .LBB73_2014
.LBB73_2010:
	s_or_saveexec_b64 s[18:19], s[18:19]
	v_mov_b32_e32 v1, s22
	s_xor_b64 exec, exec, s[18:19]
	s_cbranch_execz .LBB73_1991
.LBB73_2011:
	v_cmp_ne_u16_e32 vcc, 0, v3
	s_andn2_b64 s[16:17], s[16:17], exec
	s_and_b64 s[20:21], vcc, exec
	v_mov_b32_e32 v1, 0
	s_or_b64 s[16:17], s[16:17], s[20:21]
	s_or_b64 exec, exec, s[18:19]
	s_and_saveexec_b64 s[18:19], s[16:17]
	s_cbranch_execnz .LBB73_1992
	s_branch .LBB73_1993
.LBB73_2012:
	s_mov_b64 s[6:7], -1
                                        ; implicit-def: $vgpr1
.LBB73_2013:
	s_mov_b64 s[20:21], 0
.LBB73_2014:
	s_mov_b64 s[16:17], 0
	s_and_b64 vcc, exec, s[20:21]
	s_cbranch_vccz .LBB73_2016
; %bb.2015:
	v_mov_b32_e32 v1, 11
	v_cmp_ne_u16_sdwa s[6:7], s27, v1 src0_sel:BYTE_0 src1_sel:DWORD
	s_mov_b64 s[16:17], -1
                                        ; implicit-def: $vgpr1
.LBB73_2016:
	s_and_b64 vcc, exec, s[6:7]
	s_cbranch_vccnz .LBB73_2079
; %bb.2017:
	s_andn2_b64 vcc, exec, s[16:17]
	s_cbranch_vccnz .LBB73_2019
.LBB73_2018:
	global_load_ubyte v1, v[20:21], off
	s_mov_b64 s[18:19], -1
	s_waitcnt vmcnt(0)
	v_cmp_ne_u16_e32 vcc, 0, v1
	v_cndmask_b32_e64 v1, 0, 1.0, vcc
.LBB73_2019:
	s_branch .LBB73_1947
.LBB73_2020:
	v_mov_b32_e32 v1, 5
	v_cmp_lt_i16_sdwa s[6:7], s27, v1 src0_sel:BYTE_0 src1_sel:DWORD
	s_and_b64 vcc, exec, s[6:7]
	s_cbranch_vccnz .LBB73_2025
; %bb.2021:
	v_mov_b32_e32 v1, 8
	v_cmp_lt_i16_sdwa s[6:7], s27, v1 src0_sel:BYTE_0 src1_sel:DWORD
	s_and_b64 vcc, exec, s[6:7]
	s_cbranch_vccnz .LBB73_2026
; %bb.2022:
	;; [unrolled: 5-line block ×3, first 2 shown]
	v_cmp_gt_i16_sdwa s[6:7], s27, v1 src0_sel:BYTE_0 src1_sel:DWORD
	s_and_b64 vcc, exec, s[6:7]
	s_cbranch_vccz .LBB73_2028
; %bb.2024:
	global_load_dwordx2 v[22:23], v[20:21], off
	s_mov_b64 s[6:7], 0
	s_waitcnt vmcnt(0)
	v_cvt_f32_f64_e32 v1, v[22:23]
	s_branch .LBB73_2029
.LBB73_2025:
	s_mov_b64 s[6:7], -1
                                        ; implicit-def: $vgpr1
	s_branch .LBB73_2047
.LBB73_2026:
	s_mov_b64 s[6:7], -1
                                        ; implicit-def: $vgpr1
	s_branch .LBB73_2035
.LBB73_2027:
	s_mov_b64 s[6:7], -1
                                        ; implicit-def: $vgpr1
	s_branch .LBB73_2032
.LBB73_2028:
	s_mov_b64 s[6:7], -1
                                        ; implicit-def: $vgpr1
.LBB73_2029:
	s_andn2_b64 vcc, exec, s[6:7]
	s_cbranch_vccnz .LBB73_2031
; %bb.2030:
	global_load_dword v1, v[20:21], off
.LBB73_2031:
	s_mov_b64 s[6:7], 0
.LBB73_2032:
	s_andn2_b64 vcc, exec, s[6:7]
	s_cbranch_vccnz .LBB73_2034
; %bb.2033:
	global_load_dword v1, v[20:21], off
	s_waitcnt vmcnt(0)
	v_cvt_f32_f16_e32 v1, v1
.LBB73_2034:
	s_mov_b64 s[6:7], 0
.LBB73_2035:
	s_andn2_b64 vcc, exec, s[6:7]
	s_cbranch_vccnz .LBB73_2046
; %bb.2036:
	s_waitcnt vmcnt(0)
	v_mov_b32_e32 v1, 6
	v_cmp_lt_i16_sdwa s[6:7], s27, v1 src0_sel:BYTE_0 src1_sel:DWORD
	s_and_b64 vcc, exec, s[6:7]
	s_cbranch_vccnz .LBB73_2039
; %bb.2037:
	v_cmp_gt_i16_sdwa s[6:7], s27, v1 src0_sel:BYTE_0 src1_sel:DWORD
	s_and_b64 vcc, exec, s[6:7]
	s_cbranch_vccz .LBB73_2040
; %bb.2038:
	global_load_dwordx2 v[22:23], v[20:21], off
	s_mov_b64 s[6:7], 0
	s_waitcnt vmcnt(0)
	v_cvt_f32_f64_e32 v1, v[22:23]
	s_branch .LBB73_2041
.LBB73_2039:
	s_mov_b64 s[6:7], -1
                                        ; implicit-def: $vgpr1
	s_branch .LBB73_2044
.LBB73_2040:
	s_mov_b64 s[6:7], -1
                                        ; implicit-def: $vgpr1
.LBB73_2041:
	s_andn2_b64 vcc, exec, s[6:7]
	s_cbranch_vccnz .LBB73_2043
; %bb.2042:
	global_load_dword v1, v[20:21], off
.LBB73_2043:
	s_mov_b64 s[6:7], 0
.LBB73_2044:
	s_andn2_b64 vcc, exec, s[6:7]
	s_cbranch_vccnz .LBB73_2046
; %bb.2045:
	global_load_ushort v1, v[20:21], off
	s_waitcnt vmcnt(0)
	v_cvt_f32_f16_e32 v1, v1
.LBB73_2046:
	s_mov_b64 s[6:7], 0
.LBB73_2047:
	s_andn2_b64 vcc, exec, s[6:7]
	s_cbranch_vccnz .LBB73_2067
; %bb.2048:
	s_waitcnt vmcnt(0)
	v_mov_b32_e32 v1, 2
	v_cmp_lt_i16_sdwa s[6:7], s27, v1 src0_sel:BYTE_0 src1_sel:DWORD
	s_and_b64 vcc, exec, s[6:7]
	s_cbranch_vccnz .LBB73_2052
; %bb.2049:
	v_mov_b32_e32 v1, 3
	v_cmp_lt_i16_sdwa s[6:7], s27, v1 src0_sel:BYTE_0 src1_sel:DWORD
	s_and_b64 vcc, exec, s[6:7]
	s_cbranch_vccnz .LBB73_2053
; %bb.2050:
	v_cmp_gt_i16_sdwa s[6:7], s27, v1 src0_sel:BYTE_0 src1_sel:DWORD
	s_and_b64 vcc, exec, s[6:7]
	s_cbranch_vccz .LBB73_2054
; %bb.2051:
	global_load_dwordx2 v[22:23], v[20:21], off
	s_mov_b64 s[6:7], 0
	s_waitcnt vmcnt(0)
	v_xor_b32_e32 v3, v22, v23
	v_ffbh_i32_e32 v1, v23
	v_ashrrev_i32_e32 v3, 31, v3
	v_add_u32_e32 v1, -1, v1
	v_add_u32_e32 v3, 32, v3
	v_min_u32_e32 v1, v1, v3
	v_lshlrev_b64 v[22:23], v1, v[22:23]
	v_min_u32_e32 v3, 1, v22
	v_or_b32_e32 v3, v23, v3
	v_cvt_f32_i32_e32 v3, v3
	v_sub_u32_e32 v1, 32, v1
	v_ldexp_f32 v1, v3, v1
	s_branch .LBB73_2055
.LBB73_2052:
	s_mov_b64 s[6:7], -1
                                        ; implicit-def: $vgpr1
	s_branch .LBB73_2061
.LBB73_2053:
	s_mov_b64 s[6:7], -1
                                        ; implicit-def: $vgpr1
	s_branch .LBB73_2058
.LBB73_2054:
	s_mov_b64 s[6:7], -1
                                        ; implicit-def: $vgpr1
.LBB73_2055:
	s_andn2_b64 vcc, exec, s[6:7]
	s_cbranch_vccnz .LBB73_2057
; %bb.2056:
	global_load_dword v1, v[20:21], off
	s_waitcnt vmcnt(0)
	v_cvt_f32_i32_e32 v1, v1
.LBB73_2057:
	s_mov_b64 s[6:7], 0
.LBB73_2058:
	s_andn2_b64 vcc, exec, s[6:7]
	s_cbranch_vccnz .LBB73_2060
; %bb.2059:
	global_load_sshort v1, v[20:21], off
	s_waitcnt vmcnt(0)
	v_cvt_f32_i32_e32 v1, v1
.LBB73_2060:
	s_mov_b64 s[6:7], 0
.LBB73_2061:
	s_andn2_b64 vcc, exec, s[6:7]
	s_cbranch_vccnz .LBB73_2067
; %bb.2062:
	v_mov_b32_e32 v1, 0
	v_cmp_gt_i16_sdwa s[6:7], s27, v1 src0_sel:BYTE_0 src1_sel:DWORD
	s_and_b64 vcc, exec, s[6:7]
	s_cbranch_vccz .LBB73_2064
; %bb.2063:
	global_load_sbyte v1, v[20:21], off
	s_mov_b64 s[6:7], 0
	s_waitcnt vmcnt(0)
	v_cvt_f32_i32_e32 v1, v1
	s_branch .LBB73_2065
.LBB73_2064:
	s_mov_b64 s[6:7], -1
                                        ; implicit-def: $vgpr1
.LBB73_2065:
	s_andn2_b64 vcc, exec, s[6:7]
	s_cbranch_vccnz .LBB73_2067
; %bb.2066:
	global_load_ubyte v1, v[20:21], off
	s_waitcnt vmcnt(0)
	v_cvt_f32_ubyte0_e32 v1, v1
.LBB73_2067:
.LBB73_2068:
	v_mov_b32_e32 v3, s1
	v_add_co_u32_e32 v14, vcc, s0, v14
	v_addc_co_u32_e32 v15, vcc, 0, v3, vcc
	s_and_b64 vcc, exec, s[2:3]
	s_cbranch_vccnz .LBB73_2075
; %bb.2069:
	v_cmp_gt_i16_e64 s[6:7], s28, 25
	s_mov_b64 s[16:17], 0
	s_and_b64 vcc, exec, s[6:7]
	s_cbranch_vccz .LBB73_2076
; %bb.2070:
	v_cmp_gt_i16_e64 s[6:7], s28, 28
	s_and_b64 vcc, exec, s[6:7]
	s_cbranch_vccz .LBB73_2077
; %bb.2071:
	v_cmp_gt_i16_e64 s[6:7], s28, 43
	;; [unrolled: 4-line block ×3, first 2 shown]
	s_and_b64 vcc, exec, s[6:7]
	s_cbranch_vccz .LBB73_2080
; %bb.2073:
	v_cmp_eq_u16_e64 s[6:7], s28, 46
	s_mov_b64 s[20:21], 0
	s_and_b64 vcc, exec, s[6:7]
	s_cbranch_vccz .LBB73_2081
; %bb.2074:
	global_load_dword v3, v[14:15], off
	s_mov_b64 s[6:7], 0
	s_mov_b64 s[18:19], -1
	s_waitcnt vmcnt(0)
	v_lshlrev_b32_e32 v3, 16, v3
	s_branch .LBB73_2082
.LBB73_2075:
	s_mov_b64 s[6:7], -1
	s_mov_b64 s[18:19], 0
                                        ; implicit-def: $vgpr3
	s_branch .LBB73_2148
.LBB73_2076:
	s_mov_b64 s[20:21], -1
	s_mov_b64 s[18:19], 0
	s_mov_b64 s[6:7], 0
                                        ; implicit-def: $vgpr3
	s_branch .LBB73_2111
.LBB73_2077:
	s_mov_b64 s[20:21], -1
	s_mov_b64 s[18:19], 0
	s_mov_b64 s[6:7], 0
                                        ; implicit-def: $vgpr3
	s_branch .LBB73_2092
.LBB73_2078:
	s_mov_b64 s[20:21], -1
	s_mov_b64 s[18:19], 0
	s_mov_b64 s[6:7], 0
                                        ; implicit-def: $vgpr3
	s_branch .LBB73_2087
.LBB73_2079:
	s_trap 2
	s_or_b64 s[4:5], s[4:5], exec
                                        ; implicit-def: $vgpr1
	s_cbranch_execz .LBB73_2018
	s_branch .LBB73_2019
.LBB73_2080:
	s_mov_b64 s[20:21], -1
	s_mov_b64 s[18:19], 0
	s_mov_b64 s[6:7], 0
                                        ; implicit-def: $vgpr3
	s_branch .LBB73_2082
.LBB73_2081:
	s_mov_b64 s[6:7], -1
                                        ; implicit-def: $vgpr3
	s_mov_b64 s[18:19], 0
.LBB73_2082:
	s_and_b64 vcc, exec, s[20:21]
	s_cbranch_vccz .LBB73_2086
; %bb.2083:
	v_cmp_eq_u16_e64 s[6:7], s28, 44
	s_and_b64 vcc, exec, s[6:7]
	s_cbranch_vccz .LBB73_2085
; %bb.2084:
	global_load_ubyte v3, v[14:15], off
	s_movk_i32 s18, 0xff
	v_mov_b32_e32 v5, 0x7f800001
	v_mov_b32_e32 v7, 0x400000
	s_mov_b64 s[6:7], 0
	s_waitcnt vmcnt(0)
	v_lshlrev_b32_e32 v9, 23, v3
	v_cmp_ne_u32_e32 vcc, s18, v3
	v_cndmask_b32_e32 v5, v5, v9, vcc
	v_cmp_ne_u32_e32 vcc, 0, v3
	v_cndmask_b32_e32 v3, v7, v5, vcc
	s_mov_b64 s[18:19], -1
	s_branch .LBB73_2086
.LBB73_2085:
	s_mov_b64 s[6:7], -1
                                        ; implicit-def: $vgpr3
.LBB73_2086:
	s_mov_b64 s[20:21], 0
.LBB73_2087:
	s_and_b64 vcc, exec, s[20:21]
	s_cbranch_vccz .LBB73_2091
; %bb.2088:
	v_cmp_eq_u16_e64 s[6:7], s28, 29
	s_and_b64 vcc, exec, s[6:7]
	s_cbranch_vccz .LBB73_2090
; %bb.2089:
	global_load_dwordx2 v[20:21], v[14:15], off
	s_mov_b64 s[6:7], 0
	s_mov_b64 s[18:19], -1
	s_mov_b64 s[20:21], 0
	s_waitcnt vmcnt(0)
	v_ffbh_u32_e32 v3, v21
	v_min_u32_e32 v3, 32, v3
	v_lshlrev_b64 v[20:21], v3, v[20:21]
	v_min_u32_e32 v5, 1, v20
	v_or_b32_e32 v5, v21, v5
	v_cvt_f32_u32_e32 v5, v5
	v_sub_u32_e32 v3, 32, v3
	v_ldexp_f32 v3, v5, v3
	s_branch .LBB73_2092
.LBB73_2090:
	s_mov_b64 s[6:7], -1
                                        ; implicit-def: $vgpr3
.LBB73_2091:
	s_mov_b64 s[20:21], 0
.LBB73_2092:
	s_and_b64 vcc, exec, s[20:21]
	s_cbranch_vccz .LBB73_2110
; %bb.2093:
	v_cmp_lt_i16_e64 s[18:19], s28, 27
	s_and_b64 vcc, exec, s[18:19]
	s_cbranch_vccnz .LBB73_2096
; %bb.2094:
	v_cmp_gt_i16_e64 s[18:19], s28, 27
	s_and_b64 vcc, exec, s[18:19]
	s_cbranch_vccz .LBB73_2097
; %bb.2095:
	global_load_dword v3, v[14:15], off
	s_mov_b64 s[18:19], 0
	s_waitcnt vmcnt(0)
	v_cvt_f32_u32_e32 v3, v3
	s_branch .LBB73_2098
.LBB73_2096:
	s_mov_b64 s[18:19], -1
                                        ; implicit-def: $vgpr3
	s_branch .LBB73_2101
.LBB73_2097:
	s_mov_b64 s[18:19], -1
                                        ; implicit-def: $vgpr3
.LBB73_2098:
	s_andn2_b64 vcc, exec, s[18:19]
	s_cbranch_vccnz .LBB73_2100
; %bb.2099:
	global_load_ushort v3, v[14:15], off
	s_waitcnt vmcnt(0)
	v_cvt_f32_u32_e32 v3, v3
.LBB73_2100:
	s_mov_b64 s[18:19], 0
.LBB73_2101:
	s_andn2_b64 vcc, exec, s[18:19]
	s_cbranch_vccnz .LBB73_2109
; %bb.2102:
	global_load_ubyte v5, v[14:15], off
	s_movk_i32 s18, 0x7f
                                        ; implicit-def: $sgpr24
	s_waitcnt vmcnt(0)
	v_cmp_lt_i16_e32 vcc, s18, v5
	s_mov_b64 s[18:19], 0
	s_and_saveexec_b64 s[20:21], vcc
	s_xor_b64 s[20:21], exec, s[20:21]
	s_cbranch_execz .LBB73_2123
; %bb.2103:
	s_movk_i32 s18, 0x80
	v_cmp_eq_u16_e32 vcc, s18, v5
	s_mov_b64 s[18:19], -1
                                        ; implicit-def: $sgpr24
	s_and_saveexec_b64 s[22:23], vcc
; %bb.2104:
	s_mov_b32 s24, 0x7f800001
	s_xor_b64 s[18:19], exec, -1
; %bb.2105:
	s_or_b64 exec, exec, s[22:23]
	s_and_b64 s[18:19], s[18:19], exec
	s_or_saveexec_b64 s[20:21], s[20:21]
	v_mov_b32_e32 v3, s24
	s_xor_b64 exec, exec, s[20:21]
	s_cbranch_execnz .LBB73_2124
.LBB73_2106:
	s_or_b64 exec, exec, s[20:21]
	s_and_saveexec_b64 s[20:21], s[18:19]
	s_cbranch_execz .LBB73_2108
.LBB73_2107:
	v_lshlrev_b32_e32 v3, 24, v5
	v_and_b32_e32 v5, 0xffff, v5
	v_and_b32_e32 v7, 7, v5
	v_ffbh_u32_e32 v11, v7
	v_min_u32_e32 v11, 32, v11
	v_subrev_u32_e32 v13, 28, v11
	v_bfe_u32 v9, v5, 3, 4
	v_lshlrev_b32_e32 v5, v13, v5
	v_sub_u32_e32 v11, 29, v11
	v_and_b32_e32 v5, 7, v5
	v_cmp_eq_u32_e32 vcc, 0, v9
	v_cndmask_b32_e32 v9, v9, v11, vcc
	v_cndmask_b32_e32 v5, v7, v5, vcc
	v_mov_b32_e32 v7, 0x3b800000
	v_lshlrev_b32_e32 v5, 20, v5
	v_and_b32_e32 v3, 0x80000000, v3
	v_lshl_add_u32 v7, v9, 23, v7
	v_or3_b32 v3, v3, v7, v5
.LBB73_2108:
	s_or_b64 exec, exec, s[20:21]
.LBB73_2109:
	s_mov_b64 s[18:19], -1
.LBB73_2110:
	s_mov_b64 s[20:21], 0
.LBB73_2111:
	s_and_b64 vcc, exec, s[20:21]
	s_cbranch_vccz .LBB73_2144
; %bb.2112:
	v_cmp_gt_i16_e64 s[16:17], s28, 22
	s_and_b64 vcc, exec, s[16:17]
	s_cbranch_vccz .LBB73_2122
; %bb.2113:
	v_cmp_lt_i16_e64 s[16:17], s28, 24
	s_and_b64 vcc, exec, s[16:17]
	s_cbranch_vccnz .LBB73_2125
; %bb.2114:
	v_cmp_gt_i16_e64 s[16:17], s28, 24
	s_and_b64 vcc, exec, s[16:17]
	s_cbranch_vccz .LBB73_2126
; %bb.2115:
	global_load_ubyte v5, v[14:15], off
	s_movk_i32 s16, 0x7f
                                        ; implicit-def: $sgpr22
	s_waitcnt vmcnt(0)
	v_cmp_lt_i16_e32 vcc, s16, v5
	s_mov_b64 s[16:17], 0
	s_and_saveexec_b64 s[18:19], vcc
	s_xor_b64 s[18:19], exec, s[18:19]
	s_cbranch_execz .LBB73_2138
; %bb.2116:
	s_movk_i32 s16, 0x80
	v_cmp_eq_u16_e32 vcc, s16, v5
	s_mov_b64 s[16:17], -1
                                        ; implicit-def: $sgpr22
	s_and_saveexec_b64 s[20:21], vcc
; %bb.2117:
	s_mov_b32 s22, 0x7f800001
	s_xor_b64 s[16:17], exec, -1
; %bb.2118:
	s_or_b64 exec, exec, s[20:21]
	s_and_b64 s[16:17], s[16:17], exec
	s_or_saveexec_b64 s[18:19], s[18:19]
	v_mov_b32_e32 v3, s22
	s_xor_b64 exec, exec, s[18:19]
	s_cbranch_execnz .LBB73_2139
.LBB73_2119:
	s_or_b64 exec, exec, s[18:19]
	s_and_saveexec_b64 s[18:19], s[16:17]
	s_cbranch_execz .LBB73_2121
.LBB73_2120:
	v_lshlrev_b32_e32 v3, 24, v5
	v_and_b32_e32 v5, 0xffff, v5
	v_and_b32_e32 v7, 3, v5
	v_ffbh_u32_e32 v11, v7
	v_min_u32_e32 v11, 32, v11
	v_subrev_u32_e32 v13, 29, v11
	v_bfe_u32 v9, v5, 2, 5
	v_lshlrev_b32_e32 v5, v13, v5
	v_sub_u32_e32 v11, 30, v11
	v_and_b32_e32 v5, 3, v5
	v_cmp_eq_u32_e32 vcc, 0, v9
	v_cndmask_b32_e32 v9, v9, v11, vcc
	v_cndmask_b32_e32 v5, v7, v5, vcc
	v_mov_b32_e32 v7, 0x37800000
	v_lshlrev_b32_e32 v5, 21, v5
	v_and_b32_e32 v3, 0x80000000, v3
	v_lshl_add_u32 v7, v9, 23, v7
	v_or3_b32 v3, v3, v7, v5
.LBB73_2121:
	s_or_b64 exec, exec, s[18:19]
	s_mov_b64 s[16:17], 0
	s_branch .LBB73_2127
.LBB73_2122:
	s_mov_b64 s[16:17], -1
                                        ; implicit-def: $vgpr3
	s_branch .LBB73_2133
.LBB73_2123:
	s_or_saveexec_b64 s[20:21], s[20:21]
	v_mov_b32_e32 v3, s24
	s_xor_b64 exec, exec, s[20:21]
	s_cbranch_execz .LBB73_2106
.LBB73_2124:
	v_cmp_ne_u16_e32 vcc, 0, v5
	s_andn2_b64 s[18:19], s[18:19], exec
	s_and_b64 s[22:23], vcc, exec
	v_mov_b32_e32 v3, 0
	s_or_b64 s[18:19], s[18:19], s[22:23]
	s_or_b64 exec, exec, s[20:21]
	s_and_saveexec_b64 s[20:21], s[18:19]
	s_cbranch_execnz .LBB73_2107
	s_branch .LBB73_2108
.LBB73_2125:
	s_mov_b64 s[16:17], -1
                                        ; implicit-def: $vgpr3
	s_branch .LBB73_2130
.LBB73_2126:
	s_mov_b64 s[16:17], -1
                                        ; implicit-def: $vgpr3
.LBB73_2127:
	s_and_b64 vcc, exec, s[16:17]
	s_cbranch_vccz .LBB73_2129
; %bb.2128:
	global_load_ubyte v3, v[14:15], off
	s_mov_b32 s16, 0x7f800000
	s_waitcnt vmcnt(0)
	v_lshlrev_b32_e32 v3, 24, v3
	v_and_b32_e32 v5, 0x7f000000, v3
	v_ffbh_u32_e32 v7, v5
	v_min_u32_e32 v7, 32, v7
	v_sub_u32_e64 v7, v7, 4 clamp
	v_lshlrev_b32_e32 v11, v7, v5
	v_lshlrev_b32_e32 v7, 23, v7
	v_lshrrev_b32_e32 v11, 4, v11
	v_add_u32_e32 v9, 0x1000000, v5
	v_sub_u32_e32 v7, v11, v7
	v_ashrrev_i32_e32 v9, 8, v9
	v_add_u32_e32 v7, 0x3c000000, v7
	v_and_or_b32 v7, v9, s16, v7
	v_cmp_ne_u32_e32 vcc, 0, v5
	v_cndmask_b32_e32 v5, 0, v7, vcc
	s_brev_b32 s16, 1
	v_and_or_b32 v3, v3, s16, v5
.LBB73_2129:
	s_mov_b64 s[16:17], 0
.LBB73_2130:
	s_andn2_b64 vcc, exec, s[16:17]
	s_cbranch_vccnz .LBB73_2132
; %bb.2131:
	global_load_ubyte v3, v[14:15], off
	s_movk_i32 s16, 0x7f00
	s_brev_b32 s17, 16
	s_waitcnt vmcnt(0)
	v_lshlrev_b16_e32 v5, 8, v3
	v_lshlrev_b32_e32 v3, 25, v3
	v_lshrrev_b32_e32 v7, 4, v3
	v_and_or_b32 v9, v5, s16, 0.5
	v_or_b32_e32 v7, 0x70000000, v7
	v_add_f32_e32 v9, -0.5, v9
	v_mul_f32_e32 v7, 0x7800000, v7
	v_cmp_gt_u32_e32 vcc, s17, v3
	v_bfe_i32 v5, v5, 0, 16
	v_cndmask_b32_e32 v3, v7, v9, vcc
	s_brev_b32 s16, 1
	v_and_or_b32 v3, v5, s16, v3
.LBB73_2132:
	s_mov_b64 s[16:17], 0
	s_mov_b64 s[18:19], -1
.LBB73_2133:
	s_andn2_b64 vcc, exec, s[16:17]
	s_mov_b64 s[16:17], 0
	s_cbranch_vccnz .LBB73_2144
; %bb.2134:
	v_cmp_gt_i16_e64 s[16:17], s28, 14
	s_and_b64 vcc, exec, s[16:17]
	s_cbranch_vccz .LBB73_2137
; %bb.2135:
	v_cmp_eq_u16_e64 s[6:7], s28, 15
	s_and_b64 vcc, exec, s[6:7]
	s_cbranch_vccz .LBB73_2140
; %bb.2136:
	global_load_ushort v3, v[14:15], off
	s_mov_b64 s[6:7], 0
	s_mov_b64 s[18:19], -1
	s_waitcnt vmcnt(0)
	v_lshlrev_b32_e32 v3, 16, v3
	s_branch .LBB73_2141
.LBB73_2137:
	s_mov_b64 s[20:21], -1
                                        ; implicit-def: $vgpr3
	s_branch .LBB73_2142
.LBB73_2138:
	s_or_saveexec_b64 s[18:19], s[18:19]
	v_mov_b32_e32 v3, s22
	s_xor_b64 exec, exec, s[18:19]
	s_cbranch_execz .LBB73_2119
.LBB73_2139:
	v_cmp_ne_u16_e32 vcc, 0, v5
	s_andn2_b64 s[16:17], s[16:17], exec
	s_and_b64 s[20:21], vcc, exec
	v_mov_b32_e32 v3, 0
	s_or_b64 s[16:17], s[16:17], s[20:21]
	s_or_b64 exec, exec, s[18:19]
	s_and_saveexec_b64 s[18:19], s[16:17]
	s_cbranch_execnz .LBB73_2120
	s_branch .LBB73_2121
.LBB73_2140:
	s_mov_b64 s[6:7], -1
                                        ; implicit-def: $vgpr3
.LBB73_2141:
	s_mov_b64 s[20:21], 0
.LBB73_2142:
	s_mov_b64 s[16:17], 0
	s_and_b64 vcc, exec, s[20:21]
	s_cbranch_vccz .LBB73_2144
; %bb.2143:
	v_cmp_ne_u16_e64 s[6:7], s28, 11
	s_mov_b64 s[16:17], -1
                                        ; implicit-def: $vgpr3
.LBB73_2144:
	s_and_b64 vcc, exec, s[6:7]
	s_cbranch_vccnz .LBB73_2221
; %bb.2145:
	s_andn2_b64 vcc, exec, s[16:17]
	s_cbranch_vccnz .LBB73_2147
.LBB73_2146:
	global_load_ubyte v3, v[14:15], off
	s_mov_b64 s[18:19], -1
	s_waitcnt vmcnt(0)
	v_cmp_ne_u16_e32 vcc, 0, v3
	v_cndmask_b32_e64 v3, 0, 1.0, vcc
.LBB73_2147:
	s_mov_b64 s[6:7], 0
.LBB73_2148:
	s_and_b64 vcc, exec, s[6:7]
	s_cbranch_vccz .LBB73_2197
; %bb.2149:
	v_cmp_lt_i16_e64 s[6:7], s28, 5
	s_and_b64 vcc, exec, s[6:7]
	s_cbranch_vccnz .LBB73_2154
; %bb.2150:
	v_cmp_lt_i16_e64 s[6:7], s28, 8
	s_and_b64 vcc, exec, s[6:7]
	s_cbranch_vccnz .LBB73_2155
	;; [unrolled: 4-line block ×3, first 2 shown]
; %bb.2152:
	v_cmp_gt_i16_e64 s[6:7], s28, 9
	s_and_b64 vcc, exec, s[6:7]
	s_cbranch_vccz .LBB73_2157
; %bb.2153:
	global_load_dwordx2 v[20:21], v[14:15], off
	s_mov_b64 s[6:7], 0
	s_waitcnt vmcnt(0)
	v_cvt_f32_f64_e32 v3, v[20:21]
	s_branch .LBB73_2158
.LBB73_2154:
	s_mov_b64 s[6:7], -1
                                        ; implicit-def: $vgpr3
	s_branch .LBB73_2176
.LBB73_2155:
	s_mov_b64 s[6:7], -1
                                        ; implicit-def: $vgpr3
	s_branch .LBB73_2164
.LBB73_2156:
	s_mov_b64 s[6:7], -1
                                        ; implicit-def: $vgpr3
	s_branch .LBB73_2161
.LBB73_2157:
	s_mov_b64 s[6:7], -1
                                        ; implicit-def: $vgpr3
.LBB73_2158:
	s_andn2_b64 vcc, exec, s[6:7]
	s_cbranch_vccnz .LBB73_2160
; %bb.2159:
	global_load_dword v3, v[14:15], off
.LBB73_2160:
	s_mov_b64 s[6:7], 0
.LBB73_2161:
	s_andn2_b64 vcc, exec, s[6:7]
	s_cbranch_vccnz .LBB73_2163
; %bb.2162:
	global_load_dword v3, v[14:15], off
	s_waitcnt vmcnt(0)
	v_cvt_f32_f16_e32 v3, v3
.LBB73_2163:
	s_mov_b64 s[6:7], 0
.LBB73_2164:
	s_andn2_b64 vcc, exec, s[6:7]
	s_cbranch_vccnz .LBB73_2175
; %bb.2165:
	v_cmp_lt_i16_e64 s[6:7], s28, 6
	s_and_b64 vcc, exec, s[6:7]
	s_cbranch_vccnz .LBB73_2168
; %bb.2166:
	v_cmp_gt_i16_e64 s[6:7], s28, 6
	s_and_b64 vcc, exec, s[6:7]
	s_cbranch_vccz .LBB73_2169
; %bb.2167:
	global_load_dwordx2 v[20:21], v[14:15], off
	s_mov_b64 s[6:7], 0
	s_waitcnt vmcnt(0)
	v_cvt_f32_f64_e32 v3, v[20:21]
	s_branch .LBB73_2170
.LBB73_2168:
	s_mov_b64 s[6:7], -1
                                        ; implicit-def: $vgpr3
	s_branch .LBB73_2173
.LBB73_2169:
	s_mov_b64 s[6:7], -1
                                        ; implicit-def: $vgpr3
.LBB73_2170:
	s_andn2_b64 vcc, exec, s[6:7]
	s_cbranch_vccnz .LBB73_2172
; %bb.2171:
	global_load_dword v3, v[14:15], off
.LBB73_2172:
	s_mov_b64 s[6:7], 0
.LBB73_2173:
	s_andn2_b64 vcc, exec, s[6:7]
	s_cbranch_vccnz .LBB73_2175
; %bb.2174:
	global_load_ushort v3, v[14:15], off
	s_waitcnt vmcnt(0)
	v_cvt_f32_f16_e32 v3, v3
.LBB73_2175:
	s_mov_b64 s[6:7], 0
.LBB73_2176:
	s_andn2_b64 vcc, exec, s[6:7]
	s_cbranch_vccnz .LBB73_2196
; %bb.2177:
	v_cmp_lt_i16_e64 s[6:7], s28, 2
	s_and_b64 vcc, exec, s[6:7]
	s_cbranch_vccnz .LBB73_2181
; %bb.2178:
	v_cmp_lt_i16_e64 s[6:7], s28, 3
	s_and_b64 vcc, exec, s[6:7]
	s_cbranch_vccnz .LBB73_2182
; %bb.2179:
	v_cmp_gt_i16_e64 s[6:7], s28, 3
	s_and_b64 vcc, exec, s[6:7]
	s_cbranch_vccz .LBB73_2183
; %bb.2180:
	global_load_dwordx2 v[20:21], v[14:15], off
	s_mov_b64 s[6:7], 0
	s_waitcnt vmcnt(0)
	v_xor_b32_e32 v5, v20, v21
	v_ffbh_i32_e32 v3, v21
	v_ashrrev_i32_e32 v5, 31, v5
	v_add_u32_e32 v3, -1, v3
	v_add_u32_e32 v5, 32, v5
	v_min_u32_e32 v3, v3, v5
	v_lshlrev_b64 v[20:21], v3, v[20:21]
	v_min_u32_e32 v5, 1, v20
	v_or_b32_e32 v5, v21, v5
	v_cvt_f32_i32_e32 v5, v5
	v_sub_u32_e32 v3, 32, v3
	v_ldexp_f32 v3, v5, v3
	s_branch .LBB73_2184
.LBB73_2181:
	s_mov_b64 s[6:7], -1
                                        ; implicit-def: $vgpr3
	s_branch .LBB73_2190
.LBB73_2182:
	s_mov_b64 s[6:7], -1
                                        ; implicit-def: $vgpr3
	s_branch .LBB73_2187
.LBB73_2183:
	s_mov_b64 s[6:7], -1
                                        ; implicit-def: $vgpr3
.LBB73_2184:
	s_andn2_b64 vcc, exec, s[6:7]
	s_cbranch_vccnz .LBB73_2186
; %bb.2185:
	global_load_dword v3, v[14:15], off
	s_waitcnt vmcnt(0)
	v_cvt_f32_i32_e32 v3, v3
.LBB73_2186:
	s_mov_b64 s[6:7], 0
.LBB73_2187:
	s_andn2_b64 vcc, exec, s[6:7]
	s_cbranch_vccnz .LBB73_2189
; %bb.2188:
	global_load_sshort v3, v[14:15], off
	s_waitcnt vmcnt(0)
	v_cvt_f32_i32_e32 v3, v3
.LBB73_2189:
	s_mov_b64 s[6:7], 0
.LBB73_2190:
	s_andn2_b64 vcc, exec, s[6:7]
	s_cbranch_vccnz .LBB73_2196
; %bb.2191:
	v_cmp_gt_i16_e64 s[6:7], s28, 0
	s_and_b64 vcc, exec, s[6:7]
	s_cbranch_vccz .LBB73_2193
; %bb.2192:
	global_load_sbyte v3, v[14:15], off
	s_mov_b64 s[6:7], 0
	s_waitcnt vmcnt(0)
	v_cvt_f32_i32_e32 v3, v3
	s_branch .LBB73_2194
.LBB73_2193:
	s_mov_b64 s[6:7], -1
                                        ; implicit-def: $vgpr3
.LBB73_2194:
	s_andn2_b64 vcc, exec, s[6:7]
	s_cbranch_vccnz .LBB73_2196
; %bb.2195:
	global_load_ubyte v3, v[14:15], off
	s_waitcnt vmcnt(0)
	v_cvt_f32_ubyte0_e32 v3, v3
.LBB73_2196:
	s_mov_b64 s[18:19], -1
.LBB73_2197:
	s_andn2_b64 vcc, exec, s[18:19]
	s_cbranch_vccnz .LBB73_2763
; %bb.2198:
	s_waitcnt vmcnt(0)
	v_trunc_f32_e32 v3, v3
	s_mov_b32 s6, 0x2f800000
	v_mul_f32_e64 v5, |v3|, s6
	v_floor_f32_e32 v5, v5
	s_mov_b32 s6, 0xcf800000
	v_cvt_u32_f32_e32 v7, v5
	v_fma_f32 v5, v5, s6, |v3|
	v_cvt_u32_f32_e32 v5, v5
	v_ashrrev_i32_e32 v3, 31, v3
	v_xor_b32_e32 v7, v7, v3
	v_mov_b32_e32 v14, 0
	v_xor_b32_e32 v5, v5, v3
	v_sub_co_u32_e32 v20, vcc, v5, v3
	v_subb_co_u32_e32 v21, vcc, v7, v3, vcc
	v_cmp_lt_i64_e32 vcc, -1, v[20:21]
	s_and_saveexec_b64 s[6:7], vcc
	s_cbranch_execz .LBB73_2210
; %bb.2199:
	v_cmp_lt_i64_e32 vcc, 0, v[20:21]
	v_mov_b32_e32 v14, 1.0
	s_and_saveexec_b64 s[16:17], vcc
	s_cbranch_execz .LBB73_2209
; %bb.2200:
	v_cmp_ne_u64_e32 vcc, 1, v[20:21]
                                        ; implicit-def: $vgpr14
	s_and_saveexec_b64 s[18:19], vcc
	s_xor_b64 s[18:19], exec, s[18:19]
	s_cbranch_execz .LBB73_2206
; %bb.2201:
	s_mov_b64 s[20:21], 0x81
	v_cmp_gt_u64_e32 vcc, s[20:21], v[20:21]
	v_mov_b32_e32 v14, 0x7fc00000
	s_and_saveexec_b64 s[20:21], vcc
	s_cbranch_execz .LBB73_2205
; %bb.2202:
	s_mov_b64 s[24:25], 1
	s_mov_b64 s[22:23], 0
	v_mov_b32_e32 v3, 1.0
	v_mov_b32_e32 v14, v1
.LBB73_2203:                            ; =>This Inner Loop Header: Depth=1
	s_flbit_i32_b32 s29, s25
	s_min_u32 s29, s29, 32
	s_lshl_b64 s[30:31], s[24:25], s29
	s_min_u32 s30, s30, 1
	s_or_b32 s30, s31, s30
	v_cvt_f32_u32_e32 v7, s30
	s_sub_i32 s29, 32, s29
	s_add_u32 s24, s24, 1
	s_addc_u32 s25, s25, 0
	v_ldexp_f32 v7, v7, s29
	v_mov_b32_e32 v5, v14
	v_cmp_eq_u64_e32 vcc, s[24:25], v[20:21]
	v_mul_f32_e32 v7, v3, v7
	s_or_b64 s[22:23], vcc, s[22:23]
	v_mov_b32_e32 v3, v14
	v_fma_f32 v14, v1, v5, -v7
	s_andn2_b64 exec, exec, s[22:23]
	s_cbranch_execnz .LBB73_2203
; %bb.2204:
	s_or_b64 exec, exec, s[22:23]
.LBB73_2205:
	s_or_b64 exec, exec, s[20:21]
                                        ; implicit-def: $vgpr1
.LBB73_2206:
	s_andn2_saveexec_b64 s[18:19], s[18:19]
; %bb.2207:
	v_mov_b32_e32 v14, v1
; %bb.2208:
	s_or_b64 exec, exec, s[18:19]
.LBB73_2209:
	s_or_b64 exec, exec, s[16:17]
.LBB73_2210:
	s_or_b64 exec, exec, s[6:7]
	v_mov_b32_e32 v1, s11
	v_add_co_u32_e32 v18, vcc, s10, v18
	v_addc_co_u32_e32 v19, vcc, 0, v1, vcc
	v_mov_b32_e32 v1, 11
	v_cmp_lt_i16_sdwa s[6:7], s27, v1 src0_sel:BYTE_0 src1_sel:DWORD
	s_and_b64 vcc, exec, s[6:7]
	s_cbranch_vccnz .LBB73_2217
; %bb.2211:
	v_mov_b32_e32 v1, 25
	v_cmp_gt_i16_sdwa s[6:7], s27, v1 src0_sel:BYTE_0 src1_sel:DWORD
	s_mov_b64 s[16:17], 0
	s_and_b64 vcc, exec, s[6:7]
	s_cbranch_vccz .LBB73_2218
; %bb.2212:
	v_mov_b32_e32 v1, 28
	v_cmp_gt_i16_sdwa s[6:7], s27, v1 src0_sel:BYTE_0 src1_sel:DWORD
	s_and_b64 vcc, exec, s[6:7]
	s_cbranch_vccz .LBB73_2219
; %bb.2213:
	v_mov_b32_e32 v1, 43
	v_cmp_gt_i16_sdwa s[6:7], s27, v1 src0_sel:BYTE_0 src1_sel:DWORD
	;; [unrolled: 5-line block ×3, first 2 shown]
	s_and_b64 vcc, exec, s[6:7]
	s_cbranch_vccz .LBB73_2222
; %bb.2215:
	v_mov_b32_e32 v1, 46
	v_cmp_eq_u16_sdwa s[6:7], s27, v1 src0_sel:BYTE_0 src1_sel:DWORD
	s_mov_b64 s[20:21], 0
	s_and_b64 vcc, exec, s[6:7]
	s_cbranch_vccz .LBB73_2223
; %bb.2216:
	global_load_dword v1, v[18:19], off
	s_mov_b64 s[6:7], 0
	s_mov_b64 s[18:19], -1
	s_waitcnt vmcnt(0)
	v_lshlrev_b32_e32 v1, 16, v1
	s_branch .LBB73_2224
.LBB73_2217:
	s_mov_b64 s[6:7], -1
	s_mov_b64 s[18:19], 0
                                        ; implicit-def: $vgpr1
	s_branch .LBB73_2290
.LBB73_2218:
	s_mov_b64 s[20:21], -1
	s_mov_b64 s[18:19], 0
	s_mov_b64 s[6:7], 0
                                        ; implicit-def: $vgpr1
	s_branch .LBB73_2253
.LBB73_2219:
	s_mov_b64 s[20:21], -1
	s_mov_b64 s[18:19], 0
	s_mov_b64 s[6:7], 0
                                        ; implicit-def: $vgpr1
	s_branch .LBB73_2234
.LBB73_2220:
	s_mov_b64 s[20:21], -1
	s_mov_b64 s[18:19], 0
	s_mov_b64 s[6:7], 0
                                        ; implicit-def: $vgpr1
	s_branch .LBB73_2229
.LBB73_2221:
	s_trap 2
	s_or_b64 s[4:5], s[4:5], exec
                                        ; implicit-def: $vgpr3
	s_cbranch_execz .LBB73_2146
	s_branch .LBB73_2147
.LBB73_2222:
	s_mov_b64 s[20:21], -1
	s_mov_b64 s[18:19], 0
	s_mov_b64 s[6:7], 0
                                        ; implicit-def: $vgpr1
	s_branch .LBB73_2224
.LBB73_2223:
	s_mov_b64 s[6:7], -1
                                        ; implicit-def: $vgpr1
	s_mov_b64 s[18:19], 0
.LBB73_2224:
	s_and_b64 vcc, exec, s[20:21]
	s_cbranch_vccz .LBB73_2228
; %bb.2225:
	v_mov_b32_e32 v1, 44
	v_cmp_eq_u16_sdwa s[6:7], s27, v1 src0_sel:BYTE_0 src1_sel:DWORD
	s_and_b64 vcc, exec, s[6:7]
	s_cbranch_vccz .LBB73_2227
; %bb.2226:
	global_load_ubyte v1, v[18:19], off
	s_movk_i32 s18, 0xff
	v_mov_b32_e32 v3, 0x7f800001
	v_mov_b32_e32 v5, 0x400000
	s_mov_b64 s[6:7], 0
	s_waitcnt vmcnt(0)
	v_lshlrev_b32_e32 v7, 23, v1
	v_cmp_ne_u32_e32 vcc, s18, v1
	v_cndmask_b32_e32 v3, v3, v7, vcc
	v_cmp_ne_u32_e32 vcc, 0, v1
	v_cndmask_b32_e32 v1, v5, v3, vcc
	s_mov_b64 s[18:19], -1
	s_branch .LBB73_2228
.LBB73_2227:
	s_mov_b64 s[6:7], -1
                                        ; implicit-def: $vgpr1
.LBB73_2228:
	s_mov_b64 s[20:21], 0
.LBB73_2229:
	s_and_b64 vcc, exec, s[20:21]
	s_cbranch_vccz .LBB73_2233
; %bb.2230:
	v_mov_b32_e32 v1, 29
	v_cmp_eq_u16_sdwa s[6:7], s27, v1 src0_sel:BYTE_0 src1_sel:DWORD
	s_and_b64 vcc, exec, s[6:7]
	s_cbranch_vccz .LBB73_2232
; %bb.2231:
	global_load_dwordx2 v[20:21], v[18:19], off
	s_mov_b64 s[6:7], 0
	s_mov_b64 s[18:19], -1
	s_mov_b64 s[20:21], 0
	s_waitcnt vmcnt(0)
	v_ffbh_u32_e32 v1, v21
	v_min_u32_e32 v1, 32, v1
	v_lshlrev_b64 v[20:21], v1, v[20:21]
	v_min_u32_e32 v3, 1, v20
	v_or_b32_e32 v3, v21, v3
	v_cvt_f32_u32_e32 v3, v3
	v_sub_u32_e32 v1, 32, v1
	v_ldexp_f32 v1, v3, v1
	s_branch .LBB73_2234
.LBB73_2232:
	s_mov_b64 s[6:7], -1
                                        ; implicit-def: $vgpr1
.LBB73_2233:
	s_mov_b64 s[20:21], 0
.LBB73_2234:
	s_and_b64 vcc, exec, s[20:21]
	s_cbranch_vccz .LBB73_2252
; %bb.2235:
	v_mov_b32_e32 v1, 27
	v_cmp_lt_i16_sdwa s[18:19], s27, v1 src0_sel:BYTE_0 src1_sel:DWORD
	s_and_b64 vcc, exec, s[18:19]
	s_cbranch_vccnz .LBB73_2238
; %bb.2236:
	v_cmp_gt_i16_sdwa s[18:19], s27, v1 src0_sel:BYTE_0 src1_sel:DWORD
	s_and_b64 vcc, exec, s[18:19]
	s_cbranch_vccz .LBB73_2239
; %bb.2237:
	global_load_dword v1, v[18:19], off
	s_mov_b64 s[18:19], 0
	s_waitcnt vmcnt(0)
	v_cvt_f32_u32_e32 v1, v1
	s_branch .LBB73_2240
.LBB73_2238:
	s_mov_b64 s[18:19], -1
                                        ; implicit-def: $vgpr1
	s_branch .LBB73_2243
.LBB73_2239:
	s_mov_b64 s[18:19], -1
                                        ; implicit-def: $vgpr1
.LBB73_2240:
	s_andn2_b64 vcc, exec, s[18:19]
	s_cbranch_vccnz .LBB73_2242
; %bb.2241:
	global_load_ushort v1, v[18:19], off
	s_waitcnt vmcnt(0)
	v_cvt_f32_u32_e32 v1, v1
.LBB73_2242:
	s_mov_b64 s[18:19], 0
.LBB73_2243:
	s_andn2_b64 vcc, exec, s[18:19]
	s_cbranch_vccnz .LBB73_2251
; %bb.2244:
	global_load_ubyte v3, v[18:19], off
	s_movk_i32 s18, 0x7f
                                        ; implicit-def: $sgpr24
	s_waitcnt vmcnt(0)
	v_cmp_lt_i16_e32 vcc, s18, v3
	s_mov_b64 s[18:19], 0
	s_and_saveexec_b64 s[20:21], vcc
	s_xor_b64 s[20:21], exec, s[20:21]
	s_cbranch_execz .LBB73_2265
; %bb.2245:
	s_movk_i32 s18, 0x80
	v_cmp_eq_u16_e32 vcc, s18, v3
	s_mov_b64 s[18:19], -1
                                        ; implicit-def: $sgpr24
	s_and_saveexec_b64 s[22:23], vcc
; %bb.2246:
	s_mov_b32 s24, 0x7f800001
	s_xor_b64 s[18:19], exec, -1
; %bb.2247:
	s_or_b64 exec, exec, s[22:23]
	s_and_b64 s[18:19], s[18:19], exec
	s_or_saveexec_b64 s[20:21], s[20:21]
	v_mov_b32_e32 v1, s24
	s_xor_b64 exec, exec, s[20:21]
	s_cbranch_execnz .LBB73_2266
.LBB73_2248:
	s_or_b64 exec, exec, s[20:21]
	s_and_saveexec_b64 s[20:21], s[18:19]
	s_cbranch_execz .LBB73_2250
.LBB73_2249:
	v_lshlrev_b32_e32 v1, 24, v3
	v_and_b32_e32 v3, 0xffff, v3
	v_and_b32_e32 v5, 7, v3
	v_ffbh_u32_e32 v9, v5
	v_min_u32_e32 v9, 32, v9
	v_subrev_u32_e32 v11, 28, v9
	v_bfe_u32 v7, v3, 3, 4
	v_lshlrev_b32_e32 v3, v11, v3
	v_sub_u32_e32 v9, 29, v9
	v_and_b32_e32 v3, 7, v3
	v_cmp_eq_u32_e32 vcc, 0, v7
	v_cndmask_b32_e32 v7, v7, v9, vcc
	v_cndmask_b32_e32 v3, v5, v3, vcc
	v_mov_b32_e32 v5, 0x3b800000
	v_lshlrev_b32_e32 v3, 20, v3
	v_and_b32_e32 v1, 0x80000000, v1
	v_lshl_add_u32 v5, v7, 23, v5
	v_or3_b32 v1, v1, v5, v3
.LBB73_2250:
	s_or_b64 exec, exec, s[20:21]
.LBB73_2251:
	s_mov_b64 s[18:19], -1
.LBB73_2252:
	s_mov_b64 s[20:21], 0
.LBB73_2253:
	s_and_b64 vcc, exec, s[20:21]
	s_cbranch_vccz .LBB73_2286
; %bb.2254:
	v_mov_b32_e32 v1, 22
	v_cmp_gt_i16_sdwa s[16:17], s27, v1 src0_sel:BYTE_0 src1_sel:DWORD
	s_and_b64 vcc, exec, s[16:17]
	s_cbranch_vccz .LBB73_2264
; %bb.2255:
	v_mov_b32_e32 v1, 24
	v_cmp_lt_i16_sdwa s[16:17], s27, v1 src0_sel:BYTE_0 src1_sel:DWORD
	s_and_b64 vcc, exec, s[16:17]
	s_cbranch_vccnz .LBB73_2267
; %bb.2256:
	v_cmp_gt_i16_sdwa s[16:17], s27, v1 src0_sel:BYTE_0 src1_sel:DWORD
	s_and_b64 vcc, exec, s[16:17]
	s_cbranch_vccz .LBB73_2268
; %bb.2257:
	global_load_ubyte v3, v[18:19], off
	s_movk_i32 s16, 0x7f
                                        ; implicit-def: $sgpr22
	s_waitcnt vmcnt(0)
	v_cmp_lt_i16_e32 vcc, s16, v3
	s_mov_b64 s[16:17], 0
	s_and_saveexec_b64 s[18:19], vcc
	s_xor_b64 s[18:19], exec, s[18:19]
	s_cbranch_execz .LBB73_2280
; %bb.2258:
	s_movk_i32 s16, 0x80
	v_cmp_eq_u16_e32 vcc, s16, v3
	s_mov_b64 s[16:17], -1
                                        ; implicit-def: $sgpr22
	s_and_saveexec_b64 s[20:21], vcc
; %bb.2259:
	s_mov_b32 s22, 0x7f800001
	s_xor_b64 s[16:17], exec, -1
; %bb.2260:
	s_or_b64 exec, exec, s[20:21]
	s_and_b64 s[16:17], s[16:17], exec
	s_or_saveexec_b64 s[18:19], s[18:19]
	v_mov_b32_e32 v1, s22
	s_xor_b64 exec, exec, s[18:19]
	s_cbranch_execnz .LBB73_2281
.LBB73_2261:
	s_or_b64 exec, exec, s[18:19]
	s_and_saveexec_b64 s[18:19], s[16:17]
	s_cbranch_execz .LBB73_2263
.LBB73_2262:
	v_lshlrev_b32_e32 v1, 24, v3
	v_and_b32_e32 v3, 0xffff, v3
	v_and_b32_e32 v5, 3, v3
	v_ffbh_u32_e32 v9, v5
	v_min_u32_e32 v9, 32, v9
	v_subrev_u32_e32 v11, 29, v9
	v_bfe_u32 v7, v3, 2, 5
	v_lshlrev_b32_e32 v3, v11, v3
	v_sub_u32_e32 v9, 30, v9
	v_and_b32_e32 v3, 3, v3
	v_cmp_eq_u32_e32 vcc, 0, v7
	v_cndmask_b32_e32 v7, v7, v9, vcc
	v_cndmask_b32_e32 v3, v5, v3, vcc
	v_mov_b32_e32 v5, 0x37800000
	v_lshlrev_b32_e32 v3, 21, v3
	v_and_b32_e32 v1, 0x80000000, v1
	v_lshl_add_u32 v5, v7, 23, v5
	v_or3_b32 v1, v1, v5, v3
.LBB73_2263:
	s_or_b64 exec, exec, s[18:19]
	s_mov_b64 s[16:17], 0
	s_branch .LBB73_2269
.LBB73_2264:
	s_mov_b64 s[16:17], -1
                                        ; implicit-def: $vgpr1
	s_branch .LBB73_2275
.LBB73_2265:
	s_or_saveexec_b64 s[20:21], s[20:21]
	v_mov_b32_e32 v1, s24
	s_xor_b64 exec, exec, s[20:21]
	s_cbranch_execz .LBB73_2248
.LBB73_2266:
	v_cmp_ne_u16_e32 vcc, 0, v3
	s_andn2_b64 s[18:19], s[18:19], exec
	s_and_b64 s[22:23], vcc, exec
	v_mov_b32_e32 v1, 0
	s_or_b64 s[18:19], s[18:19], s[22:23]
	s_or_b64 exec, exec, s[20:21]
	s_and_saveexec_b64 s[20:21], s[18:19]
	s_cbranch_execnz .LBB73_2249
	s_branch .LBB73_2250
.LBB73_2267:
	s_mov_b64 s[16:17], -1
                                        ; implicit-def: $vgpr1
	s_branch .LBB73_2272
.LBB73_2268:
	s_mov_b64 s[16:17], -1
                                        ; implicit-def: $vgpr1
.LBB73_2269:
	s_and_b64 vcc, exec, s[16:17]
	s_cbranch_vccz .LBB73_2271
; %bb.2270:
	global_load_ubyte v1, v[18:19], off
	s_mov_b32 s16, 0x7f800000
	s_waitcnt vmcnt(0)
	v_lshlrev_b32_e32 v1, 24, v1
	v_and_b32_e32 v3, 0x7f000000, v1
	v_ffbh_u32_e32 v5, v3
	v_min_u32_e32 v5, 32, v5
	v_sub_u32_e64 v5, v5, 4 clamp
	v_lshlrev_b32_e32 v9, v5, v3
	v_lshlrev_b32_e32 v5, 23, v5
	v_lshrrev_b32_e32 v9, 4, v9
	v_add_u32_e32 v7, 0x1000000, v3
	v_sub_u32_e32 v5, v9, v5
	v_ashrrev_i32_e32 v7, 8, v7
	v_add_u32_e32 v5, 0x3c000000, v5
	v_and_or_b32 v5, v7, s16, v5
	v_cmp_ne_u32_e32 vcc, 0, v3
	v_cndmask_b32_e32 v3, 0, v5, vcc
	s_brev_b32 s16, 1
	v_and_or_b32 v1, v1, s16, v3
.LBB73_2271:
	s_mov_b64 s[16:17], 0
.LBB73_2272:
	s_andn2_b64 vcc, exec, s[16:17]
	s_cbranch_vccnz .LBB73_2274
; %bb.2273:
	global_load_ubyte v1, v[18:19], off
	s_movk_i32 s16, 0x7f00
	s_brev_b32 s17, 16
	s_waitcnt vmcnt(0)
	v_lshlrev_b16_e32 v3, 8, v1
	v_lshlrev_b32_e32 v1, 25, v1
	v_lshrrev_b32_e32 v5, 4, v1
	v_and_or_b32 v7, v3, s16, 0.5
	v_or_b32_e32 v5, 0x70000000, v5
	v_add_f32_e32 v7, -0.5, v7
	v_mul_f32_e32 v5, 0x7800000, v5
	v_cmp_gt_u32_e32 vcc, s17, v1
	v_bfe_i32 v3, v3, 0, 16
	v_cndmask_b32_e32 v1, v5, v7, vcc
	s_brev_b32 s16, 1
	v_and_or_b32 v1, v3, s16, v1
.LBB73_2274:
	s_mov_b64 s[16:17], 0
	s_mov_b64 s[18:19], -1
.LBB73_2275:
	s_andn2_b64 vcc, exec, s[16:17]
	s_mov_b64 s[16:17], 0
	s_cbranch_vccnz .LBB73_2286
; %bb.2276:
	v_mov_b32_e32 v1, 14
	v_cmp_gt_i16_sdwa s[16:17], s27, v1 src0_sel:BYTE_0 src1_sel:DWORD
	s_and_b64 vcc, exec, s[16:17]
	s_cbranch_vccz .LBB73_2279
; %bb.2277:
	v_mov_b32_e32 v1, 15
	v_cmp_eq_u16_sdwa s[6:7], s27, v1 src0_sel:BYTE_0 src1_sel:DWORD
	s_and_b64 vcc, exec, s[6:7]
	s_cbranch_vccz .LBB73_2282
; %bb.2278:
	global_load_ushort v1, v[18:19], off
	s_mov_b64 s[6:7], 0
	s_mov_b64 s[18:19], -1
	s_waitcnt vmcnt(0)
	v_lshlrev_b32_e32 v1, 16, v1
	s_branch .LBB73_2283
.LBB73_2279:
	s_mov_b64 s[20:21], -1
                                        ; implicit-def: $vgpr1
	s_branch .LBB73_2284
.LBB73_2280:
	s_or_saveexec_b64 s[18:19], s[18:19]
	v_mov_b32_e32 v1, s22
	s_xor_b64 exec, exec, s[18:19]
	s_cbranch_execz .LBB73_2261
.LBB73_2281:
	v_cmp_ne_u16_e32 vcc, 0, v3
	s_andn2_b64 s[16:17], s[16:17], exec
	s_and_b64 s[20:21], vcc, exec
	v_mov_b32_e32 v1, 0
	s_or_b64 s[16:17], s[16:17], s[20:21]
	s_or_b64 exec, exec, s[18:19]
	s_and_saveexec_b64 s[18:19], s[16:17]
	s_cbranch_execnz .LBB73_2262
	s_branch .LBB73_2263
.LBB73_2282:
	s_mov_b64 s[6:7], -1
                                        ; implicit-def: $vgpr1
.LBB73_2283:
	s_mov_b64 s[20:21], 0
.LBB73_2284:
	s_mov_b64 s[16:17], 0
	s_and_b64 vcc, exec, s[20:21]
	s_cbranch_vccz .LBB73_2286
; %bb.2285:
	v_mov_b32_e32 v1, 11
	v_cmp_ne_u16_sdwa s[6:7], s27, v1 src0_sel:BYTE_0 src1_sel:DWORD
	s_mov_b64 s[16:17], -1
                                        ; implicit-def: $vgpr1
.LBB73_2286:
	s_and_b64 vcc, exec, s[6:7]
	s_cbranch_vccnz .LBB73_2351
; %bb.2287:
	s_andn2_b64 vcc, exec, s[16:17]
	s_cbranch_vccnz .LBB73_2289
.LBB73_2288:
	global_load_ubyte v1, v[18:19], off
	s_mov_b64 s[18:19], -1
	s_waitcnt vmcnt(0)
	v_cmp_ne_u16_e32 vcc, 0, v1
	v_cndmask_b32_e64 v1, 0, 1.0, vcc
.LBB73_2289:
	s_mov_b64 s[6:7], 0
.LBB73_2290:
	s_and_b64 vcc, exec, s[6:7]
	s_cbranch_vccz .LBB73_2339
; %bb.2291:
	v_mov_b32_e32 v1, 5
	v_cmp_lt_i16_sdwa s[6:7], s27, v1 src0_sel:BYTE_0 src1_sel:DWORD
	s_and_b64 vcc, exec, s[6:7]
	s_cbranch_vccnz .LBB73_2296
; %bb.2292:
	v_mov_b32_e32 v1, 8
	v_cmp_lt_i16_sdwa s[6:7], s27, v1 src0_sel:BYTE_0 src1_sel:DWORD
	s_and_b64 vcc, exec, s[6:7]
	s_cbranch_vccnz .LBB73_2297
	;; [unrolled: 5-line block ×3, first 2 shown]
; %bb.2294:
	v_cmp_gt_i16_sdwa s[6:7], s27, v1 src0_sel:BYTE_0 src1_sel:DWORD
	s_and_b64 vcc, exec, s[6:7]
	s_cbranch_vccz .LBB73_2299
; %bb.2295:
	global_load_dwordx2 v[20:21], v[18:19], off
	s_mov_b64 s[6:7], 0
	s_waitcnt vmcnt(0)
	v_cvt_f32_f64_e32 v1, v[20:21]
	s_branch .LBB73_2300
.LBB73_2296:
	s_mov_b64 s[6:7], -1
                                        ; implicit-def: $vgpr1
	s_branch .LBB73_2318
.LBB73_2297:
	s_mov_b64 s[6:7], -1
                                        ; implicit-def: $vgpr1
	s_branch .LBB73_2306
.LBB73_2298:
	s_mov_b64 s[6:7], -1
                                        ; implicit-def: $vgpr1
	s_branch .LBB73_2303
.LBB73_2299:
	s_mov_b64 s[6:7], -1
                                        ; implicit-def: $vgpr1
.LBB73_2300:
	s_andn2_b64 vcc, exec, s[6:7]
	s_cbranch_vccnz .LBB73_2302
; %bb.2301:
	global_load_dword v1, v[18:19], off
.LBB73_2302:
	s_mov_b64 s[6:7], 0
.LBB73_2303:
	s_andn2_b64 vcc, exec, s[6:7]
	s_cbranch_vccnz .LBB73_2305
; %bb.2304:
	global_load_dword v1, v[18:19], off
	s_waitcnt vmcnt(0)
	v_cvt_f32_f16_e32 v1, v1
.LBB73_2305:
	s_mov_b64 s[6:7], 0
.LBB73_2306:
	s_andn2_b64 vcc, exec, s[6:7]
	s_cbranch_vccnz .LBB73_2317
; %bb.2307:
	s_waitcnt vmcnt(0)
	v_mov_b32_e32 v1, 6
	v_cmp_lt_i16_sdwa s[6:7], s27, v1 src0_sel:BYTE_0 src1_sel:DWORD
	s_and_b64 vcc, exec, s[6:7]
	s_cbranch_vccnz .LBB73_2310
; %bb.2308:
	v_cmp_gt_i16_sdwa s[6:7], s27, v1 src0_sel:BYTE_0 src1_sel:DWORD
	s_and_b64 vcc, exec, s[6:7]
	s_cbranch_vccz .LBB73_2311
; %bb.2309:
	global_load_dwordx2 v[20:21], v[18:19], off
	s_mov_b64 s[6:7], 0
	s_waitcnt vmcnt(0)
	v_cvt_f32_f64_e32 v1, v[20:21]
	s_branch .LBB73_2312
.LBB73_2310:
	s_mov_b64 s[6:7], -1
                                        ; implicit-def: $vgpr1
	s_branch .LBB73_2315
.LBB73_2311:
	s_mov_b64 s[6:7], -1
                                        ; implicit-def: $vgpr1
.LBB73_2312:
	s_andn2_b64 vcc, exec, s[6:7]
	s_cbranch_vccnz .LBB73_2314
; %bb.2313:
	global_load_dword v1, v[18:19], off
.LBB73_2314:
	s_mov_b64 s[6:7], 0
.LBB73_2315:
	s_andn2_b64 vcc, exec, s[6:7]
	s_cbranch_vccnz .LBB73_2317
; %bb.2316:
	global_load_ushort v1, v[18:19], off
	s_waitcnt vmcnt(0)
	v_cvt_f32_f16_e32 v1, v1
.LBB73_2317:
	s_mov_b64 s[6:7], 0
.LBB73_2318:
	s_andn2_b64 vcc, exec, s[6:7]
	s_cbranch_vccnz .LBB73_2338
; %bb.2319:
	s_waitcnt vmcnt(0)
	v_mov_b32_e32 v1, 2
	v_cmp_lt_i16_sdwa s[6:7], s27, v1 src0_sel:BYTE_0 src1_sel:DWORD
	s_and_b64 vcc, exec, s[6:7]
	s_cbranch_vccnz .LBB73_2323
; %bb.2320:
	v_mov_b32_e32 v1, 3
	v_cmp_lt_i16_sdwa s[6:7], s27, v1 src0_sel:BYTE_0 src1_sel:DWORD
	s_and_b64 vcc, exec, s[6:7]
	s_cbranch_vccnz .LBB73_2324
; %bb.2321:
	v_cmp_gt_i16_sdwa s[6:7], s27, v1 src0_sel:BYTE_0 src1_sel:DWORD
	s_and_b64 vcc, exec, s[6:7]
	s_cbranch_vccz .LBB73_2325
; %bb.2322:
	global_load_dwordx2 v[20:21], v[18:19], off
	s_mov_b64 s[6:7], 0
	s_waitcnt vmcnt(0)
	v_xor_b32_e32 v3, v20, v21
	v_ffbh_i32_e32 v1, v21
	v_ashrrev_i32_e32 v3, 31, v3
	v_add_u32_e32 v1, -1, v1
	v_add_u32_e32 v3, 32, v3
	v_min_u32_e32 v1, v1, v3
	v_lshlrev_b64 v[20:21], v1, v[20:21]
	v_min_u32_e32 v3, 1, v20
	v_or_b32_e32 v3, v21, v3
	v_cvt_f32_i32_e32 v3, v3
	v_sub_u32_e32 v1, 32, v1
	v_ldexp_f32 v1, v3, v1
	s_branch .LBB73_2326
.LBB73_2323:
	s_mov_b64 s[6:7], -1
                                        ; implicit-def: $vgpr1
	s_branch .LBB73_2332
.LBB73_2324:
	s_mov_b64 s[6:7], -1
                                        ; implicit-def: $vgpr1
	s_branch .LBB73_2329
.LBB73_2325:
	s_mov_b64 s[6:7], -1
                                        ; implicit-def: $vgpr1
.LBB73_2326:
	s_andn2_b64 vcc, exec, s[6:7]
	s_cbranch_vccnz .LBB73_2328
; %bb.2327:
	global_load_dword v1, v[18:19], off
	s_waitcnt vmcnt(0)
	v_cvt_f32_i32_e32 v1, v1
.LBB73_2328:
	s_mov_b64 s[6:7], 0
.LBB73_2329:
	s_andn2_b64 vcc, exec, s[6:7]
	s_cbranch_vccnz .LBB73_2331
; %bb.2330:
	global_load_sshort v1, v[18:19], off
	s_waitcnt vmcnt(0)
	v_cvt_f32_i32_e32 v1, v1
.LBB73_2331:
	s_mov_b64 s[6:7], 0
.LBB73_2332:
	s_andn2_b64 vcc, exec, s[6:7]
	s_cbranch_vccnz .LBB73_2338
; %bb.2333:
	v_mov_b32_e32 v1, 0
	v_cmp_gt_i16_sdwa s[6:7], s27, v1 src0_sel:BYTE_0 src1_sel:DWORD
	s_and_b64 vcc, exec, s[6:7]
	s_cbranch_vccz .LBB73_2335
; %bb.2334:
	global_load_sbyte v1, v[18:19], off
	s_mov_b64 s[6:7], 0
	s_waitcnt vmcnt(0)
	v_cvt_f32_i32_e32 v1, v1
	s_branch .LBB73_2336
.LBB73_2335:
	s_mov_b64 s[6:7], -1
                                        ; implicit-def: $vgpr1
.LBB73_2336:
	s_andn2_b64 vcc, exec, s[6:7]
	s_cbranch_vccnz .LBB73_2338
; %bb.2337:
	global_load_ubyte v1, v[18:19], off
	s_waitcnt vmcnt(0)
	v_cvt_f32_ubyte0_e32 v1, v1
.LBB73_2338:
	s_mov_b64 s[18:19], -1
.LBB73_2339:
	s_andn2_b64 vcc, exec, s[18:19]
	s_cbranch_vccnz .LBB73_2763
; %bb.2340:
	v_mov_b32_e32 v3, s1
	v_add_co_u32_e32 v16, vcc, s0, v16
	v_addc_co_u32_e32 v17, vcc, 0, v3, vcc
	s_and_b64 vcc, exec, s[2:3]
	s_cbranch_vccnz .LBB73_2347
; %bb.2341:
	v_cmp_gt_i16_e64 s[6:7], s28, 25
	s_mov_b64 s[16:17], 0
	s_and_b64 vcc, exec, s[6:7]
	s_cbranch_vccz .LBB73_2348
; %bb.2342:
	v_cmp_gt_i16_e64 s[6:7], s28, 28
	s_and_b64 vcc, exec, s[6:7]
	s_cbranch_vccz .LBB73_2349
; %bb.2343:
	v_cmp_gt_i16_e64 s[6:7], s28, 43
	;; [unrolled: 4-line block ×3, first 2 shown]
	s_and_b64 vcc, exec, s[6:7]
	s_cbranch_vccz .LBB73_2352
; %bb.2345:
	v_cmp_eq_u16_e64 s[6:7], s28, 46
	s_mov_b64 s[20:21], 0
	s_and_b64 vcc, exec, s[6:7]
	s_cbranch_vccz .LBB73_2355
; %bb.2346:
	global_load_dword v3, v[16:17], off
	s_mov_b64 s[6:7], 0
	s_mov_b64 s[18:19], -1
	s_waitcnt vmcnt(0)
	v_lshlrev_b32_e32 v3, 16, v3
	s_branch .LBB73_2356
.LBB73_2347:
	s_mov_b64 s[6:7], -1
	s_mov_b64 s[18:19], 0
                                        ; implicit-def: $vgpr3
	s_branch .LBB73_2422
.LBB73_2348:
	s_mov_b64 s[20:21], -1
	s_mov_b64 s[18:19], 0
	s_mov_b64 s[6:7], 0
                                        ; implicit-def: $vgpr3
	s_branch .LBB73_2385
.LBB73_2349:
	s_mov_b64 s[20:21], -1
	s_mov_b64 s[18:19], 0
	s_mov_b64 s[6:7], 0
                                        ; implicit-def: $vgpr3
	s_branch .LBB73_2366
.LBB73_2350:
	s_mov_b64 s[20:21], -1
	s_mov_b64 s[18:19], 0
	s_mov_b64 s[6:7], 0
                                        ; implicit-def: $vgpr3
	s_branch .LBB73_2361
.LBB73_2351:
	s_trap 2
	s_or_b64 s[4:5], s[4:5], exec
                                        ; implicit-def: $vgpr1
	s_cbranch_execz .LBB73_2288
	s_branch .LBB73_2289
.LBB73_2352:
	s_mov_b64 s[20:21], -1
	s_mov_b64 s[18:19], 0
	s_mov_b64 s[6:7], 0
                                        ; implicit-def: $vgpr3
	s_branch .LBB73_2356
.LBB73_2353:
	s_or_saveexec_b64 s[62:63], s[62:63]
                                        ; implicit-def: $sgpr64
	s_xor_b64 exec, exec, s[62:63]
	s_cbranch_execz .LBB73_1152
.LBB73_2354:
	s_mov_b32 s64, 0x42800000
	v_add_f32_e64 v3, |v2|, s64
	v_and_b32_e32 v3, 0xff, v3
	v_cmp_ne_u32_e32 vcc, 0, v3
	s_andn2_b64 s[60:61], s[60:61], exec
	s_and_b64 s[66:67], vcc, exec
	s_mov_b32 s64, 0
	s_or_b64 s[60:61], s[60:61], s[66:67]
	s_or_b64 exec, exec, s[62:63]
	v_mov_b32_e32 v4, s64
	s_and_saveexec_b64 s[62:63], s[60:61]
	s_cbranch_execnz .LBB73_1153
	s_branch .LBB73_1154
.LBB73_2355:
	s_mov_b64 s[6:7], -1
                                        ; implicit-def: $vgpr3
	s_mov_b64 s[18:19], 0
.LBB73_2356:
	s_and_b64 vcc, exec, s[20:21]
	s_cbranch_vccz .LBB73_2360
; %bb.2357:
	v_cmp_eq_u16_e64 s[6:7], s28, 44
	s_and_b64 vcc, exec, s[6:7]
	s_cbranch_vccz .LBB73_2359
; %bb.2358:
	global_load_ubyte v3, v[16:17], off
	s_movk_i32 s18, 0xff
	v_mov_b32_e32 v5, 0x7f800001
	v_mov_b32_e32 v7, 0x400000
	s_mov_b64 s[6:7], 0
	s_waitcnt vmcnt(0)
	v_lshlrev_b32_e32 v9, 23, v3
	v_cmp_ne_u32_e32 vcc, s18, v3
	v_cndmask_b32_e32 v5, v5, v9, vcc
	v_cmp_ne_u32_e32 vcc, 0, v3
	v_cndmask_b32_e32 v3, v7, v5, vcc
	s_mov_b64 s[18:19], -1
	s_branch .LBB73_2360
.LBB73_2359:
	s_mov_b64 s[6:7], -1
                                        ; implicit-def: $vgpr3
.LBB73_2360:
	s_mov_b64 s[20:21], 0
.LBB73_2361:
	s_and_b64 vcc, exec, s[20:21]
	s_cbranch_vccz .LBB73_2365
; %bb.2362:
	v_cmp_eq_u16_e64 s[6:7], s28, 29
	s_and_b64 vcc, exec, s[6:7]
	s_cbranch_vccz .LBB73_2364
; %bb.2363:
	global_load_dwordx2 v[18:19], v[16:17], off
	s_mov_b64 s[6:7], 0
	s_mov_b64 s[18:19], -1
	s_mov_b64 s[20:21], 0
	s_waitcnt vmcnt(0)
	v_ffbh_u32_e32 v3, v19
	v_min_u32_e32 v3, 32, v3
	v_lshlrev_b64 v[18:19], v3, v[18:19]
	v_min_u32_e32 v5, 1, v18
	v_or_b32_e32 v5, v19, v5
	v_cvt_f32_u32_e32 v5, v5
	v_sub_u32_e32 v3, 32, v3
	v_ldexp_f32 v3, v5, v3
	s_branch .LBB73_2366
.LBB73_2364:
	s_mov_b64 s[6:7], -1
                                        ; implicit-def: $vgpr3
.LBB73_2365:
	s_mov_b64 s[20:21], 0
.LBB73_2366:
	s_and_b64 vcc, exec, s[20:21]
	s_cbranch_vccz .LBB73_2384
; %bb.2367:
	v_cmp_lt_i16_e64 s[18:19], s28, 27
	s_and_b64 vcc, exec, s[18:19]
	s_cbranch_vccnz .LBB73_2370
; %bb.2368:
	v_cmp_gt_i16_e64 s[18:19], s28, 27
	s_and_b64 vcc, exec, s[18:19]
	s_cbranch_vccz .LBB73_2371
; %bb.2369:
	global_load_dword v3, v[16:17], off
	s_mov_b64 s[18:19], 0
	s_waitcnt vmcnt(0)
	v_cvt_f32_u32_e32 v3, v3
	s_branch .LBB73_2372
.LBB73_2370:
	s_mov_b64 s[18:19], -1
                                        ; implicit-def: $vgpr3
	s_branch .LBB73_2375
.LBB73_2371:
	s_mov_b64 s[18:19], -1
                                        ; implicit-def: $vgpr3
.LBB73_2372:
	s_andn2_b64 vcc, exec, s[18:19]
	s_cbranch_vccnz .LBB73_2374
; %bb.2373:
	global_load_ushort v3, v[16:17], off
	s_waitcnt vmcnt(0)
	v_cvt_f32_u32_e32 v3, v3
.LBB73_2374:
	s_mov_b64 s[18:19], 0
.LBB73_2375:
	s_andn2_b64 vcc, exec, s[18:19]
	s_cbranch_vccnz .LBB73_2383
; %bb.2376:
	global_load_ubyte v5, v[16:17], off
	s_movk_i32 s18, 0x7f
                                        ; implicit-def: $sgpr24
	s_waitcnt vmcnt(0)
	v_cmp_lt_i16_e32 vcc, s18, v5
	s_mov_b64 s[18:19], 0
	s_and_saveexec_b64 s[20:21], vcc
	s_xor_b64 s[20:21], exec, s[20:21]
	s_cbranch_execz .LBB73_2397
; %bb.2377:
	s_movk_i32 s18, 0x80
	v_cmp_eq_u16_e32 vcc, s18, v5
	s_mov_b64 s[18:19], -1
                                        ; implicit-def: $sgpr24
	s_and_saveexec_b64 s[22:23], vcc
; %bb.2378:
	s_mov_b32 s24, 0x7f800001
	s_xor_b64 s[18:19], exec, -1
; %bb.2379:
	s_or_b64 exec, exec, s[22:23]
	s_and_b64 s[18:19], s[18:19], exec
	s_or_saveexec_b64 s[20:21], s[20:21]
	v_mov_b32_e32 v3, s24
	s_xor_b64 exec, exec, s[20:21]
	s_cbranch_execnz .LBB73_2398
.LBB73_2380:
	s_or_b64 exec, exec, s[20:21]
	s_and_saveexec_b64 s[20:21], s[18:19]
	s_cbranch_execz .LBB73_2382
.LBB73_2381:
	v_lshlrev_b32_e32 v3, 24, v5
	v_and_b32_e32 v5, 0xffff, v5
	v_and_b32_e32 v7, 7, v5
	v_ffbh_u32_e32 v11, v7
	v_min_u32_e32 v11, 32, v11
	v_subrev_u32_e32 v13, 28, v11
	v_bfe_u32 v9, v5, 3, 4
	v_lshlrev_b32_e32 v5, v13, v5
	v_sub_u32_e32 v11, 29, v11
	v_and_b32_e32 v5, 7, v5
	v_cmp_eq_u32_e32 vcc, 0, v9
	v_cndmask_b32_e32 v9, v9, v11, vcc
	v_cndmask_b32_e32 v5, v7, v5, vcc
	v_mov_b32_e32 v7, 0x3b800000
	v_lshlrev_b32_e32 v5, 20, v5
	v_and_b32_e32 v3, 0x80000000, v3
	v_lshl_add_u32 v7, v9, 23, v7
	v_or3_b32 v3, v3, v7, v5
.LBB73_2382:
	s_or_b64 exec, exec, s[20:21]
.LBB73_2383:
	s_mov_b64 s[18:19], -1
.LBB73_2384:
	s_mov_b64 s[20:21], 0
.LBB73_2385:
	s_and_b64 vcc, exec, s[20:21]
	s_cbranch_vccz .LBB73_2418
; %bb.2386:
	v_cmp_gt_i16_e64 s[16:17], s28, 22
	s_and_b64 vcc, exec, s[16:17]
	s_cbranch_vccz .LBB73_2396
; %bb.2387:
	v_cmp_lt_i16_e64 s[16:17], s28, 24
	s_and_b64 vcc, exec, s[16:17]
	s_cbranch_vccnz .LBB73_2399
; %bb.2388:
	v_cmp_gt_i16_e64 s[16:17], s28, 24
	s_and_b64 vcc, exec, s[16:17]
	s_cbranch_vccz .LBB73_2400
; %bb.2389:
	global_load_ubyte v5, v[16:17], off
	s_movk_i32 s16, 0x7f
                                        ; implicit-def: $sgpr22
	s_waitcnt vmcnt(0)
	v_cmp_lt_i16_e32 vcc, s16, v5
	s_mov_b64 s[16:17], 0
	s_and_saveexec_b64 s[18:19], vcc
	s_xor_b64 s[18:19], exec, s[18:19]
	s_cbranch_execz .LBB73_2412
; %bb.2390:
	s_movk_i32 s16, 0x80
	v_cmp_eq_u16_e32 vcc, s16, v5
	s_mov_b64 s[16:17], -1
                                        ; implicit-def: $sgpr22
	s_and_saveexec_b64 s[20:21], vcc
; %bb.2391:
	s_mov_b32 s22, 0x7f800001
	s_xor_b64 s[16:17], exec, -1
; %bb.2392:
	s_or_b64 exec, exec, s[20:21]
	s_and_b64 s[16:17], s[16:17], exec
	s_or_saveexec_b64 s[18:19], s[18:19]
	v_mov_b32_e32 v3, s22
	s_xor_b64 exec, exec, s[18:19]
	s_cbranch_execnz .LBB73_2413
.LBB73_2393:
	s_or_b64 exec, exec, s[18:19]
	s_and_saveexec_b64 s[18:19], s[16:17]
	s_cbranch_execz .LBB73_2395
.LBB73_2394:
	v_lshlrev_b32_e32 v3, 24, v5
	v_and_b32_e32 v5, 0xffff, v5
	v_and_b32_e32 v7, 3, v5
	v_ffbh_u32_e32 v11, v7
	v_min_u32_e32 v11, 32, v11
	v_subrev_u32_e32 v13, 29, v11
	v_bfe_u32 v9, v5, 2, 5
	v_lshlrev_b32_e32 v5, v13, v5
	v_sub_u32_e32 v11, 30, v11
	v_and_b32_e32 v5, 3, v5
	v_cmp_eq_u32_e32 vcc, 0, v9
	v_cndmask_b32_e32 v9, v9, v11, vcc
	v_cndmask_b32_e32 v5, v7, v5, vcc
	v_mov_b32_e32 v7, 0x37800000
	v_lshlrev_b32_e32 v5, 21, v5
	v_and_b32_e32 v3, 0x80000000, v3
	v_lshl_add_u32 v7, v9, 23, v7
	v_or3_b32 v3, v3, v7, v5
.LBB73_2395:
	s_or_b64 exec, exec, s[18:19]
	s_mov_b64 s[16:17], 0
	s_branch .LBB73_2401
.LBB73_2396:
	s_mov_b64 s[16:17], -1
                                        ; implicit-def: $vgpr3
	s_branch .LBB73_2407
.LBB73_2397:
	s_or_saveexec_b64 s[20:21], s[20:21]
	v_mov_b32_e32 v3, s24
	s_xor_b64 exec, exec, s[20:21]
	s_cbranch_execz .LBB73_2380
.LBB73_2398:
	v_cmp_ne_u16_e32 vcc, 0, v5
	s_andn2_b64 s[18:19], s[18:19], exec
	s_and_b64 s[22:23], vcc, exec
	v_mov_b32_e32 v3, 0
	s_or_b64 s[18:19], s[18:19], s[22:23]
	s_or_b64 exec, exec, s[20:21]
	s_and_saveexec_b64 s[20:21], s[18:19]
	s_cbranch_execnz .LBB73_2381
	s_branch .LBB73_2382
.LBB73_2399:
	s_mov_b64 s[16:17], -1
                                        ; implicit-def: $vgpr3
	s_branch .LBB73_2404
.LBB73_2400:
	s_mov_b64 s[16:17], -1
                                        ; implicit-def: $vgpr3
.LBB73_2401:
	s_and_b64 vcc, exec, s[16:17]
	s_cbranch_vccz .LBB73_2403
; %bb.2402:
	global_load_ubyte v3, v[16:17], off
	s_mov_b32 s16, 0x7f800000
	s_waitcnt vmcnt(0)
	v_lshlrev_b32_e32 v3, 24, v3
	v_and_b32_e32 v5, 0x7f000000, v3
	v_ffbh_u32_e32 v7, v5
	v_min_u32_e32 v7, 32, v7
	v_sub_u32_e64 v7, v7, 4 clamp
	v_lshlrev_b32_e32 v11, v7, v5
	v_lshlrev_b32_e32 v7, 23, v7
	v_lshrrev_b32_e32 v11, 4, v11
	v_add_u32_e32 v9, 0x1000000, v5
	v_sub_u32_e32 v7, v11, v7
	v_ashrrev_i32_e32 v9, 8, v9
	v_add_u32_e32 v7, 0x3c000000, v7
	v_and_or_b32 v7, v9, s16, v7
	v_cmp_ne_u32_e32 vcc, 0, v5
	v_cndmask_b32_e32 v5, 0, v7, vcc
	s_brev_b32 s16, 1
	v_and_or_b32 v3, v3, s16, v5
.LBB73_2403:
	s_mov_b64 s[16:17], 0
.LBB73_2404:
	s_andn2_b64 vcc, exec, s[16:17]
	s_cbranch_vccnz .LBB73_2406
; %bb.2405:
	global_load_ubyte v3, v[16:17], off
	s_movk_i32 s16, 0x7f00
	s_brev_b32 s17, 16
	s_waitcnt vmcnt(0)
	v_lshlrev_b16_e32 v5, 8, v3
	v_lshlrev_b32_e32 v3, 25, v3
	v_lshrrev_b32_e32 v7, 4, v3
	v_and_or_b32 v9, v5, s16, 0.5
	v_or_b32_e32 v7, 0x70000000, v7
	v_add_f32_e32 v9, -0.5, v9
	v_mul_f32_e32 v7, 0x7800000, v7
	v_cmp_gt_u32_e32 vcc, s17, v3
	v_bfe_i32 v5, v5, 0, 16
	v_cndmask_b32_e32 v3, v7, v9, vcc
	s_brev_b32 s16, 1
	v_and_or_b32 v3, v5, s16, v3
.LBB73_2406:
	s_mov_b64 s[16:17], 0
	s_mov_b64 s[18:19], -1
.LBB73_2407:
	s_andn2_b64 vcc, exec, s[16:17]
	s_mov_b64 s[16:17], 0
	s_cbranch_vccnz .LBB73_2418
; %bb.2408:
	v_cmp_gt_i16_e64 s[16:17], s28, 14
	s_and_b64 vcc, exec, s[16:17]
	s_cbranch_vccz .LBB73_2411
; %bb.2409:
	v_cmp_eq_u16_e64 s[6:7], s28, 15
	s_and_b64 vcc, exec, s[6:7]
	s_cbranch_vccz .LBB73_2414
; %bb.2410:
	global_load_ushort v3, v[16:17], off
	s_mov_b64 s[6:7], 0
	s_mov_b64 s[18:19], -1
	s_waitcnt vmcnt(0)
	v_lshlrev_b32_e32 v3, 16, v3
	s_branch .LBB73_2415
.LBB73_2411:
	s_mov_b64 s[20:21], -1
                                        ; implicit-def: $vgpr3
	s_branch .LBB73_2416
.LBB73_2412:
	s_or_saveexec_b64 s[18:19], s[18:19]
	v_mov_b32_e32 v3, s22
	s_xor_b64 exec, exec, s[18:19]
	s_cbranch_execz .LBB73_2393
.LBB73_2413:
	v_cmp_ne_u16_e32 vcc, 0, v5
	s_andn2_b64 s[16:17], s[16:17], exec
	s_and_b64 s[20:21], vcc, exec
	v_mov_b32_e32 v3, 0
	s_or_b64 s[16:17], s[16:17], s[20:21]
	s_or_b64 exec, exec, s[18:19]
	s_and_saveexec_b64 s[18:19], s[16:17]
	s_cbranch_execnz .LBB73_2394
	s_branch .LBB73_2395
.LBB73_2414:
	s_mov_b64 s[6:7], -1
                                        ; implicit-def: $vgpr3
.LBB73_2415:
	s_mov_b64 s[20:21], 0
.LBB73_2416:
	s_mov_b64 s[16:17], 0
	s_and_b64 vcc, exec, s[20:21]
	s_cbranch_vccz .LBB73_2418
; %bb.2417:
	v_cmp_ne_u16_e64 s[6:7], s28, 11
	s_mov_b64 s[16:17], -1
                                        ; implicit-def: $vgpr3
.LBB73_2418:
	s_and_b64 vcc, exec, s[6:7]
	s_cbranch_vccnz .LBB73_2495
; %bb.2419:
	s_andn2_b64 vcc, exec, s[16:17]
	s_cbranch_vccnz .LBB73_2421
.LBB73_2420:
	global_load_ubyte v3, v[16:17], off
	s_mov_b64 s[18:19], -1
	s_waitcnt vmcnt(0)
	v_cmp_ne_u16_e32 vcc, 0, v3
	v_cndmask_b32_e64 v3, 0, 1.0, vcc
.LBB73_2421:
	s_mov_b64 s[6:7], 0
.LBB73_2422:
	s_and_b64 vcc, exec, s[6:7]
	s_cbranch_vccz .LBB73_2471
; %bb.2423:
	v_cmp_lt_i16_e64 s[6:7], s28, 5
	s_and_b64 vcc, exec, s[6:7]
	s_cbranch_vccnz .LBB73_2428
; %bb.2424:
	v_cmp_lt_i16_e64 s[6:7], s28, 8
	s_and_b64 vcc, exec, s[6:7]
	s_cbranch_vccnz .LBB73_2429
	;; [unrolled: 4-line block ×3, first 2 shown]
; %bb.2426:
	v_cmp_gt_i16_e64 s[6:7], s28, 9
	s_and_b64 vcc, exec, s[6:7]
	s_cbranch_vccz .LBB73_2431
; %bb.2427:
	global_load_dwordx2 v[18:19], v[16:17], off
	s_mov_b64 s[6:7], 0
	s_waitcnt vmcnt(0)
	v_cvt_f32_f64_e32 v3, v[18:19]
	s_branch .LBB73_2432
.LBB73_2428:
	s_mov_b64 s[6:7], -1
                                        ; implicit-def: $vgpr3
	s_branch .LBB73_2450
.LBB73_2429:
	s_mov_b64 s[6:7], -1
                                        ; implicit-def: $vgpr3
	s_branch .LBB73_2438
.LBB73_2430:
	s_mov_b64 s[6:7], -1
                                        ; implicit-def: $vgpr3
	s_branch .LBB73_2435
.LBB73_2431:
	s_mov_b64 s[6:7], -1
                                        ; implicit-def: $vgpr3
.LBB73_2432:
	s_andn2_b64 vcc, exec, s[6:7]
	s_cbranch_vccnz .LBB73_2434
; %bb.2433:
	global_load_dword v3, v[16:17], off
.LBB73_2434:
	s_mov_b64 s[6:7], 0
.LBB73_2435:
	s_andn2_b64 vcc, exec, s[6:7]
	s_cbranch_vccnz .LBB73_2437
; %bb.2436:
	global_load_dword v3, v[16:17], off
	s_waitcnt vmcnt(0)
	v_cvt_f32_f16_e32 v3, v3
.LBB73_2437:
	s_mov_b64 s[6:7], 0
.LBB73_2438:
	s_andn2_b64 vcc, exec, s[6:7]
	s_cbranch_vccnz .LBB73_2449
; %bb.2439:
	v_cmp_lt_i16_e64 s[6:7], s28, 6
	s_and_b64 vcc, exec, s[6:7]
	s_cbranch_vccnz .LBB73_2442
; %bb.2440:
	v_cmp_gt_i16_e64 s[6:7], s28, 6
	s_and_b64 vcc, exec, s[6:7]
	s_cbranch_vccz .LBB73_2443
; %bb.2441:
	global_load_dwordx2 v[18:19], v[16:17], off
	s_mov_b64 s[6:7], 0
	s_waitcnt vmcnt(0)
	v_cvt_f32_f64_e32 v3, v[18:19]
	s_branch .LBB73_2444
.LBB73_2442:
	s_mov_b64 s[6:7], -1
                                        ; implicit-def: $vgpr3
	s_branch .LBB73_2447
.LBB73_2443:
	s_mov_b64 s[6:7], -1
                                        ; implicit-def: $vgpr3
.LBB73_2444:
	s_andn2_b64 vcc, exec, s[6:7]
	s_cbranch_vccnz .LBB73_2446
; %bb.2445:
	global_load_dword v3, v[16:17], off
.LBB73_2446:
	s_mov_b64 s[6:7], 0
.LBB73_2447:
	s_andn2_b64 vcc, exec, s[6:7]
	s_cbranch_vccnz .LBB73_2449
; %bb.2448:
	global_load_ushort v3, v[16:17], off
	s_waitcnt vmcnt(0)
	v_cvt_f32_f16_e32 v3, v3
.LBB73_2449:
	s_mov_b64 s[6:7], 0
.LBB73_2450:
	s_andn2_b64 vcc, exec, s[6:7]
	s_cbranch_vccnz .LBB73_2470
; %bb.2451:
	v_cmp_lt_i16_e64 s[6:7], s28, 2
	s_and_b64 vcc, exec, s[6:7]
	s_cbranch_vccnz .LBB73_2455
; %bb.2452:
	v_cmp_lt_i16_e64 s[6:7], s28, 3
	s_and_b64 vcc, exec, s[6:7]
	s_cbranch_vccnz .LBB73_2456
; %bb.2453:
	v_cmp_gt_i16_e64 s[6:7], s28, 3
	s_and_b64 vcc, exec, s[6:7]
	s_cbranch_vccz .LBB73_2457
; %bb.2454:
	global_load_dwordx2 v[18:19], v[16:17], off
	s_mov_b64 s[6:7], 0
	s_waitcnt vmcnt(0)
	v_xor_b32_e32 v5, v18, v19
	v_ffbh_i32_e32 v3, v19
	v_ashrrev_i32_e32 v5, 31, v5
	v_add_u32_e32 v3, -1, v3
	v_add_u32_e32 v5, 32, v5
	v_min_u32_e32 v3, v3, v5
	v_lshlrev_b64 v[18:19], v3, v[18:19]
	v_min_u32_e32 v5, 1, v18
	v_or_b32_e32 v5, v19, v5
	v_cvt_f32_i32_e32 v5, v5
	v_sub_u32_e32 v3, 32, v3
	v_ldexp_f32 v3, v5, v3
	s_branch .LBB73_2458
.LBB73_2455:
	s_mov_b64 s[6:7], -1
                                        ; implicit-def: $vgpr3
	s_branch .LBB73_2464
.LBB73_2456:
	s_mov_b64 s[6:7], -1
                                        ; implicit-def: $vgpr3
	s_branch .LBB73_2461
.LBB73_2457:
	s_mov_b64 s[6:7], -1
                                        ; implicit-def: $vgpr3
.LBB73_2458:
	s_andn2_b64 vcc, exec, s[6:7]
	s_cbranch_vccnz .LBB73_2460
; %bb.2459:
	global_load_dword v3, v[16:17], off
	s_waitcnt vmcnt(0)
	v_cvt_f32_i32_e32 v3, v3
.LBB73_2460:
	s_mov_b64 s[6:7], 0
.LBB73_2461:
	s_andn2_b64 vcc, exec, s[6:7]
	s_cbranch_vccnz .LBB73_2463
; %bb.2462:
	global_load_sshort v3, v[16:17], off
	s_waitcnt vmcnt(0)
	v_cvt_f32_i32_e32 v3, v3
.LBB73_2463:
	s_mov_b64 s[6:7], 0
.LBB73_2464:
	s_andn2_b64 vcc, exec, s[6:7]
	s_cbranch_vccnz .LBB73_2470
; %bb.2465:
	v_cmp_gt_i16_e64 s[6:7], s28, 0
	s_and_b64 vcc, exec, s[6:7]
	s_cbranch_vccz .LBB73_2467
; %bb.2466:
	global_load_sbyte v3, v[16:17], off
	s_mov_b64 s[6:7], 0
	s_waitcnt vmcnt(0)
	v_cvt_f32_i32_e32 v3, v3
	s_branch .LBB73_2468
.LBB73_2467:
	s_mov_b64 s[6:7], -1
                                        ; implicit-def: $vgpr3
.LBB73_2468:
	s_andn2_b64 vcc, exec, s[6:7]
	s_cbranch_vccnz .LBB73_2470
; %bb.2469:
	global_load_ubyte v3, v[16:17], off
	s_waitcnt vmcnt(0)
	v_cvt_f32_ubyte0_e32 v3, v3
.LBB73_2470:
	s_mov_b64 s[18:19], -1
.LBB73_2471:
	s_andn2_b64 vcc, exec, s[18:19]
	s_cbranch_vccnz .LBB73_2763
; %bb.2472:
	s_waitcnt vmcnt(0)
	v_trunc_f32_e32 v3, v3
	s_mov_b32 s6, 0x2f800000
	v_mul_f32_e64 v5, |v3|, s6
	v_floor_f32_e32 v5, v5
	s_mov_b32 s6, 0xcf800000
	v_cvt_u32_f32_e32 v7, v5
	v_fma_f32 v5, v5, s6, |v3|
	v_cvt_u32_f32_e32 v5, v5
	v_ashrrev_i32_e32 v3, 31, v3
	v_xor_b32_e32 v7, v7, v3
	v_mov_b32_e32 v16, 0
	v_xor_b32_e32 v5, v5, v3
	v_sub_co_u32_e32 v18, vcc, v5, v3
	v_subb_co_u32_e32 v19, vcc, v7, v3, vcc
	v_cmp_lt_i64_e32 vcc, -1, v[18:19]
	s_and_saveexec_b64 s[6:7], vcc
	s_cbranch_execz .LBB73_2484
; %bb.2473:
	v_cmp_lt_i64_e32 vcc, 0, v[18:19]
	v_mov_b32_e32 v16, 1.0
	s_and_saveexec_b64 s[16:17], vcc
	s_cbranch_execz .LBB73_2483
; %bb.2474:
	v_cmp_ne_u64_e32 vcc, 1, v[18:19]
                                        ; implicit-def: $vgpr16
	s_and_saveexec_b64 s[18:19], vcc
	s_xor_b64 s[18:19], exec, s[18:19]
	s_cbranch_execz .LBB73_2480
; %bb.2475:
	s_mov_b64 s[20:21], 0x81
	v_cmp_gt_u64_e32 vcc, s[20:21], v[18:19]
	v_mov_b32_e32 v16, 0x7fc00000
	s_and_saveexec_b64 s[20:21], vcc
	s_cbranch_execz .LBB73_2479
; %bb.2476:
	s_mov_b64 s[24:25], 1
	s_mov_b64 s[22:23], 0
	v_mov_b32_e32 v3, 1.0
	v_mov_b32_e32 v16, v1
.LBB73_2477:                            ; =>This Inner Loop Header: Depth=1
	s_flbit_i32_b32 s29, s25
	s_min_u32 s29, s29, 32
	s_lshl_b64 s[30:31], s[24:25], s29
	s_min_u32 s30, s30, 1
	s_or_b32 s30, s31, s30
	v_cvt_f32_u32_e32 v7, s30
	s_sub_i32 s29, 32, s29
	s_add_u32 s24, s24, 1
	s_addc_u32 s25, s25, 0
	v_ldexp_f32 v7, v7, s29
	v_mov_b32_e32 v5, v16
	v_cmp_eq_u64_e32 vcc, s[24:25], v[18:19]
	v_mul_f32_e32 v7, v3, v7
	s_or_b64 s[22:23], vcc, s[22:23]
	v_mov_b32_e32 v3, v16
	v_fma_f32 v16, v1, v5, -v7
	s_andn2_b64 exec, exec, s[22:23]
	s_cbranch_execnz .LBB73_2477
; %bb.2478:
	s_or_b64 exec, exec, s[22:23]
.LBB73_2479:
	s_or_b64 exec, exec, s[20:21]
                                        ; implicit-def: $vgpr1
.LBB73_2480:
	s_andn2_saveexec_b64 s[18:19], s[18:19]
; %bb.2481:
	v_mov_b32_e32 v16, v1
; %bb.2482:
	s_or_b64 exec, exec, s[18:19]
.LBB73_2483:
	s_or_b64 exec, exec, s[16:17]
.LBB73_2484:
	s_or_b64 exec, exec, s[6:7]
	v_mov_b32_e32 v1, s11
	v_add_co_u32_e32 v12, vcc, s10, v12
	v_addc_co_u32_e32 v13, vcc, 0, v1, vcc
	v_mov_b32_e32 v1, 11
	v_cmp_lt_i16_sdwa s[6:7], s27, v1 src0_sel:BYTE_0 src1_sel:DWORD
	s_and_b64 vcc, exec, s[6:7]
	s_cbranch_vccnz .LBB73_2491
; %bb.2485:
	v_mov_b32_e32 v1, 25
	v_cmp_gt_i16_sdwa s[6:7], s27, v1 src0_sel:BYTE_0 src1_sel:DWORD
	s_mov_b64 s[10:11], 0
	s_and_b64 vcc, exec, s[6:7]
	s_cbranch_vccz .LBB73_2492
; %bb.2486:
	v_mov_b32_e32 v1, 28
	v_cmp_gt_i16_sdwa s[6:7], s27, v1 src0_sel:BYTE_0 src1_sel:DWORD
	s_and_b64 vcc, exec, s[6:7]
	s_cbranch_vccz .LBB73_2493
; %bb.2487:
	v_mov_b32_e32 v1, 43
	v_cmp_gt_i16_sdwa s[6:7], s27, v1 src0_sel:BYTE_0 src1_sel:DWORD
	;; [unrolled: 5-line block ×3, first 2 shown]
	s_and_b64 vcc, exec, s[6:7]
	s_cbranch_vccz .LBB73_2496
; %bb.2489:
	v_mov_b32_e32 v1, 46
	v_cmp_eq_u16_sdwa s[6:7], s27, v1 src0_sel:BYTE_0 src1_sel:DWORD
	s_mov_b64 s[18:19], 0
	s_and_b64 vcc, exec, s[6:7]
	s_cbranch_vccz .LBB73_2497
; %bb.2490:
	global_load_dword v1, v[12:13], off
	s_mov_b64 s[6:7], 0
	s_mov_b64 s[16:17], -1
	s_waitcnt vmcnt(0)
	v_lshlrev_b32_e32 v1, 16, v1
	s_branch .LBB73_2498
.LBB73_2491:
	s_mov_b64 s[6:7], -1
	s_mov_b64 s[16:17], 0
                                        ; implicit-def: $vgpr1
	s_branch .LBB73_2564
.LBB73_2492:
	s_mov_b64 s[18:19], -1
	s_mov_b64 s[16:17], 0
	s_mov_b64 s[6:7], 0
                                        ; implicit-def: $vgpr1
	s_branch .LBB73_2527
.LBB73_2493:
	s_mov_b64 s[18:19], -1
	s_mov_b64 s[16:17], 0
	s_mov_b64 s[6:7], 0
                                        ; implicit-def: $vgpr1
	s_branch .LBB73_2508
.LBB73_2494:
	s_mov_b64 s[18:19], -1
	s_mov_b64 s[16:17], 0
	s_mov_b64 s[6:7], 0
                                        ; implicit-def: $vgpr1
	s_branch .LBB73_2503
.LBB73_2495:
	s_trap 2
	s_or_b64 s[4:5], s[4:5], exec
                                        ; implicit-def: $vgpr3
	s_cbranch_execz .LBB73_2420
	s_branch .LBB73_2421
.LBB73_2496:
	s_mov_b64 s[18:19], -1
	s_mov_b64 s[16:17], 0
	s_mov_b64 s[6:7], 0
                                        ; implicit-def: $vgpr1
	s_branch .LBB73_2498
.LBB73_2497:
	s_mov_b64 s[6:7], -1
                                        ; implicit-def: $vgpr1
	s_mov_b64 s[16:17], 0
.LBB73_2498:
	s_and_b64 vcc, exec, s[18:19]
	s_cbranch_vccz .LBB73_2502
; %bb.2499:
	v_mov_b32_e32 v1, 44
	v_cmp_eq_u16_sdwa s[6:7], s27, v1 src0_sel:BYTE_0 src1_sel:DWORD
	s_and_b64 vcc, exec, s[6:7]
	s_cbranch_vccz .LBB73_2501
; %bb.2500:
	global_load_ubyte v1, v[12:13], off
	s_movk_i32 s16, 0xff
	v_mov_b32_e32 v3, 0x7f800001
	v_mov_b32_e32 v5, 0x400000
	s_mov_b64 s[6:7], 0
	s_waitcnt vmcnt(0)
	v_lshlrev_b32_e32 v7, 23, v1
	v_cmp_ne_u32_e32 vcc, s16, v1
	v_cndmask_b32_e32 v3, v3, v7, vcc
	v_cmp_ne_u32_e32 vcc, 0, v1
	v_cndmask_b32_e32 v1, v5, v3, vcc
	s_mov_b64 s[16:17], -1
	s_branch .LBB73_2502
.LBB73_2501:
	s_mov_b64 s[6:7], -1
                                        ; implicit-def: $vgpr1
.LBB73_2502:
	s_mov_b64 s[18:19], 0
.LBB73_2503:
	s_and_b64 vcc, exec, s[18:19]
	s_cbranch_vccz .LBB73_2507
; %bb.2504:
	v_mov_b32_e32 v1, 29
	v_cmp_eq_u16_sdwa s[6:7], s27, v1 src0_sel:BYTE_0 src1_sel:DWORD
	s_and_b64 vcc, exec, s[6:7]
	s_cbranch_vccz .LBB73_2506
; %bb.2505:
	global_load_dwordx2 v[18:19], v[12:13], off
	s_mov_b64 s[6:7], 0
	s_mov_b64 s[16:17], -1
	s_mov_b64 s[18:19], 0
	s_waitcnt vmcnt(0)
	v_ffbh_u32_e32 v1, v19
	v_min_u32_e32 v1, 32, v1
	v_lshlrev_b64 v[18:19], v1, v[18:19]
	v_min_u32_e32 v3, 1, v18
	v_or_b32_e32 v3, v19, v3
	v_cvt_f32_u32_e32 v3, v3
	v_sub_u32_e32 v1, 32, v1
	v_ldexp_f32 v1, v3, v1
	s_branch .LBB73_2508
.LBB73_2506:
	s_mov_b64 s[6:7], -1
                                        ; implicit-def: $vgpr1
.LBB73_2507:
	s_mov_b64 s[18:19], 0
.LBB73_2508:
	s_and_b64 vcc, exec, s[18:19]
	s_cbranch_vccz .LBB73_2526
; %bb.2509:
	v_mov_b32_e32 v1, 27
	v_cmp_lt_i16_sdwa s[16:17], s27, v1 src0_sel:BYTE_0 src1_sel:DWORD
	s_and_b64 vcc, exec, s[16:17]
	s_cbranch_vccnz .LBB73_2512
; %bb.2510:
	v_cmp_gt_i16_sdwa s[16:17], s27, v1 src0_sel:BYTE_0 src1_sel:DWORD
	s_and_b64 vcc, exec, s[16:17]
	s_cbranch_vccz .LBB73_2513
; %bb.2511:
	global_load_dword v1, v[12:13], off
	s_mov_b64 s[16:17], 0
	s_waitcnt vmcnt(0)
	v_cvt_f32_u32_e32 v1, v1
	s_branch .LBB73_2514
.LBB73_2512:
	s_mov_b64 s[16:17], -1
                                        ; implicit-def: $vgpr1
	s_branch .LBB73_2517
.LBB73_2513:
	s_mov_b64 s[16:17], -1
                                        ; implicit-def: $vgpr1
.LBB73_2514:
	s_andn2_b64 vcc, exec, s[16:17]
	s_cbranch_vccnz .LBB73_2516
; %bb.2515:
	global_load_ushort v1, v[12:13], off
	s_waitcnt vmcnt(0)
	v_cvt_f32_u32_e32 v1, v1
.LBB73_2516:
	s_mov_b64 s[16:17], 0
.LBB73_2517:
	s_andn2_b64 vcc, exec, s[16:17]
	s_cbranch_vccnz .LBB73_2525
; %bb.2518:
	global_load_ubyte v3, v[12:13], off
	s_movk_i32 s16, 0x7f
                                        ; implicit-def: $sgpr22
	s_waitcnt vmcnt(0)
	v_cmp_lt_i16_e32 vcc, s16, v3
	s_mov_b64 s[16:17], 0
	s_and_saveexec_b64 s[18:19], vcc
	s_xor_b64 s[18:19], exec, s[18:19]
	s_cbranch_execz .LBB73_2539
; %bb.2519:
	s_movk_i32 s16, 0x80
	v_cmp_eq_u16_e32 vcc, s16, v3
	s_mov_b64 s[16:17], -1
                                        ; implicit-def: $sgpr22
	s_and_saveexec_b64 s[20:21], vcc
; %bb.2520:
	s_mov_b32 s22, 0x7f800001
	s_xor_b64 s[16:17], exec, -1
; %bb.2521:
	s_or_b64 exec, exec, s[20:21]
	s_and_b64 s[16:17], s[16:17], exec
	s_or_saveexec_b64 s[18:19], s[18:19]
	v_mov_b32_e32 v1, s22
	s_xor_b64 exec, exec, s[18:19]
	s_cbranch_execnz .LBB73_2540
.LBB73_2522:
	s_or_b64 exec, exec, s[18:19]
	s_and_saveexec_b64 s[18:19], s[16:17]
	s_cbranch_execz .LBB73_2524
.LBB73_2523:
	v_lshlrev_b32_e32 v1, 24, v3
	v_and_b32_e32 v3, 0xffff, v3
	v_and_b32_e32 v5, 7, v3
	v_ffbh_u32_e32 v9, v5
	v_min_u32_e32 v9, 32, v9
	v_subrev_u32_e32 v11, 28, v9
	v_bfe_u32 v7, v3, 3, 4
	v_lshlrev_b32_e32 v3, v11, v3
	v_sub_u32_e32 v9, 29, v9
	v_and_b32_e32 v3, 7, v3
	v_cmp_eq_u32_e32 vcc, 0, v7
	v_cndmask_b32_e32 v7, v7, v9, vcc
	v_cndmask_b32_e32 v3, v5, v3, vcc
	v_mov_b32_e32 v5, 0x3b800000
	v_lshlrev_b32_e32 v3, 20, v3
	v_and_b32_e32 v1, 0x80000000, v1
	v_lshl_add_u32 v5, v7, 23, v5
	v_or3_b32 v1, v1, v5, v3
.LBB73_2524:
	s_or_b64 exec, exec, s[18:19]
.LBB73_2525:
	s_mov_b64 s[16:17], -1
.LBB73_2526:
	s_mov_b64 s[18:19], 0
.LBB73_2527:
	s_and_b64 vcc, exec, s[18:19]
	s_cbranch_vccz .LBB73_2560
; %bb.2528:
	v_mov_b32_e32 v1, 22
	v_cmp_gt_i16_sdwa s[10:11], s27, v1 src0_sel:BYTE_0 src1_sel:DWORD
	s_and_b64 vcc, exec, s[10:11]
	s_cbranch_vccz .LBB73_2538
; %bb.2529:
	v_mov_b32_e32 v1, 24
	v_cmp_lt_i16_sdwa s[10:11], s27, v1 src0_sel:BYTE_0 src1_sel:DWORD
	s_and_b64 vcc, exec, s[10:11]
	s_cbranch_vccnz .LBB73_2541
; %bb.2530:
	v_cmp_gt_i16_sdwa s[10:11], s27, v1 src0_sel:BYTE_0 src1_sel:DWORD
	s_and_b64 vcc, exec, s[10:11]
	s_cbranch_vccz .LBB73_2542
; %bb.2531:
	global_load_ubyte v3, v[12:13], off
	s_movk_i32 s10, 0x7f
                                        ; implicit-def: $sgpr20
	s_waitcnt vmcnt(0)
	v_cmp_lt_i16_e32 vcc, s10, v3
	s_mov_b64 s[10:11], 0
	s_and_saveexec_b64 s[16:17], vcc
	s_xor_b64 s[16:17], exec, s[16:17]
	s_cbranch_execz .LBB73_2554
; %bb.2532:
	s_movk_i32 s10, 0x80
	v_cmp_eq_u16_e32 vcc, s10, v3
	s_mov_b64 s[10:11], -1
                                        ; implicit-def: $sgpr20
	s_and_saveexec_b64 s[18:19], vcc
; %bb.2533:
	s_mov_b32 s20, 0x7f800001
	s_xor_b64 s[10:11], exec, -1
; %bb.2534:
	s_or_b64 exec, exec, s[18:19]
	s_and_b64 s[10:11], s[10:11], exec
	s_or_saveexec_b64 s[16:17], s[16:17]
	v_mov_b32_e32 v1, s20
	s_xor_b64 exec, exec, s[16:17]
	s_cbranch_execnz .LBB73_2555
.LBB73_2535:
	s_or_b64 exec, exec, s[16:17]
	s_and_saveexec_b64 s[16:17], s[10:11]
	s_cbranch_execz .LBB73_2537
.LBB73_2536:
	v_lshlrev_b32_e32 v1, 24, v3
	v_and_b32_e32 v3, 0xffff, v3
	v_and_b32_e32 v5, 3, v3
	v_ffbh_u32_e32 v9, v5
	v_min_u32_e32 v9, 32, v9
	v_subrev_u32_e32 v11, 29, v9
	v_bfe_u32 v7, v3, 2, 5
	v_lshlrev_b32_e32 v3, v11, v3
	v_sub_u32_e32 v9, 30, v9
	v_and_b32_e32 v3, 3, v3
	v_cmp_eq_u32_e32 vcc, 0, v7
	v_cndmask_b32_e32 v7, v7, v9, vcc
	v_cndmask_b32_e32 v3, v5, v3, vcc
	v_mov_b32_e32 v5, 0x37800000
	v_lshlrev_b32_e32 v3, 21, v3
	v_and_b32_e32 v1, 0x80000000, v1
	v_lshl_add_u32 v5, v7, 23, v5
	v_or3_b32 v1, v1, v5, v3
.LBB73_2537:
	s_or_b64 exec, exec, s[16:17]
	s_mov_b64 s[10:11], 0
	s_branch .LBB73_2543
.LBB73_2538:
	s_mov_b64 s[10:11], -1
                                        ; implicit-def: $vgpr1
	s_branch .LBB73_2549
.LBB73_2539:
	s_or_saveexec_b64 s[18:19], s[18:19]
	v_mov_b32_e32 v1, s22
	s_xor_b64 exec, exec, s[18:19]
	s_cbranch_execz .LBB73_2522
.LBB73_2540:
	v_cmp_ne_u16_e32 vcc, 0, v3
	s_andn2_b64 s[16:17], s[16:17], exec
	s_and_b64 s[20:21], vcc, exec
	v_mov_b32_e32 v1, 0
	s_or_b64 s[16:17], s[16:17], s[20:21]
	s_or_b64 exec, exec, s[18:19]
	s_and_saveexec_b64 s[18:19], s[16:17]
	s_cbranch_execnz .LBB73_2523
	s_branch .LBB73_2524
.LBB73_2541:
	s_mov_b64 s[10:11], -1
                                        ; implicit-def: $vgpr1
	s_branch .LBB73_2546
.LBB73_2542:
	s_mov_b64 s[10:11], -1
                                        ; implicit-def: $vgpr1
.LBB73_2543:
	s_and_b64 vcc, exec, s[10:11]
	s_cbranch_vccz .LBB73_2545
; %bb.2544:
	global_load_ubyte v1, v[12:13], off
	s_mov_b32 s10, 0x7f800000
	s_waitcnt vmcnt(0)
	v_lshlrev_b32_e32 v1, 24, v1
	v_and_b32_e32 v3, 0x7f000000, v1
	v_ffbh_u32_e32 v5, v3
	v_min_u32_e32 v5, 32, v5
	v_sub_u32_e64 v5, v5, 4 clamp
	v_lshlrev_b32_e32 v9, v5, v3
	v_lshlrev_b32_e32 v5, 23, v5
	v_lshrrev_b32_e32 v9, 4, v9
	v_add_u32_e32 v7, 0x1000000, v3
	v_sub_u32_e32 v5, v9, v5
	v_ashrrev_i32_e32 v7, 8, v7
	v_add_u32_e32 v5, 0x3c000000, v5
	v_and_or_b32 v5, v7, s10, v5
	v_cmp_ne_u32_e32 vcc, 0, v3
	v_cndmask_b32_e32 v3, 0, v5, vcc
	s_brev_b32 s10, 1
	v_and_or_b32 v1, v1, s10, v3
.LBB73_2545:
	s_mov_b64 s[10:11], 0
.LBB73_2546:
	s_andn2_b64 vcc, exec, s[10:11]
	s_cbranch_vccnz .LBB73_2548
; %bb.2547:
	global_load_ubyte v1, v[12:13], off
	s_movk_i32 s10, 0x7f00
	s_brev_b32 s11, 16
	s_waitcnt vmcnt(0)
	v_lshlrev_b16_e32 v3, 8, v1
	v_lshlrev_b32_e32 v1, 25, v1
	v_lshrrev_b32_e32 v5, 4, v1
	v_and_or_b32 v7, v3, s10, 0.5
	v_or_b32_e32 v5, 0x70000000, v5
	v_add_f32_e32 v7, -0.5, v7
	v_mul_f32_e32 v5, 0x7800000, v5
	v_cmp_gt_u32_e32 vcc, s11, v1
	v_bfe_i32 v3, v3, 0, 16
	v_cndmask_b32_e32 v1, v5, v7, vcc
	s_brev_b32 s10, 1
	v_and_or_b32 v1, v3, s10, v1
.LBB73_2548:
	s_mov_b64 s[10:11], 0
	s_mov_b64 s[16:17], -1
.LBB73_2549:
	s_andn2_b64 vcc, exec, s[10:11]
	s_mov_b64 s[10:11], 0
	s_cbranch_vccnz .LBB73_2560
; %bb.2550:
	v_mov_b32_e32 v1, 14
	v_cmp_gt_i16_sdwa s[10:11], s27, v1 src0_sel:BYTE_0 src1_sel:DWORD
	s_and_b64 vcc, exec, s[10:11]
	s_cbranch_vccz .LBB73_2553
; %bb.2551:
	v_mov_b32_e32 v1, 15
	v_cmp_eq_u16_sdwa s[6:7], s27, v1 src0_sel:BYTE_0 src1_sel:DWORD
	s_and_b64 vcc, exec, s[6:7]
	s_cbranch_vccz .LBB73_2556
; %bb.2552:
	global_load_ushort v1, v[12:13], off
	s_mov_b64 s[6:7], 0
	s_mov_b64 s[16:17], -1
	s_waitcnt vmcnt(0)
	v_lshlrev_b32_e32 v1, 16, v1
	s_branch .LBB73_2557
.LBB73_2553:
	s_mov_b64 s[18:19], -1
                                        ; implicit-def: $vgpr1
	s_branch .LBB73_2558
.LBB73_2554:
	s_or_saveexec_b64 s[16:17], s[16:17]
	v_mov_b32_e32 v1, s20
	s_xor_b64 exec, exec, s[16:17]
	s_cbranch_execz .LBB73_2535
.LBB73_2555:
	v_cmp_ne_u16_e32 vcc, 0, v3
	s_andn2_b64 s[10:11], s[10:11], exec
	s_and_b64 s[18:19], vcc, exec
	v_mov_b32_e32 v1, 0
	s_or_b64 s[10:11], s[10:11], s[18:19]
	s_or_b64 exec, exec, s[16:17]
	s_and_saveexec_b64 s[16:17], s[10:11]
	s_cbranch_execnz .LBB73_2536
	s_branch .LBB73_2537
.LBB73_2556:
	s_mov_b64 s[6:7], -1
                                        ; implicit-def: $vgpr1
.LBB73_2557:
	s_mov_b64 s[18:19], 0
.LBB73_2558:
	s_mov_b64 s[10:11], 0
	s_and_b64 vcc, exec, s[18:19]
	s_cbranch_vccz .LBB73_2560
; %bb.2559:
	v_mov_b32_e32 v1, 11
	v_cmp_ne_u16_sdwa s[6:7], s27, v1 src0_sel:BYTE_0 src1_sel:DWORD
	s_mov_b64 s[10:11], -1
                                        ; implicit-def: $vgpr1
.LBB73_2560:
	s_and_b64 vcc, exec, s[6:7]
	s_cbranch_vccnz .LBB73_2625
; %bb.2561:
	s_andn2_b64 vcc, exec, s[10:11]
	s_cbranch_vccnz .LBB73_2563
.LBB73_2562:
	global_load_ubyte v1, v[12:13], off
	s_mov_b64 s[16:17], -1
	s_waitcnt vmcnt(0)
	v_cmp_ne_u16_e32 vcc, 0, v1
	v_cndmask_b32_e64 v1, 0, 1.0, vcc
.LBB73_2563:
	s_mov_b64 s[6:7], 0
.LBB73_2564:
	s_and_b64 vcc, exec, s[6:7]
	s_cbranch_vccz .LBB73_2613
; %bb.2565:
	v_mov_b32_e32 v1, 5
	v_cmp_lt_i16_sdwa s[6:7], s27, v1 src0_sel:BYTE_0 src1_sel:DWORD
	s_and_b64 vcc, exec, s[6:7]
	s_cbranch_vccnz .LBB73_2570
; %bb.2566:
	v_mov_b32_e32 v1, 8
	v_cmp_lt_i16_sdwa s[6:7], s27, v1 src0_sel:BYTE_0 src1_sel:DWORD
	s_and_b64 vcc, exec, s[6:7]
	s_cbranch_vccnz .LBB73_2571
	;; [unrolled: 5-line block ×3, first 2 shown]
; %bb.2568:
	v_cmp_gt_i16_sdwa s[6:7], s27, v1 src0_sel:BYTE_0 src1_sel:DWORD
	s_and_b64 vcc, exec, s[6:7]
	s_cbranch_vccz .LBB73_2573
; %bb.2569:
	global_load_dwordx2 v[18:19], v[12:13], off
	s_mov_b64 s[6:7], 0
	s_waitcnt vmcnt(0)
	v_cvt_f32_f64_e32 v1, v[18:19]
	s_branch .LBB73_2574
.LBB73_2570:
	s_mov_b64 s[6:7], -1
                                        ; implicit-def: $vgpr1
	s_branch .LBB73_2592
.LBB73_2571:
	s_mov_b64 s[6:7], -1
                                        ; implicit-def: $vgpr1
	s_branch .LBB73_2580
.LBB73_2572:
	s_mov_b64 s[6:7], -1
                                        ; implicit-def: $vgpr1
	s_branch .LBB73_2577
.LBB73_2573:
	s_mov_b64 s[6:7], -1
                                        ; implicit-def: $vgpr1
.LBB73_2574:
	s_andn2_b64 vcc, exec, s[6:7]
	s_cbranch_vccnz .LBB73_2576
; %bb.2575:
	global_load_dword v1, v[12:13], off
.LBB73_2576:
	s_mov_b64 s[6:7], 0
.LBB73_2577:
	s_andn2_b64 vcc, exec, s[6:7]
	s_cbranch_vccnz .LBB73_2579
; %bb.2578:
	global_load_dword v1, v[12:13], off
	s_waitcnt vmcnt(0)
	v_cvt_f32_f16_e32 v1, v1
.LBB73_2579:
	s_mov_b64 s[6:7], 0
.LBB73_2580:
	s_andn2_b64 vcc, exec, s[6:7]
	s_cbranch_vccnz .LBB73_2591
; %bb.2581:
	s_waitcnt vmcnt(0)
	v_mov_b32_e32 v1, 6
	v_cmp_lt_i16_sdwa s[6:7], s27, v1 src0_sel:BYTE_0 src1_sel:DWORD
	s_and_b64 vcc, exec, s[6:7]
	s_cbranch_vccnz .LBB73_2584
; %bb.2582:
	v_cmp_gt_i16_sdwa s[6:7], s27, v1 src0_sel:BYTE_0 src1_sel:DWORD
	s_and_b64 vcc, exec, s[6:7]
	s_cbranch_vccz .LBB73_2585
; %bb.2583:
	global_load_dwordx2 v[18:19], v[12:13], off
	s_mov_b64 s[6:7], 0
	s_waitcnt vmcnt(0)
	v_cvt_f32_f64_e32 v1, v[18:19]
	s_branch .LBB73_2586
.LBB73_2584:
	s_mov_b64 s[6:7], -1
                                        ; implicit-def: $vgpr1
	s_branch .LBB73_2589
.LBB73_2585:
	s_mov_b64 s[6:7], -1
                                        ; implicit-def: $vgpr1
.LBB73_2586:
	s_andn2_b64 vcc, exec, s[6:7]
	s_cbranch_vccnz .LBB73_2588
; %bb.2587:
	global_load_dword v1, v[12:13], off
.LBB73_2588:
	s_mov_b64 s[6:7], 0
.LBB73_2589:
	s_andn2_b64 vcc, exec, s[6:7]
	s_cbranch_vccnz .LBB73_2591
; %bb.2590:
	global_load_ushort v1, v[12:13], off
	s_waitcnt vmcnt(0)
	v_cvt_f32_f16_e32 v1, v1
.LBB73_2591:
	s_mov_b64 s[6:7], 0
.LBB73_2592:
	s_andn2_b64 vcc, exec, s[6:7]
	s_cbranch_vccnz .LBB73_2612
; %bb.2593:
	s_waitcnt vmcnt(0)
	v_mov_b32_e32 v1, 2
	v_cmp_lt_i16_sdwa s[6:7], s27, v1 src0_sel:BYTE_0 src1_sel:DWORD
	s_and_b64 vcc, exec, s[6:7]
	s_cbranch_vccnz .LBB73_2597
; %bb.2594:
	v_mov_b32_e32 v1, 3
	v_cmp_lt_i16_sdwa s[6:7], s27, v1 src0_sel:BYTE_0 src1_sel:DWORD
	s_and_b64 vcc, exec, s[6:7]
	s_cbranch_vccnz .LBB73_2598
; %bb.2595:
	v_cmp_gt_i16_sdwa s[6:7], s27, v1 src0_sel:BYTE_0 src1_sel:DWORD
	s_and_b64 vcc, exec, s[6:7]
	s_cbranch_vccz .LBB73_2599
; %bb.2596:
	global_load_dwordx2 v[18:19], v[12:13], off
	s_mov_b64 s[6:7], 0
	s_waitcnt vmcnt(0)
	v_xor_b32_e32 v3, v18, v19
	v_ffbh_i32_e32 v1, v19
	v_ashrrev_i32_e32 v3, 31, v3
	v_add_u32_e32 v1, -1, v1
	v_add_u32_e32 v3, 32, v3
	v_min_u32_e32 v1, v1, v3
	v_lshlrev_b64 v[18:19], v1, v[18:19]
	v_min_u32_e32 v3, 1, v18
	v_or_b32_e32 v3, v19, v3
	v_cvt_f32_i32_e32 v3, v3
	v_sub_u32_e32 v1, 32, v1
	v_ldexp_f32 v1, v3, v1
	s_branch .LBB73_2600
.LBB73_2597:
	s_mov_b64 s[6:7], -1
                                        ; implicit-def: $vgpr1
	s_branch .LBB73_2606
.LBB73_2598:
	s_mov_b64 s[6:7], -1
                                        ; implicit-def: $vgpr1
	s_branch .LBB73_2603
.LBB73_2599:
	s_mov_b64 s[6:7], -1
                                        ; implicit-def: $vgpr1
.LBB73_2600:
	s_andn2_b64 vcc, exec, s[6:7]
	s_cbranch_vccnz .LBB73_2602
; %bb.2601:
	global_load_dword v1, v[12:13], off
	s_waitcnt vmcnt(0)
	v_cvt_f32_i32_e32 v1, v1
.LBB73_2602:
	s_mov_b64 s[6:7], 0
.LBB73_2603:
	s_andn2_b64 vcc, exec, s[6:7]
	s_cbranch_vccnz .LBB73_2605
; %bb.2604:
	global_load_sshort v1, v[12:13], off
	s_waitcnt vmcnt(0)
	v_cvt_f32_i32_e32 v1, v1
.LBB73_2605:
	s_mov_b64 s[6:7], 0
.LBB73_2606:
	s_andn2_b64 vcc, exec, s[6:7]
	s_cbranch_vccnz .LBB73_2612
; %bb.2607:
	v_mov_b32_e32 v1, 0
	v_cmp_gt_i16_sdwa s[6:7], s27, v1 src0_sel:BYTE_0 src1_sel:DWORD
	s_and_b64 vcc, exec, s[6:7]
	s_cbranch_vccz .LBB73_2609
; %bb.2608:
	global_load_sbyte v1, v[12:13], off
	s_mov_b64 s[6:7], 0
	s_waitcnt vmcnt(0)
	v_cvt_f32_i32_e32 v1, v1
	s_branch .LBB73_2610
.LBB73_2609:
	s_mov_b64 s[6:7], -1
                                        ; implicit-def: $vgpr1
.LBB73_2610:
	s_andn2_b64 vcc, exec, s[6:7]
	s_cbranch_vccnz .LBB73_2612
; %bb.2611:
	global_load_ubyte v1, v[12:13], off
	s_waitcnt vmcnt(0)
	v_cvt_f32_ubyte0_e32 v1, v1
.LBB73_2612:
	s_mov_b64 s[16:17], -1
.LBB73_2613:
	s_andn2_b64 vcc, exec, s[16:17]
	s_cbranch_vccnz .LBB73_2763
; %bb.2614:
	v_mov_b32_e32 v3, s1
	v_add_co_u32_e32 v8, vcc, s0, v8
	v_addc_co_u32_e32 v9, vcc, 0, v3, vcc
	s_and_b64 vcc, exec, s[2:3]
	s_cbranch_vccnz .LBB73_2621
; %bb.2615:
	v_cmp_gt_i16_e64 s[0:1], s28, 25
	s_mov_b64 s[2:3], 0
	s_and_b64 vcc, exec, s[0:1]
	s_cbranch_vccz .LBB73_2622
; %bb.2616:
	v_cmp_gt_i16_e64 s[0:1], s28, 28
	s_and_b64 vcc, exec, s[0:1]
	s_cbranch_vccz .LBB73_2623
; %bb.2617:
	v_cmp_gt_i16_e64 s[0:1], s28, 43
	;; [unrolled: 4-line block ×3, first 2 shown]
	s_and_b64 vcc, exec, s[0:1]
	s_cbranch_vccz .LBB73_2626
; %bb.2619:
	v_cmp_eq_u16_e64 s[0:1], s28, 46
	s_mov_b64 s[10:11], 0
	s_and_b64 vcc, exec, s[0:1]
	s_cbranch_vccz .LBB73_2627
; %bb.2620:
	global_load_dword v3, v[8:9], off
	s_mov_b64 s[0:1], 0
	s_mov_b64 s[6:7], -1
	s_waitcnt vmcnt(0)
	v_lshlrev_b32_e32 v3, 16, v3
	s_branch .LBB73_2628
.LBB73_2621:
	s_mov_b64 s[0:1], -1
	s_mov_b64 s[6:7], 0
                                        ; implicit-def: $vgpr3
	s_branch .LBB73_2694
.LBB73_2622:
	s_mov_b64 s[10:11], -1
	s_mov_b64 s[6:7], 0
	s_mov_b64 s[0:1], 0
                                        ; implicit-def: $vgpr3
	s_branch .LBB73_2657
.LBB73_2623:
	s_mov_b64 s[10:11], -1
	s_mov_b64 s[6:7], 0
	s_mov_b64 s[0:1], 0
                                        ; implicit-def: $vgpr3
	s_branch .LBB73_2638
.LBB73_2624:
	s_mov_b64 s[10:11], -1
	s_mov_b64 s[6:7], 0
	s_mov_b64 s[0:1], 0
                                        ; implicit-def: $vgpr3
	s_branch .LBB73_2633
.LBB73_2625:
	s_trap 2
	s_or_b64 s[4:5], s[4:5], exec
                                        ; implicit-def: $vgpr1
	s_cbranch_execz .LBB73_2562
	s_branch .LBB73_2563
.LBB73_2626:
	s_mov_b64 s[10:11], -1
	s_mov_b64 s[6:7], 0
	s_mov_b64 s[0:1], 0
                                        ; implicit-def: $vgpr3
	s_branch .LBB73_2628
.LBB73_2627:
	s_mov_b64 s[0:1], -1
                                        ; implicit-def: $vgpr3
	s_mov_b64 s[6:7], 0
.LBB73_2628:
	s_and_b64 vcc, exec, s[10:11]
	s_cbranch_vccz .LBB73_2632
; %bb.2629:
	v_cmp_eq_u16_e64 s[0:1], s28, 44
	s_and_b64 vcc, exec, s[0:1]
	s_cbranch_vccz .LBB73_2631
; %bb.2630:
	global_load_ubyte v3, v[8:9], off
	s_movk_i32 s6, 0xff
	v_mov_b32_e32 v5, 0x7f800001
	v_mov_b32_e32 v7, 0x400000
	s_mov_b64 s[0:1], 0
	s_waitcnt vmcnt(0)
	v_lshlrev_b32_e32 v11, 23, v3
	v_cmp_ne_u32_e32 vcc, s6, v3
	v_cndmask_b32_e32 v5, v5, v11, vcc
	v_cmp_ne_u32_e32 vcc, 0, v3
	v_cndmask_b32_e32 v3, v7, v5, vcc
	s_mov_b64 s[6:7], -1
	s_branch .LBB73_2632
.LBB73_2631:
	s_mov_b64 s[0:1], -1
                                        ; implicit-def: $vgpr3
.LBB73_2632:
	s_mov_b64 s[10:11], 0
.LBB73_2633:
	s_and_b64 vcc, exec, s[10:11]
	s_cbranch_vccz .LBB73_2637
; %bb.2634:
	v_cmp_eq_u16_e64 s[0:1], s28, 29
	s_and_b64 vcc, exec, s[0:1]
	s_cbranch_vccz .LBB73_2636
; %bb.2635:
	global_load_dwordx2 v[12:13], v[8:9], off
	s_mov_b64 s[0:1], 0
	s_mov_b64 s[6:7], -1
	s_mov_b64 s[10:11], 0
	s_waitcnt vmcnt(0)
	v_ffbh_u32_e32 v3, v13
	v_min_u32_e32 v3, 32, v3
	v_lshlrev_b64 v[12:13], v3, v[12:13]
	v_min_u32_e32 v5, 1, v12
	v_or_b32_e32 v5, v13, v5
	v_cvt_f32_u32_e32 v5, v5
	v_sub_u32_e32 v3, 32, v3
	v_ldexp_f32 v3, v5, v3
	s_branch .LBB73_2638
.LBB73_2636:
	s_mov_b64 s[0:1], -1
                                        ; implicit-def: $vgpr3
.LBB73_2637:
	s_mov_b64 s[10:11], 0
.LBB73_2638:
	s_and_b64 vcc, exec, s[10:11]
	s_cbranch_vccz .LBB73_2656
; %bb.2639:
	v_cmp_lt_i16_e64 s[6:7], s28, 27
	s_and_b64 vcc, exec, s[6:7]
	s_cbranch_vccnz .LBB73_2642
; %bb.2640:
	v_cmp_gt_i16_e64 s[6:7], s28, 27
	s_and_b64 vcc, exec, s[6:7]
	s_cbranch_vccz .LBB73_2643
; %bb.2641:
	global_load_dword v3, v[8:9], off
	s_mov_b64 s[6:7], 0
	s_waitcnt vmcnt(0)
	v_cvt_f32_u32_e32 v3, v3
	s_branch .LBB73_2644
.LBB73_2642:
	s_mov_b64 s[6:7], -1
                                        ; implicit-def: $vgpr3
	s_branch .LBB73_2647
.LBB73_2643:
	s_mov_b64 s[6:7], -1
                                        ; implicit-def: $vgpr3
.LBB73_2644:
	s_andn2_b64 vcc, exec, s[6:7]
	s_cbranch_vccnz .LBB73_2646
; %bb.2645:
	global_load_ushort v3, v[8:9], off
	s_waitcnt vmcnt(0)
	v_cvt_f32_u32_e32 v3, v3
.LBB73_2646:
	s_mov_b64 s[6:7], 0
.LBB73_2647:
	s_andn2_b64 vcc, exec, s[6:7]
	s_cbranch_vccnz .LBB73_2655
; %bb.2648:
	global_load_ubyte v5, v[8:9], off
	s_movk_i32 s6, 0x7f
                                        ; implicit-def: $sgpr18
	s_waitcnt vmcnt(0)
	v_cmp_lt_i16_e32 vcc, s6, v5
	s_mov_b64 s[6:7], 0
	s_and_saveexec_b64 s[10:11], vcc
	s_xor_b64 s[10:11], exec, s[10:11]
	s_cbranch_execz .LBB73_2669
; %bb.2649:
	s_movk_i32 s6, 0x80
	v_cmp_eq_u16_e32 vcc, s6, v5
	s_mov_b64 s[6:7], -1
                                        ; implicit-def: $sgpr18
	s_and_saveexec_b64 s[16:17], vcc
; %bb.2650:
	s_mov_b32 s18, 0x7f800001
	s_xor_b64 s[6:7], exec, -1
; %bb.2651:
	s_or_b64 exec, exec, s[16:17]
	s_and_b64 s[6:7], s[6:7], exec
	s_or_saveexec_b64 s[10:11], s[10:11]
	v_mov_b32_e32 v3, s18
	s_xor_b64 exec, exec, s[10:11]
	s_cbranch_execnz .LBB73_2670
.LBB73_2652:
	s_or_b64 exec, exec, s[10:11]
	s_and_saveexec_b64 s[10:11], s[6:7]
	s_cbranch_execz .LBB73_2654
.LBB73_2653:
	v_lshlrev_b32_e32 v3, 24, v5
	v_and_b32_e32 v5, 0xffff, v5
	v_and_b32_e32 v7, 7, v5
	v_ffbh_u32_e32 v12, v7
	v_min_u32_e32 v12, 32, v12
	v_subrev_u32_e32 v13, 28, v12
	v_bfe_u32 v11, v5, 3, 4
	v_lshlrev_b32_e32 v5, v13, v5
	v_sub_u32_e32 v12, 29, v12
	v_and_b32_e32 v5, 7, v5
	v_cmp_eq_u32_e32 vcc, 0, v11
	v_cndmask_b32_e32 v11, v11, v12, vcc
	v_cndmask_b32_e32 v5, v7, v5, vcc
	v_mov_b32_e32 v7, 0x3b800000
	v_lshlrev_b32_e32 v5, 20, v5
	v_and_b32_e32 v3, 0x80000000, v3
	v_lshl_add_u32 v7, v11, 23, v7
	v_or3_b32 v3, v3, v7, v5
.LBB73_2654:
	s_or_b64 exec, exec, s[10:11]
.LBB73_2655:
	s_mov_b64 s[6:7], -1
.LBB73_2656:
	s_mov_b64 s[10:11], 0
.LBB73_2657:
	s_and_b64 vcc, exec, s[10:11]
	s_cbranch_vccz .LBB73_2690
; %bb.2658:
	v_cmp_gt_i16_e64 s[2:3], s28, 22
	s_and_b64 vcc, exec, s[2:3]
	s_cbranch_vccz .LBB73_2668
; %bb.2659:
	v_cmp_lt_i16_e64 s[2:3], s28, 24
	s_and_b64 vcc, exec, s[2:3]
	s_cbranch_vccnz .LBB73_2671
; %bb.2660:
	v_cmp_gt_i16_e64 s[2:3], s28, 24
	s_and_b64 vcc, exec, s[2:3]
	s_cbranch_vccz .LBB73_2672
; %bb.2661:
	global_load_ubyte v5, v[8:9], off
	s_movk_i32 s2, 0x7f
                                        ; implicit-def: $sgpr16
	s_waitcnt vmcnt(0)
	v_cmp_lt_i16_e32 vcc, s2, v5
	s_mov_b64 s[2:3], 0
	s_and_saveexec_b64 s[6:7], vcc
	s_xor_b64 s[6:7], exec, s[6:7]
	s_cbranch_execz .LBB73_2684
; %bb.2662:
	s_movk_i32 s2, 0x80
	v_cmp_eq_u16_e32 vcc, s2, v5
	s_mov_b64 s[2:3], -1
                                        ; implicit-def: $sgpr16
	s_and_saveexec_b64 s[10:11], vcc
; %bb.2663:
	s_mov_b32 s16, 0x7f800001
	s_xor_b64 s[2:3], exec, -1
; %bb.2664:
	s_or_b64 exec, exec, s[10:11]
	s_and_b64 s[2:3], s[2:3], exec
	s_or_saveexec_b64 s[6:7], s[6:7]
	v_mov_b32_e32 v3, s16
	s_xor_b64 exec, exec, s[6:7]
	s_cbranch_execnz .LBB73_2685
.LBB73_2665:
	s_or_b64 exec, exec, s[6:7]
	s_and_saveexec_b64 s[6:7], s[2:3]
	s_cbranch_execz .LBB73_2667
.LBB73_2666:
	v_lshlrev_b32_e32 v3, 24, v5
	v_and_b32_e32 v5, 0xffff, v5
	v_and_b32_e32 v7, 3, v5
	v_ffbh_u32_e32 v12, v7
	v_min_u32_e32 v12, 32, v12
	v_subrev_u32_e32 v13, 29, v12
	v_bfe_u32 v11, v5, 2, 5
	v_lshlrev_b32_e32 v5, v13, v5
	v_sub_u32_e32 v12, 30, v12
	v_and_b32_e32 v5, 3, v5
	v_cmp_eq_u32_e32 vcc, 0, v11
	v_cndmask_b32_e32 v11, v11, v12, vcc
	v_cndmask_b32_e32 v5, v7, v5, vcc
	v_mov_b32_e32 v7, 0x37800000
	v_lshlrev_b32_e32 v5, 21, v5
	v_and_b32_e32 v3, 0x80000000, v3
	v_lshl_add_u32 v7, v11, 23, v7
	v_or3_b32 v3, v3, v7, v5
.LBB73_2667:
	s_or_b64 exec, exec, s[6:7]
	s_mov_b64 s[2:3], 0
	s_branch .LBB73_2673
.LBB73_2668:
	s_mov_b64 s[2:3], -1
                                        ; implicit-def: $vgpr3
	s_branch .LBB73_2679
.LBB73_2669:
	s_or_saveexec_b64 s[10:11], s[10:11]
	v_mov_b32_e32 v3, s18
	s_xor_b64 exec, exec, s[10:11]
	s_cbranch_execz .LBB73_2652
.LBB73_2670:
	v_cmp_ne_u16_e32 vcc, 0, v5
	s_andn2_b64 s[6:7], s[6:7], exec
	s_and_b64 s[16:17], vcc, exec
	v_mov_b32_e32 v3, 0
	s_or_b64 s[6:7], s[6:7], s[16:17]
	s_or_b64 exec, exec, s[10:11]
	s_and_saveexec_b64 s[10:11], s[6:7]
	s_cbranch_execnz .LBB73_2653
	s_branch .LBB73_2654
.LBB73_2671:
	s_mov_b64 s[2:3], -1
                                        ; implicit-def: $vgpr3
	s_branch .LBB73_2676
.LBB73_2672:
	s_mov_b64 s[2:3], -1
                                        ; implicit-def: $vgpr3
.LBB73_2673:
	s_and_b64 vcc, exec, s[2:3]
	s_cbranch_vccz .LBB73_2675
; %bb.2674:
	global_load_ubyte v3, v[8:9], off
	s_mov_b32 s2, 0x7f800000
	s_waitcnt vmcnt(0)
	v_lshlrev_b32_e32 v3, 24, v3
	v_and_b32_e32 v5, 0x7f000000, v3
	v_ffbh_u32_e32 v7, v5
	v_min_u32_e32 v7, 32, v7
	v_sub_u32_e64 v7, v7, 4 clamp
	v_lshlrev_b32_e32 v12, v7, v5
	v_lshlrev_b32_e32 v7, 23, v7
	v_lshrrev_b32_e32 v12, 4, v12
	v_add_u32_e32 v11, 0x1000000, v5
	v_sub_u32_e32 v7, v12, v7
	v_ashrrev_i32_e32 v11, 8, v11
	v_add_u32_e32 v7, 0x3c000000, v7
	v_and_or_b32 v7, v11, s2, v7
	v_cmp_ne_u32_e32 vcc, 0, v5
	v_cndmask_b32_e32 v5, 0, v7, vcc
	s_brev_b32 s2, 1
	v_and_or_b32 v3, v3, s2, v5
.LBB73_2675:
	s_mov_b64 s[2:3], 0
.LBB73_2676:
	s_andn2_b64 vcc, exec, s[2:3]
	s_cbranch_vccnz .LBB73_2678
; %bb.2677:
	global_load_ubyte v3, v[8:9], off
	s_movk_i32 s2, 0x7f00
	s_brev_b32 s3, 16
	s_waitcnt vmcnt(0)
	v_lshlrev_b16_e32 v5, 8, v3
	v_lshlrev_b32_e32 v3, 25, v3
	v_lshrrev_b32_e32 v7, 4, v3
	v_and_or_b32 v11, v5, s2, 0.5
	v_or_b32_e32 v7, 0x70000000, v7
	v_add_f32_e32 v11, -0.5, v11
	v_mul_f32_e32 v7, 0x7800000, v7
	v_cmp_gt_u32_e32 vcc, s3, v3
	v_bfe_i32 v5, v5, 0, 16
	v_cndmask_b32_e32 v3, v7, v11, vcc
	s_brev_b32 s2, 1
	v_and_or_b32 v3, v5, s2, v3
.LBB73_2678:
	s_mov_b64 s[2:3], 0
	s_mov_b64 s[6:7], -1
.LBB73_2679:
	s_andn2_b64 vcc, exec, s[2:3]
	s_mov_b64 s[2:3], 0
	s_cbranch_vccnz .LBB73_2690
; %bb.2680:
	v_cmp_gt_i16_e64 s[2:3], s28, 14
	s_and_b64 vcc, exec, s[2:3]
	s_cbranch_vccz .LBB73_2683
; %bb.2681:
	v_cmp_eq_u16_e64 s[0:1], s28, 15
	s_and_b64 vcc, exec, s[0:1]
	s_cbranch_vccz .LBB73_2686
; %bb.2682:
	global_load_ushort v3, v[8:9], off
	s_mov_b64 s[0:1], 0
	s_mov_b64 s[6:7], -1
	s_waitcnt vmcnt(0)
	v_lshlrev_b32_e32 v3, 16, v3
	s_branch .LBB73_2687
.LBB73_2683:
	s_mov_b64 s[10:11], -1
                                        ; implicit-def: $vgpr3
	s_branch .LBB73_2688
.LBB73_2684:
	s_or_saveexec_b64 s[6:7], s[6:7]
	v_mov_b32_e32 v3, s16
	s_xor_b64 exec, exec, s[6:7]
	s_cbranch_execz .LBB73_2665
.LBB73_2685:
	v_cmp_ne_u16_e32 vcc, 0, v5
	s_andn2_b64 s[2:3], s[2:3], exec
	s_and_b64 s[10:11], vcc, exec
	v_mov_b32_e32 v3, 0
	s_or_b64 s[2:3], s[2:3], s[10:11]
	s_or_b64 exec, exec, s[6:7]
	s_and_saveexec_b64 s[6:7], s[2:3]
	s_cbranch_execnz .LBB73_2666
	s_branch .LBB73_2667
.LBB73_2686:
	s_mov_b64 s[0:1], -1
                                        ; implicit-def: $vgpr3
.LBB73_2687:
	s_mov_b64 s[10:11], 0
.LBB73_2688:
	s_mov_b64 s[2:3], 0
	s_and_b64 vcc, exec, s[10:11]
	s_cbranch_vccz .LBB73_2690
; %bb.2689:
	v_cmp_ne_u16_e64 s[0:1], s28, 11
	s_mov_b64 s[2:3], -1
                                        ; implicit-def: $vgpr3
.LBB73_2690:
	s_and_b64 vcc, exec, s[0:1]
	s_cbranch_vccnz .LBB73_2812
; %bb.2691:
	s_andn2_b64 vcc, exec, s[2:3]
	s_cbranch_vccnz .LBB73_2693
.LBB73_2692:
	global_load_ubyte v3, v[8:9], off
	s_mov_b64 s[6:7], -1
	s_waitcnt vmcnt(0)
	v_cmp_ne_u16_e32 vcc, 0, v3
	v_cndmask_b32_e64 v3, 0, 1.0, vcc
.LBB73_2693:
	s_mov_b64 s[0:1], 0
.LBB73_2694:
	s_and_b64 vcc, exec, s[0:1]
	s_cbranch_vccz .LBB73_2743
; %bb.2695:
	v_cmp_lt_i16_e64 s[0:1], s28, 5
	s_and_b64 vcc, exec, s[0:1]
	s_cbranch_vccnz .LBB73_2700
; %bb.2696:
	v_cmp_lt_i16_e64 s[0:1], s28, 8
	s_and_b64 vcc, exec, s[0:1]
	s_cbranch_vccnz .LBB73_2701
	;; [unrolled: 4-line block ×3, first 2 shown]
; %bb.2698:
	v_cmp_gt_i16_e64 s[0:1], s28, 9
	s_and_b64 vcc, exec, s[0:1]
	s_cbranch_vccz .LBB73_2703
; %bb.2699:
	global_load_dwordx2 v[12:13], v[8:9], off
	s_mov_b64 s[0:1], 0
	s_waitcnt vmcnt(0)
	v_cvt_f32_f64_e32 v3, v[12:13]
	s_branch .LBB73_2704
.LBB73_2700:
	s_mov_b64 s[0:1], -1
                                        ; implicit-def: $vgpr3
	s_branch .LBB73_2722
.LBB73_2701:
	s_mov_b64 s[0:1], -1
                                        ; implicit-def: $vgpr3
	s_branch .LBB73_2710
.LBB73_2702:
	s_mov_b64 s[0:1], -1
                                        ; implicit-def: $vgpr3
	s_branch .LBB73_2707
.LBB73_2703:
	s_mov_b64 s[0:1], -1
                                        ; implicit-def: $vgpr3
.LBB73_2704:
	s_andn2_b64 vcc, exec, s[0:1]
	s_cbranch_vccnz .LBB73_2706
; %bb.2705:
	global_load_dword v3, v[8:9], off
.LBB73_2706:
	s_mov_b64 s[0:1], 0
.LBB73_2707:
	s_andn2_b64 vcc, exec, s[0:1]
	s_cbranch_vccnz .LBB73_2709
; %bb.2708:
	global_load_dword v3, v[8:9], off
	s_waitcnt vmcnt(0)
	v_cvt_f32_f16_e32 v3, v3
.LBB73_2709:
	s_mov_b64 s[0:1], 0
.LBB73_2710:
	s_andn2_b64 vcc, exec, s[0:1]
	s_cbranch_vccnz .LBB73_2721
; %bb.2711:
	v_cmp_lt_i16_e64 s[0:1], s28, 6
	s_and_b64 vcc, exec, s[0:1]
	s_cbranch_vccnz .LBB73_2714
; %bb.2712:
	v_cmp_gt_i16_e64 s[0:1], s28, 6
	s_and_b64 vcc, exec, s[0:1]
	s_cbranch_vccz .LBB73_2715
; %bb.2713:
	global_load_dwordx2 v[12:13], v[8:9], off
	s_mov_b64 s[0:1], 0
	s_waitcnt vmcnt(0)
	v_cvt_f32_f64_e32 v3, v[12:13]
	s_branch .LBB73_2716
.LBB73_2714:
	s_mov_b64 s[0:1], -1
                                        ; implicit-def: $vgpr3
	s_branch .LBB73_2719
.LBB73_2715:
	s_mov_b64 s[0:1], -1
                                        ; implicit-def: $vgpr3
.LBB73_2716:
	s_andn2_b64 vcc, exec, s[0:1]
	s_cbranch_vccnz .LBB73_2718
; %bb.2717:
	global_load_dword v3, v[8:9], off
.LBB73_2718:
	s_mov_b64 s[0:1], 0
.LBB73_2719:
	s_andn2_b64 vcc, exec, s[0:1]
	s_cbranch_vccnz .LBB73_2721
; %bb.2720:
	global_load_ushort v3, v[8:9], off
	s_waitcnt vmcnt(0)
	v_cvt_f32_f16_e32 v3, v3
.LBB73_2721:
	s_mov_b64 s[0:1], 0
.LBB73_2722:
	s_andn2_b64 vcc, exec, s[0:1]
	s_cbranch_vccnz .LBB73_2742
; %bb.2723:
	v_cmp_lt_i16_e64 s[0:1], s28, 2
	s_and_b64 vcc, exec, s[0:1]
	s_cbranch_vccnz .LBB73_2727
; %bb.2724:
	v_cmp_lt_i16_e64 s[0:1], s28, 3
	s_and_b64 vcc, exec, s[0:1]
	s_cbranch_vccnz .LBB73_2728
; %bb.2725:
	v_cmp_gt_i16_e64 s[0:1], s28, 3
	s_and_b64 vcc, exec, s[0:1]
	s_cbranch_vccz .LBB73_2729
; %bb.2726:
	global_load_dwordx2 v[12:13], v[8:9], off
	s_mov_b64 s[0:1], 0
	s_waitcnt vmcnt(0)
	v_xor_b32_e32 v5, v12, v13
	v_ffbh_i32_e32 v3, v13
	v_ashrrev_i32_e32 v5, 31, v5
	v_add_u32_e32 v3, -1, v3
	v_add_u32_e32 v5, 32, v5
	v_min_u32_e32 v3, v3, v5
	v_lshlrev_b64 v[12:13], v3, v[12:13]
	v_min_u32_e32 v5, 1, v12
	v_or_b32_e32 v5, v13, v5
	v_cvt_f32_i32_e32 v5, v5
	v_sub_u32_e32 v3, 32, v3
	v_ldexp_f32 v3, v5, v3
	s_branch .LBB73_2730
.LBB73_2727:
	s_mov_b64 s[0:1], -1
                                        ; implicit-def: $vgpr3
	s_branch .LBB73_2736
.LBB73_2728:
	s_mov_b64 s[0:1], -1
                                        ; implicit-def: $vgpr3
	s_branch .LBB73_2733
.LBB73_2729:
	s_mov_b64 s[0:1], -1
                                        ; implicit-def: $vgpr3
.LBB73_2730:
	s_andn2_b64 vcc, exec, s[0:1]
	s_cbranch_vccnz .LBB73_2732
; %bb.2731:
	global_load_dword v3, v[8:9], off
	s_waitcnt vmcnt(0)
	v_cvt_f32_i32_e32 v3, v3
.LBB73_2732:
	s_mov_b64 s[0:1], 0
.LBB73_2733:
	s_andn2_b64 vcc, exec, s[0:1]
	s_cbranch_vccnz .LBB73_2735
; %bb.2734:
	global_load_sshort v3, v[8:9], off
	s_waitcnt vmcnt(0)
	v_cvt_f32_i32_e32 v3, v3
.LBB73_2735:
	s_mov_b64 s[0:1], 0
.LBB73_2736:
	s_andn2_b64 vcc, exec, s[0:1]
	s_cbranch_vccnz .LBB73_2742
; %bb.2737:
	v_cmp_gt_i16_e64 s[0:1], s28, 0
	s_and_b64 vcc, exec, s[0:1]
	s_cbranch_vccz .LBB73_2739
; %bb.2738:
	global_load_sbyte v3, v[8:9], off
	s_mov_b64 s[0:1], 0
	s_waitcnt vmcnt(0)
	v_cvt_f32_i32_e32 v3, v3
	s_branch .LBB73_2740
.LBB73_2739:
	s_mov_b64 s[0:1], -1
                                        ; implicit-def: $vgpr3
.LBB73_2740:
	s_andn2_b64 vcc, exec, s[0:1]
	s_cbranch_vccnz .LBB73_2742
; %bb.2741:
	global_load_ubyte v3, v[8:9], off
	s_waitcnt vmcnt(0)
	v_cvt_f32_ubyte0_e32 v3, v3
.LBB73_2742:
	s_mov_b64 s[6:7], -1
.LBB73_2743:
	s_andn2_b64 vcc, exec, s[6:7]
	s_cbranch_vccnz .LBB73_2763
; %bb.2744:
	s_waitcnt vmcnt(0)
	v_trunc_f32_e32 v3, v3
	s_mov_b32 s0, 0x2f800000
	v_mul_f32_e64 v5, |v3|, s0
	v_floor_f32_e32 v5, v5
	s_mov_b32 s0, 0xcf800000
	v_cvt_u32_f32_e32 v7, v5
	v_fma_f32 v5, v5, s0, |v3|
	v_cvt_u32_f32_e32 v5, v5
	v_ashrrev_i32_e32 v3, 31, v3
	v_xor_b32_e32 v7, v7, v3
	v_mov_b32_e32 v8, 0
	v_xor_b32_e32 v5, v5, v3
	v_sub_co_u32_e32 v12, vcc, v5, v3
	v_subb_co_u32_e32 v13, vcc, v7, v3, vcc
	v_cmp_lt_i64_e32 vcc, -1, v[12:13]
	s_and_saveexec_b64 s[0:1], vcc
	s_cbranch_execz .LBB73_2756
; %bb.2745:
	v_cmp_lt_i64_e32 vcc, 0, v[12:13]
	v_mov_b32_e32 v8, 1.0
	s_and_saveexec_b64 s[2:3], vcc
	s_cbranch_execz .LBB73_2755
; %bb.2746:
	v_cmp_ne_u64_e32 vcc, 1, v[12:13]
                                        ; implicit-def: $vgpr8
	s_and_saveexec_b64 s[6:7], vcc
	s_xor_b64 s[6:7], exec, s[6:7]
	s_cbranch_execz .LBB73_2752
; %bb.2747:
	s_mov_b64 s[10:11], 0x81
	v_cmp_gt_u64_e32 vcc, s[10:11], v[12:13]
	v_mov_b32_e32 v8, 0x7fc00000
	s_and_saveexec_b64 s[10:11], vcc
	s_cbranch_execz .LBB73_2751
; %bb.2748:
	s_mov_b64 s[18:19], 1
	s_mov_b64 s[16:17], 0
	v_mov_b32_e32 v3, 1.0
	v_mov_b32_e32 v8, v1
.LBB73_2749:                            ; =>This Inner Loop Header: Depth=1
	s_flbit_i32_b32 s20, s19
	s_min_u32 s22, s20, 32
	s_lshl_b64 s[20:21], s[18:19], s22
	s_min_u32 s20, s20, 1
	s_or_b32 s20, s21, s20
	v_cvt_f32_u32_e32 v7, s20
	s_sub_i32 s22, 32, s22
	s_add_u32 s18, s18, 1
	s_addc_u32 s19, s19, 0
	v_ldexp_f32 v7, v7, s22
	v_mov_b32_e32 v5, v8
	v_cmp_eq_u64_e32 vcc, s[18:19], v[12:13]
	v_mul_f32_e32 v7, v3, v7
	s_or_b64 s[16:17], vcc, s[16:17]
	v_mov_b32_e32 v3, v8
	v_fma_f32 v8, v1, v5, -v7
	s_andn2_b64 exec, exec, s[16:17]
	s_cbranch_execnz .LBB73_2749
; %bb.2750:
	s_or_b64 exec, exec, s[16:17]
.LBB73_2751:
	s_or_b64 exec, exec, s[10:11]
                                        ; implicit-def: $vgpr1
.LBB73_2752:
	s_andn2_saveexec_b64 s[6:7], s[6:7]
; %bb.2753:
	v_mov_b32_e32 v8, v1
; %bb.2754:
	s_or_b64 exec, exec, s[6:7]
.LBB73_2755:
	s_or_b64 exec, exec, s[2:3]
.LBB73_2756:
	s_or_b64 exec, exec, s[0:1]
	v_mov_b32_e32 v1, s9
	v_add_co_u32_e32 v6, vcc, s8, v6
	s_lshr_b32 s18, s26, 8
	v_addc_co_u32_e32 v7, vcc, 0, v1, vcc
	v_mov_b32_e32 v1, 11
	v_cmp_lt_i16_sdwa s[0:1], s18, v1 src0_sel:BYTE_0 src1_sel:DWORD
	s_and_b64 vcc, exec, s[0:1]
	s_cbranch_vccnz .LBB73_2809
; %bb.2757:
	v_mov_b32_e32 v1, 25
	v_cmp_gt_i16_sdwa s[0:1], s18, v1 src0_sel:BYTE_0 src1_sel:DWORD
	s_mov_b64 s[10:11], -1
	s_mov_b64 s[2:3], 0
	s_and_b64 vcc, exec, s[0:1]
	s_mov_b64 s[6:7], 0
	s_mov_b64 s[0:1], 0
	s_cbranch_vccz .LBB73_2841
; %bb.2758:
	v_mov_b32_e32 v1, 28
	v_cmp_gt_i16_sdwa s[0:1], s18, v1 src0_sel:BYTE_0 src1_sel:DWORD
	s_and_b64 vcc, exec, s[0:1]
	s_cbranch_vccz .LBB73_2810
; %bb.2759:
	v_mov_b32_e32 v1, 43
	v_cmp_gt_i16_sdwa s[0:1], s18, v1 src0_sel:BYTE_0 src1_sel:DWORD
	s_and_b64 vcc, exec, s[0:1]
	;; [unrolled: 5-line block ×3, first 2 shown]
	s_cbranch_vccz .LBB73_2813
; %bb.2761:
	v_mov_b32_e32 v1, 46
	v_cmp_eq_u16_sdwa s[6:7], s18, v1 src0_sel:BYTE_0 src1_sel:DWORD
	s_mov_b64 s[0:1], -1
	s_mov_b64 s[10:11], 0
	s_and_b64 vcc, exec, s[6:7]
	s_mov_b64 s[6:7], 0
	s_cbranch_vccz .LBB73_2814
; %bb.2762:
	v_bfe_u32 v1, v10, 16, 1
	s_movk_i32 s0, 0x7fff
	v_add3_u32 v1, v10, v1, s0
	v_lshrrev_b32_e32 v1, 16, v1
	v_mov_b32_e32 v3, 0x7fc0
	v_cmp_o_f32_e32 vcc, v10, v10
	v_cndmask_b32_e32 v1, v3, v1, vcc
	global_store_dword v[6:7], v1, off
	s_mov_b64 s[0:1], 0
	s_mov_b64 s[6:7], -1
	s_branch .LBB73_2814
.LBB73_2763:
	s_mov_b64 s[0:1], 0
                                        ; implicit-def: $vgpr0_vgpr1
                                        ; implicit-def: $vgpr2
                                        ; implicit-def: $vgpr8
.LBB73_2764:
	s_mov_b64 s[2:3], 0
.LBB73_2765:
	s_and_b64 s[6:7], s[2:3], exec
	s_andn2_b64 s[2:3], s[12:13], exec
	s_and_b64 s[4:5], s[4:5], exec
	s_and_b64 s[0:1], s[0:1], exec
	s_or_b64 s[12:13], s[2:3], s[4:5]
.LBB73_2766:
	s_or_b64 exec, exec, s[14:15]
	s_and_saveexec_b64 s[2:3], s[12:13]
	s_cbranch_execz .LBB73_2769
; %bb.2767:
	; divergent unreachable
	s_or_b64 exec, exec, s[2:3]
	s_and_saveexec_b64 s[2:3], s[6:7]
	s_xor_b64 s[2:3], exec, s[2:3]
	s_cbranch_execnz .LBB73_2770
.LBB73_2768:
	s_or_b64 exec, exec, s[2:3]
	s_and_saveexec_b64 s[2:3], s[0:1]
	s_cbranch_execnz .LBB73_2771
	s_branch .LBB73_2808
.LBB73_2769:
	s_or_b64 exec, exec, s[2:3]
	s_and_saveexec_b64 s[2:3], s[6:7]
	s_xor_b64 s[2:3], exec, s[2:3]
	s_cbranch_execz .LBB73_2768
.LBB73_2770:
	s_waitcnt vmcnt(0)
	v_cmp_neq_f32_e32 vcc, 0, v8
	v_cndmask_b32_e64 v3, 0, 1, vcc
	global_store_byte v[0:1], v3, off
	s_or_b64 exec, exec, s[2:3]
	s_and_saveexec_b64 s[2:3], s[0:1]
	s_cbranch_execz .LBB73_2808
.LBB73_2771:
	v_cmp_gt_i16_e32 vcc, 5, v2
	s_mov_b64 s[0:1], -1
	s_cbranch_vccnz .LBB73_2792
; %bb.2772:
	v_cmp_gt_i16_e32 vcc, 8, v2
	s_cbranch_vccnz .LBB73_2782
; %bb.2773:
	v_cmp_gt_i16_e32 vcc, 9, v2
	s_cbranch_vccnz .LBB73_2779
; %bb.2774:
	v_cmp_lt_i16_e32 vcc, 9, v2
	s_cbranch_vccz .LBB73_2776
; %bb.2775:
	v_mov_b32_e32 v6, 0
	s_waitcnt vmcnt(0)
	v_cvt_f64_f32_e32 v[4:5], v8
	v_mov_b32_e32 v7, v6
	global_store_dwordx4 v[0:1], v[4:7], off
	s_mov_b64 s[0:1], 0
.LBB73_2776:
	s_andn2_b64 vcc, exec, s[0:1]
	s_cbranch_vccnz .LBB73_2778
; %bb.2777:
	v_mov_b32_e32 v9, 0
	s_waitcnt vmcnt(0)
	global_store_dwordx2 v[0:1], v[8:9], off
.LBB73_2778:
	s_mov_b64 s[0:1], 0
.LBB73_2779:
	s_andn2_b64 vcc, exec, s[0:1]
	s_cbranch_vccnz .LBB73_2781
; %bb.2780:
	s_waitcnt vmcnt(0)
	v_cvt_f16_f32_e32 v3, v8
	global_store_dword v[0:1], v3, off
.LBB73_2781:
	s_mov_b64 s[0:1], 0
.LBB73_2782:
	s_andn2_b64 vcc, exec, s[0:1]
	s_cbranch_vccnz .LBB73_2791
; %bb.2783:
	v_cmp_gt_i16_e32 vcc, 6, v2
	s_mov_b64 s[0:1], -1
	s_cbranch_vccnz .LBB73_2789
; %bb.2784:
	v_cmp_lt_i16_e32 vcc, 6, v2
	s_cbranch_vccz .LBB73_2786
; %bb.2785:
	s_waitcnt vmcnt(0)
	v_cvt_f64_f32_e32 v[4:5], v8
	global_store_dwordx2 v[0:1], v[4:5], off
	s_mov_b64 s[0:1], 0
.LBB73_2786:
	s_andn2_b64 vcc, exec, s[0:1]
	s_cbranch_vccnz .LBB73_2788
; %bb.2787:
	s_waitcnt vmcnt(0)
	global_store_dword v[0:1], v8, off
.LBB73_2788:
	s_mov_b64 s[0:1], 0
.LBB73_2789:
	s_andn2_b64 vcc, exec, s[0:1]
	s_cbranch_vccnz .LBB73_2791
; %bb.2790:
	s_waitcnt vmcnt(0)
	v_cvt_f16_f32_e32 v3, v8
	global_store_short v[0:1], v3, off
.LBB73_2791:
	s_mov_b64 s[0:1], 0
.LBB73_2792:
	s_andn2_b64 vcc, exec, s[0:1]
	s_cbranch_vccnz .LBB73_2808
; %bb.2793:
	v_cmp_gt_i16_e32 vcc, 2, v2
	s_mov_b64 s[0:1], -1
	s_cbranch_vccnz .LBB73_2803
; %bb.2794:
	v_cmp_gt_i16_e32 vcc, 3, v2
	s_cbranch_vccnz .LBB73_2800
; %bb.2795:
	v_cmp_lt_i16_e32 vcc, 3, v2
	s_cbranch_vccz .LBB73_2797
; %bb.2796:
	s_waitcnt vmcnt(0)
	v_trunc_f32_e32 v3, v8
	s_mov_b32 s0, 0x2f800000
	v_mul_f32_e64 v4, |v3|, s0
	v_floor_f32_e32 v4, v4
	s_mov_b32 s0, 0xcf800000
	v_cvt_u32_f32_e32 v5, v4
	v_fma_f32 v4, v4, s0, |v3|
	v_cvt_u32_f32_e32 v4, v4
	v_ashrrev_i32_e32 v3, 31, v3
	v_xor_b32_e32 v5, v5, v3
	s_mov_b64 s[0:1], 0
	v_xor_b32_e32 v4, v4, v3
	v_sub_co_u32_e32 v4, vcc, v4, v3
	v_subb_co_u32_e32 v5, vcc, v5, v3, vcc
	global_store_dwordx2 v[0:1], v[4:5], off
.LBB73_2797:
	s_andn2_b64 vcc, exec, s[0:1]
	s_cbranch_vccnz .LBB73_2799
; %bb.2798:
	s_waitcnt vmcnt(0)
	v_cvt_i32_f32_e32 v3, v8
	global_store_dword v[0:1], v3, off
.LBB73_2799:
	s_mov_b64 s[0:1], 0
.LBB73_2800:
	s_andn2_b64 vcc, exec, s[0:1]
	s_cbranch_vccnz .LBB73_2802
; %bb.2801:
	s_waitcnt vmcnt(0)
	v_cvt_i32_f32_e32 v3, v8
	global_store_short v[0:1], v3, off
.LBB73_2802:
	s_mov_b64 s[0:1], 0
.LBB73_2803:
	s_andn2_b64 vcc, exec, s[0:1]
	s_cbranch_vccnz .LBB73_2808
; %bb.2804:
	v_cmp_lt_i16_e32 vcc, 0, v2
	s_mov_b64 s[0:1], -1
	s_cbranch_vccz .LBB73_2806
; %bb.2805:
	s_waitcnt vmcnt(0)
	v_cvt_i32_f32_e32 v2, v8
	s_mov_b64 s[0:1], 0
	global_store_byte v[0:1], v2, off
.LBB73_2806:
	s_andn2_b64 vcc, exec, s[0:1]
	s_cbranch_vccnz .LBB73_2808
; %bb.2807:
	s_waitcnt vmcnt(0)
	v_trunc_f32_e32 v2, v8
	s_mov_b32 s0, 0x2f800000
	v_mul_f32_e64 v3, |v2|, s0
	v_floor_f32_e32 v3, v3
	s_mov_b32 s0, 0xcf800000
	v_fma_f32 v3, v3, s0, |v2|
	v_cvt_u32_f32_e32 v3, v3
	v_ashrrev_i32_e32 v2, 31, v2
	v_xor_b32_e32 v3, v3, v2
	v_sub_u32_e32 v2, v3, v2
	global_store_byte v[0:1], v2, off
	s_endpgm
.LBB73_2808:
	s_endpgm
.LBB73_2809:
	s_mov_b64 s[0:1], -1
	s_mov_b64 s[6:7], 0
	s_branch .LBB73_2885
.LBB73_2810:
	s_mov_b64 s[0:1], 0
	s_branch .LBB73_2824
.LBB73_2811:
	s_mov_b64 s[0:1], 0
	s_branch .LBB73_2820
.LBB73_2812:
	s_trap 2
	s_or_b64 s[4:5], s[4:5], exec
                                        ; implicit-def: $vgpr3
	s_cbranch_execz .LBB73_2692
	s_branch .LBB73_2693
.LBB73_2813:
	s_mov_b64 s[0:1], 0
.LBB73_2814:
	s_and_b64 vcc, exec, s[10:11]
	s_cbranch_vccz .LBB73_2819
; %bb.2815:
	v_mov_b32_e32 v1, 44
	v_cmp_eq_u16_sdwa s[10:11], s18, v1 src0_sel:BYTE_0 src1_sel:DWORD
	s_mov_b64 s[0:1], -1
	s_and_b64 vcc, exec, s[10:11]
	s_cbranch_vccz .LBB73_2819
; %bb.2816:
	v_bfe_u32 v1, v10, 23, 8
	s_movk_i32 s0, 0xff
	v_cmp_ne_u32_e32 vcc, s0, v1
	v_mov_b32_e32 v3, 0xff
	s_and_saveexec_b64 s[6:7], vcc
; %bb.2817:
	s_mov_b32 s0, 0x3fffff
	v_and_b32_e32 v5, 0x400000, v10
	v_and_or_b32 v1, v10, s0, v1
	v_cmp_ne_u32_e32 vcc, 0, v5
	v_cmp_ne_u32_e64 s[0:1], 0, v1
	s_and_b64 s[0:1], vcc, s[0:1]
	v_lshrrev_b32_e32 v3, 23, v10
	v_cndmask_b32_e64 v1, 0, 1, s[0:1]
	v_add_u32_e32 v3, v3, v1
; %bb.2818:
	s_or_b64 exec, exec, s[6:7]
	s_mov_b64 s[0:1], 0
	s_mov_b64 s[6:7], -1
	global_store_byte v[6:7], v3, off
.LBB73_2819:
	s_mov_b64 s[10:11], 0
.LBB73_2820:
	s_and_b64 vcc, exec, s[10:11]
	s_cbranch_vccz .LBB73_2823
; %bb.2821:
	v_mov_b32_e32 v1, 29
	v_cmp_eq_u16_sdwa s[10:11], s18, v1 src0_sel:BYTE_0 src1_sel:DWORD
	s_mov_b64 s[0:1], -1
	s_and_b64 vcc, exec, s[10:11]
	s_cbranch_vccz .LBB73_2823
; %bb.2822:
	v_trunc_f32_e32 v1, v10
	v_mul_f32_e32 v3, 0x2f800000, v1
	v_floor_f32_e32 v3, v3
	v_fmac_f32_e32 v1, 0xcf800000, v3
	v_cvt_u32_f32_e32 v13, v3
	v_cvt_u32_f32_e32 v12, v1
	s_mov_b64 s[0:1], 0
	s_mov_b64 s[6:7], -1
	s_mov_b64 s[10:11], 0
	global_store_dwordx2 v[6:7], v[12:13], off
	s_branch .LBB73_2824
.LBB73_2823:
	s_mov_b64 s[10:11], 0
.LBB73_2824:
	s_and_b64 vcc, exec, s[10:11]
	s_cbranch_vccz .LBB73_2840
; %bb.2825:
	v_mov_b32_e32 v1, 27
	v_cmp_lt_i16_sdwa s[10:11], s18, v1 src0_sel:BYTE_0 src1_sel:DWORD
	s_mov_b64 s[6:7], -1
	s_and_b64 vcc, exec, s[10:11]
	s_cbranch_vccnz .LBB73_2831
; %bb.2826:
	v_cmp_gt_i16_sdwa s[10:11], s18, v1 src0_sel:BYTE_0 src1_sel:DWORD
	v_cvt_u32_f32_e32 v1, v10
	s_and_b64 vcc, exec, s[10:11]
	s_cbranch_vccz .LBB73_2828
; %bb.2827:
	s_mov_b64 s[6:7], 0
	global_store_dword v[6:7], v1, off
.LBB73_2828:
	s_andn2_b64 vcc, exec, s[6:7]
	s_cbranch_vccnz .LBB73_2830
; %bb.2829:
	global_store_short v[6:7], v1, off
.LBB73_2830:
	s_mov_b64 s[6:7], 0
.LBB73_2831:
	s_andn2_b64 vcc, exec, s[6:7]
	s_cbranch_vccnz .LBB73_2839
; %bb.2832:
	v_and_b32_e32 v1, 0x7fffffff, v10
	s_mov_b32 s6, 0x43800000
	v_cmp_gt_u32_e32 vcc, s6, v1
	v_mov_b32_e32 v3, 0x80
	s_and_saveexec_b64 s[6:7], vcc
	s_cbranch_execz .LBB73_2838
; %bb.2833:
	s_mov_b32 s10, 0x3bffffff
	v_cmp_lt_u32_e32 vcc, s10, v1
	s_mov_b64 s[10:11], 0
                                        ; implicit-def: $vgpr1
	s_and_saveexec_b64 s[16:17], vcc
	s_xor_b64 s[16:17], exec, s[16:17]
	s_cbranch_execz .LBB73_2934
; %bb.2834:
	v_bfe_u32 v1, v10, 20, 1
	s_mov_b32 s19, 0x487ffff
	v_add3_u32 v1, v10, v1, s19
	s_mov_b64 s[10:11], exec
	v_lshrrev_b32_e32 v1, 20, v1
	s_or_saveexec_b64 s[16:17], s[16:17]
                                        ; implicit-def: $sgpr19
	s_xor_b64 exec, exec, s[16:17]
	s_cbranch_execnz .LBB73_2935
.LBB73_2835:
	s_or_b64 exec, exec, s[16:17]
	v_mov_b32_e32 v3, s19
	s_and_saveexec_b64 s[16:17], s[10:11]
.LBB73_2836:
	v_lshrrev_b32_e32 v3, 24, v10
	s_movk_i32 s10, 0x80
	v_and_or_b32 v3, v3, s10, v1
.LBB73_2837:
	s_or_b64 exec, exec, s[16:17]
.LBB73_2838:
	s_or_b64 exec, exec, s[6:7]
	global_store_byte v[6:7], v3, off
.LBB73_2839:
	s_mov_b64 s[6:7], -1
.LBB73_2840:
	s_mov_b64 s[10:11], 0
.LBB73_2841:
	s_and_b64 vcc, exec, s[10:11]
	s_cbranch_vccz .LBB73_2881
; %bb.2842:
	v_mov_b32_e32 v1, 22
	v_cmp_gt_i16_sdwa s[10:11], s18, v1 src0_sel:BYTE_0 src1_sel:DWORD
	s_mov_b64 s[2:3], -1
	s_and_b64 vcc, exec, s[10:11]
	s_cbranch_vccz .LBB73_2874
; %bb.2843:
	v_mov_b32_e32 v1, 24
	v_cmp_lt_i16_sdwa s[6:7], s18, v1 src0_sel:BYTE_0 src1_sel:DWORD
	s_and_b64 vcc, exec, s[6:7]
	s_cbranch_vccnz .LBB73_2863
; %bb.2844:
	v_cmp_gt_i16_sdwa s[6:7], s18, v1 src0_sel:BYTE_0 src1_sel:DWORD
	s_and_b64 vcc, exec, s[6:7]
	s_cbranch_vccz .LBB73_2852
; %bb.2845:
	v_and_b32_e32 v1, 0x7fffffff, v10
	s_mov_b32 s2, 0x47800000
	v_cmp_gt_u32_e32 vcc, s2, v1
	v_mov_b32_e32 v3, 0x80
	s_and_saveexec_b64 s[2:3], vcc
	s_cbranch_execz .LBB73_2851
; %bb.2846:
	s_mov_b32 s6, 0x37ffffff
	v_cmp_lt_u32_e32 vcc, s6, v1
	s_mov_b64 s[6:7], 0
                                        ; implicit-def: $vgpr1
	s_and_saveexec_b64 s[10:11], vcc
	s_xor_b64 s[10:11], exec, s[10:11]
	s_cbranch_execz .LBB73_2938
; %bb.2847:
	v_bfe_u32 v1, v10, 21, 1
	s_mov_b32 s16, 0x88fffff
	v_add3_u32 v1, v10, v1, s16
	s_mov_b64 s[6:7], exec
	v_lshrrev_b32_e32 v1, 21, v1
	s_or_saveexec_b64 s[10:11], s[10:11]
                                        ; implicit-def: $sgpr16
	s_xor_b64 exec, exec, s[10:11]
	s_cbranch_execnz .LBB73_2939
.LBB73_2848:
	s_or_b64 exec, exec, s[10:11]
	v_mov_b32_e32 v3, s16
	s_and_saveexec_b64 s[10:11], s[6:7]
.LBB73_2849:
	v_lshrrev_b32_e32 v3, 24, v10
	s_movk_i32 s6, 0x80
	v_and_or_b32 v3, v3, s6, v1
.LBB73_2850:
	s_or_b64 exec, exec, s[10:11]
.LBB73_2851:
	s_or_b64 exec, exec, s[2:3]
	s_mov_b64 s[2:3], 0
	global_store_byte v[6:7], v3, off
.LBB73_2852:
	s_and_b64 vcc, exec, s[2:3]
	s_cbranch_vccz .LBB73_2862
; %bb.2853:
	v_and_b32_e32 v3, 0x7fffffff, v10
	s_mov_b32 s2, 0x43f00000
	v_cmp_gt_u32_e32 vcc, s2, v3
                                        ; implicit-def: $vgpr1
	s_and_saveexec_b64 s[2:3], vcc
	s_xor_b64 s[2:3], exec, s[2:3]
	s_cbranch_execz .LBB73_2859
; %bb.2854:
	s_mov_b32 s6, 0x3c7fffff
	v_cmp_lt_u32_e32 vcc, s6, v3
                                        ; implicit-def: $vgpr1
	s_and_saveexec_b64 s[6:7], vcc
	s_xor_b64 s[6:7], exec, s[6:7]
; %bb.2855:
	v_bfe_u32 v1, v10, 20, 1
	s_mov_b32 s10, 0x407ffff
	v_add3_u32 v1, v10, v1, s10
	v_lshrrev_b32_e32 v3, 20, v1
	v_and_b32_e32 v1, 0xff00000, v1
	s_mov_b32 s10, 0x7f00000
	v_mov_b32_e32 v5, 0x7e
	v_cmp_ne_u32_e32 vcc, s10, v1
	v_cndmask_b32_e32 v1, v5, v3, vcc
; %bb.2856:
	s_andn2_saveexec_b64 s[6:7], s[6:7]
; %bb.2857:
	s_mov_b32 s10, 0x46800000
	v_add_f32_e64 v1, |v10|, s10
; %bb.2858:
	s_or_b64 exec, exec, s[6:7]
                                        ; implicit-def: $vgpr3
.LBB73_2859:
	s_andn2_saveexec_b64 s[2:3], s[2:3]
; %bb.2860:
	s_mov_b32 s6, 0x7f800000
	v_mov_b32_e32 v1, 0x7e
	v_mov_b32_e32 v5, 0x7f
	v_cmp_lt_u32_e32 vcc, s6, v3
	v_cndmask_b32_e32 v1, v1, v5, vcc
; %bb.2861:
	s_or_b64 exec, exec, s[2:3]
	v_lshrrev_b32_e32 v3, 24, v10
	s_movk_i32 s2, 0x80
	v_and_or_b32 v1, v3, s2, v1
	global_store_byte v[6:7], v1, off
.LBB73_2862:
	s_mov_b64 s[2:3], 0
.LBB73_2863:
	s_andn2_b64 vcc, exec, s[2:3]
	s_cbranch_vccnz .LBB73_2873
; %bb.2864:
	v_and_b32_e32 v3, 0x7fffffff, v10
	s_mov_b32 s2, 0x47800000
	v_cmp_gt_u32_e32 vcc, s2, v3
                                        ; implicit-def: $vgpr1
	s_and_saveexec_b64 s[2:3], vcc
	s_xor_b64 s[2:3], exec, s[2:3]
	s_cbranch_execz .LBB73_2870
; %bb.2865:
	s_mov_b32 s6, 0x387fffff
	v_cmp_lt_u32_e32 vcc, s6, v3
                                        ; implicit-def: $vgpr1
	s_and_saveexec_b64 s[6:7], vcc
	s_xor_b64 s[6:7], exec, s[6:7]
; %bb.2866:
	v_bfe_u32 v1, v10, 21, 1
	s_mov_b32 s10, 0x80fffff
	v_add3_u32 v1, v10, v1, s10
	v_lshrrev_b32_e32 v1, 21, v1
; %bb.2867:
	s_andn2_saveexec_b64 s[6:7], s[6:7]
; %bb.2868:
	s_mov_b32 s10, 0x43000000
	v_add_f32_e64 v1, |v10|, s10
; %bb.2869:
	s_or_b64 exec, exec, s[6:7]
                                        ; implicit-def: $vgpr3
.LBB73_2870:
	s_andn2_saveexec_b64 s[2:3], s[2:3]
; %bb.2871:
	s_mov_b32 s6, 0x7f800000
	v_mov_b32_e32 v1, 0x7c
	v_mov_b32_e32 v5, 0x7f
	v_cmp_lt_u32_e32 vcc, s6, v3
	v_cndmask_b32_e32 v1, v1, v5, vcc
; %bb.2872:
	s_or_b64 exec, exec, s[2:3]
	v_lshrrev_b32_e32 v3, 24, v10
	s_movk_i32 s2, 0x80
	v_and_or_b32 v1, v3, s2, v1
	global_store_byte v[6:7], v1, off
.LBB73_2873:
	s_mov_b64 s[2:3], 0
	s_mov_b64 s[6:7], -1
.LBB73_2874:
	s_andn2_b64 vcc, exec, s[2:3]
	s_mov_b64 s[2:3], 0
	s_cbranch_vccnz .LBB73_2881
; %bb.2875:
	v_mov_b32_e32 v1, 14
	v_cmp_gt_i16_sdwa s[2:3], s18, v1 src0_sel:BYTE_0 src1_sel:DWORD
	s_mov_b64 s[10:11], -1
	s_and_b64 vcc, exec, s[2:3]
	s_cbranch_vccz .LBB73_2879
; %bb.2876:
	v_mov_b32_e32 v1, 15
	v_cmp_eq_u16_sdwa s[2:3], s18, v1 src0_sel:BYTE_0 src1_sel:DWORD
	s_mov_b64 s[0:1], -1
	s_and_b64 vcc, exec, s[2:3]
	s_cbranch_vccz .LBB73_2878
; %bb.2877:
	v_bfe_u32 v1, v10, 16, 1
	s_movk_i32 s0, 0x7fff
	v_add3_u32 v1, v10, v1, s0
	v_lshrrev_b32_e32 v1, 16, v1
	v_mov_b32_e32 v3, 0x7fc0
	v_cmp_o_f32_e32 vcc, v10, v10
	v_cndmask_b32_e32 v1, v3, v1, vcc
	global_store_short v[6:7], v1, off
	s_mov_b64 s[0:1], 0
	s_mov_b64 s[6:7], -1
.LBB73_2878:
	s_mov_b64 s[10:11], 0
.LBB73_2879:
	s_mov_b64 s[2:3], 0
	s_and_b64 vcc, exec, s[10:11]
	s_cbranch_vccz .LBB73_2881
; %bb.2880:
	v_mov_b32_e32 v1, 11
	v_cmp_ne_u16_sdwa s[0:1], s18, v1 src0_sel:BYTE_0 src1_sel:DWORD
	s_mov_b64 s[2:3], -1
.LBB73_2881:
	s_and_b64 vcc, exec, s[0:1]
	s_cbranch_vccnz .LBB73_2937
; %bb.2882:
	s_andn2_b64 vcc, exec, s[2:3]
	s_cbranch_vccnz .LBB73_2884
.LBB73_2883:
	v_cmp_neq_f32_e32 vcc, 0, v10
	v_cndmask_b32_e64 v1, 0, 1, vcc
	s_mov_b64 s[6:7], -1
	global_store_byte v[6:7], v1, off
.LBB73_2884:
	s_mov_b64 s[0:1], 0
.LBB73_2885:
	s_and_b64 vcc, exec, s[0:1]
	s_cbranch_vccz .LBB73_2924
; %bb.2886:
	v_mov_b32_e32 v1, 5
	v_cmp_lt_i16_sdwa s[2:3], s18, v1 src0_sel:BYTE_0 src1_sel:DWORD
	s_mov_b64 s[0:1], -1
	s_and_b64 vcc, exec, s[2:3]
	s_cbranch_vccnz .LBB73_2907
; %bb.2887:
	v_mov_b32_e32 v1, 8
	v_cmp_lt_i16_sdwa s[2:3], s18, v1 src0_sel:BYTE_0 src1_sel:DWORD
	s_and_b64 vcc, exec, s[2:3]
	s_cbranch_vccnz .LBB73_2897
; %bb.2888:
	v_mov_b32_e32 v1, 9
	v_cmp_lt_i16_sdwa s[2:3], s18, v1 src0_sel:BYTE_0 src1_sel:DWORD
	s_and_b64 vcc, exec, s[2:3]
	s_cbranch_vccnz .LBB73_2894
; %bb.2889:
	v_cmp_gt_i16_sdwa s[2:3], s18, v1 src0_sel:BYTE_0 src1_sel:DWORD
	s_and_b64 vcc, exec, s[2:3]
	s_cbranch_vccz .LBB73_2891
; %bb.2890:
	v_mov_b32_e32 v20, 0
	v_cvt_f64_f32_e32 v[18:19], v10
	v_mov_b32_e32 v21, v20
	global_store_dwordx4 v[6:7], v[18:21], off
	s_mov_b64 s[0:1], 0
.LBB73_2891:
	s_andn2_b64 vcc, exec, s[0:1]
	s_cbranch_vccnz .LBB73_2893
; %bb.2892:
	v_mov_b32_e32 v11, 0
	global_store_dwordx2 v[6:7], v[10:11], off
.LBB73_2893:
	s_mov_b64 s[0:1], 0
.LBB73_2894:
	s_andn2_b64 vcc, exec, s[0:1]
	s_cbranch_vccnz .LBB73_2896
; %bb.2895:
	v_cvt_f16_f32_e32 v1, v10
	global_store_dword v[6:7], v1, off
.LBB73_2896:
	s_mov_b64 s[0:1], 0
.LBB73_2897:
	s_andn2_b64 vcc, exec, s[0:1]
	s_cbranch_vccnz .LBB73_2906
; %bb.2898:
	v_mov_b32_e32 v1, 6
	v_cmp_lt_i16_sdwa s[2:3], s18, v1 src0_sel:BYTE_0 src1_sel:DWORD
	s_mov_b64 s[0:1], -1
	s_and_b64 vcc, exec, s[2:3]
	s_cbranch_vccnz .LBB73_2904
; %bb.2899:
	v_cmp_gt_i16_sdwa s[2:3], s18, v1 src0_sel:BYTE_0 src1_sel:DWORD
	s_and_b64 vcc, exec, s[2:3]
	s_cbranch_vccz .LBB73_2901
; %bb.2900:
	v_cvt_f64_f32_e32 v[12:13], v10
	global_store_dwordx2 v[6:7], v[12:13], off
	s_mov_b64 s[0:1], 0
.LBB73_2901:
	s_andn2_b64 vcc, exec, s[0:1]
	s_cbranch_vccnz .LBB73_2903
; %bb.2902:
	global_store_dword v[6:7], v10, off
.LBB73_2903:
	s_mov_b64 s[0:1], 0
.LBB73_2904:
	s_andn2_b64 vcc, exec, s[0:1]
	s_cbranch_vccnz .LBB73_2906
; %bb.2905:
	v_cvt_f16_f32_e32 v1, v10
	global_store_short v[6:7], v1, off
.LBB73_2906:
	s_mov_b64 s[0:1], 0
.LBB73_2907:
	s_andn2_b64 vcc, exec, s[0:1]
	s_cbranch_vccnz .LBB73_2923
; %bb.2908:
	v_mov_b32_e32 v1, 2
	v_cmp_lt_i16_sdwa s[2:3], s18, v1 src0_sel:BYTE_0 src1_sel:DWORD
	s_mov_b64 s[0:1], -1
	s_and_b64 vcc, exec, s[2:3]
	s_cbranch_vccnz .LBB73_2918
; %bb.2909:
	v_mov_b32_e32 v1, 3
	v_cmp_lt_i16_sdwa s[2:3], s18, v1 src0_sel:BYTE_0 src1_sel:DWORD
	s_and_b64 vcc, exec, s[2:3]
	s_cbranch_vccnz .LBB73_2915
; %bb.2910:
	v_cmp_gt_i16_sdwa s[2:3], s18, v1 src0_sel:BYTE_0 src1_sel:DWORD
	s_and_b64 vcc, exec, s[2:3]
	s_cbranch_vccz .LBB73_2912
; %bb.2911:
	v_trunc_f32_e32 v1, v10
	s_mov_b32 s0, 0x2f800000
	v_mul_f32_e64 v3, |v1|, s0
	v_floor_f32_e32 v3, v3
	s_mov_b32 s0, 0xcf800000
	v_cvt_u32_f32_e32 v5, v3
	v_fma_f32 v3, v3, s0, |v1|
	v_cvt_u32_f32_e32 v3, v3
	v_ashrrev_i32_e32 v1, 31, v1
	v_xor_b32_e32 v5, v5, v1
	s_mov_b64 s[0:1], 0
	v_xor_b32_e32 v3, v3, v1
	v_sub_co_u32_e32 v12, vcc, v3, v1
	v_subb_co_u32_e32 v13, vcc, v5, v1, vcc
	global_store_dwordx2 v[6:7], v[12:13], off
.LBB73_2912:
	s_andn2_b64 vcc, exec, s[0:1]
	s_cbranch_vccnz .LBB73_2914
; %bb.2913:
	v_cvt_i32_f32_e32 v1, v10
	global_store_dword v[6:7], v1, off
.LBB73_2914:
	s_mov_b64 s[0:1], 0
.LBB73_2915:
	s_andn2_b64 vcc, exec, s[0:1]
	s_cbranch_vccnz .LBB73_2917
; %bb.2916:
	v_cvt_i32_f32_e32 v1, v10
	global_store_short v[6:7], v1, off
.LBB73_2917:
	s_mov_b64 s[0:1], 0
.LBB73_2918:
	s_andn2_b64 vcc, exec, s[0:1]
	s_cbranch_vccnz .LBB73_2923
; %bb.2919:
	v_mov_b32_e32 v1, 0
	v_cmp_gt_i16_sdwa s[2:3], s18, v1 src0_sel:BYTE_0 src1_sel:DWORD
	s_mov_b64 s[0:1], -1
	s_and_b64 vcc, exec, s[2:3]
	s_cbranch_vccz .LBB73_2921
; %bb.2920:
	v_cvt_i32_f32_e32 v1, v10
	s_mov_b64 s[0:1], 0
	global_store_byte v[6:7], v1, off
.LBB73_2921:
	s_andn2_b64 vcc, exec, s[0:1]
	s_cbranch_vccnz .LBB73_2923
; %bb.2922:
	v_trunc_f32_e32 v1, v10
	s_mov_b32 s0, 0x2f800000
	v_mul_f32_e64 v3, |v1|, s0
	v_floor_f32_e32 v3, v3
	s_mov_b32 s0, 0xcf800000
	v_fma_f32 v3, v3, s0, |v1|
	v_cvt_u32_f32_e32 v3, v3
	v_ashrrev_i32_e32 v1, 31, v1
	v_xor_b32_e32 v3, v3, v1
	v_sub_u32_e32 v1, v3, v1
	global_store_byte v[6:7], v1, off
.LBB73_2923:
	s_mov_b64 s[6:7], -1
.LBB73_2924:
	s_andn2_b64 vcc, exec, s[6:7]
	s_cbranch_vccnz .LBB73_3255
; %bb.2925:
	v_mov_b32_e32 v1, s9
	v_add_co_u32_e32 v4, vcc, s8, v4
	v_addc_co_u32_e32 v5, vcc, 0, v1, vcc
	v_mov_b32_e32 v1, 11
	v_cmp_lt_i16_sdwa s[0:1], s18, v1 src0_sel:BYTE_0 src1_sel:DWORD
	s_and_b64 vcc, exec, s[0:1]
	s_cbranch_vccnz .LBB73_2932
; %bb.2926:
	v_mov_b32_e32 v1, 25
	v_cmp_gt_i16_sdwa s[0:1], s18, v1 src0_sel:BYTE_0 src1_sel:DWORD
	s_mov_b64 s[10:11], -1
	s_mov_b64 s[2:3], 0
	s_and_b64 vcc, exec, s[0:1]
	s_mov_b64 s[6:7], 0
	s_mov_b64 s[0:1], 0
	s_cbranch_vccz .LBB73_2968
; %bb.2927:
	v_mov_b32_e32 v1, 28
	v_cmp_gt_i16_sdwa s[0:1], s18, v1 src0_sel:BYTE_0 src1_sel:DWORD
	s_and_b64 vcc, exec, s[0:1]
	s_cbranch_vccz .LBB73_2933
; %bb.2928:
	v_mov_b32_e32 v1, 43
	v_cmp_gt_i16_sdwa s[0:1], s18, v1 src0_sel:BYTE_0 src1_sel:DWORD
	s_and_b64 vcc, exec, s[0:1]
	;; [unrolled: 5-line block ×3, first 2 shown]
	s_cbranch_vccz .LBB73_2940
; %bb.2930:
	v_mov_b32_e32 v1, 46
	v_cmp_eq_u16_sdwa s[6:7], s18, v1 src0_sel:BYTE_0 src1_sel:DWORD
	s_mov_b64 s[0:1], -1
	s_mov_b64 s[10:11], 0
	s_and_b64 vcc, exec, s[6:7]
	s_mov_b64 s[6:7], 0
	s_cbranch_vccz .LBB73_2941
; %bb.2931:
	v_bfe_u32 v1, v14, 16, 1
	s_movk_i32 s0, 0x7fff
	v_add3_u32 v1, v14, v1, s0
	v_lshrrev_b32_e32 v1, 16, v1
	v_mov_b32_e32 v3, 0x7fc0
	v_cmp_o_f32_e32 vcc, v14, v14
	v_cndmask_b32_e32 v1, v3, v1, vcc
	global_store_dword v[4:5], v1, off
	s_mov_b64 s[0:1], 0
	s_mov_b64 s[6:7], -1
	s_branch .LBB73_2941
.LBB73_2932:
	s_mov_b64 s[0:1], -1
	s_mov_b64 s[6:7], 0
	s_branch .LBB73_3012
.LBB73_2933:
	s_mov_b64 s[0:1], 0
	s_branch .LBB73_2951
.LBB73_2934:
	s_or_saveexec_b64 s[16:17], s[16:17]
                                        ; implicit-def: $sgpr19
	s_xor_b64 exec, exec, s[16:17]
	s_cbranch_execz .LBB73_2835
.LBB73_2935:
	s_mov_b32 s19, 0x46000000
	v_add_f32_e64 v1, |v10|, s19
	v_and_b32_e32 v1, 0xff, v1
	v_cmp_ne_u32_e32 vcc, 0, v1
	s_andn2_b64 s[10:11], s[10:11], exec
	s_and_b64 s[20:21], vcc, exec
	s_mov_b32 s19, 0
	s_or_b64 s[10:11], s[10:11], s[20:21]
	s_or_b64 exec, exec, s[16:17]
	v_mov_b32_e32 v3, s19
	s_and_saveexec_b64 s[16:17], s[10:11]
	s_cbranch_execnz .LBB73_2836
	s_branch .LBB73_2837
.LBB73_2936:
	s_mov_b64 s[0:1], 0
	s_branch .LBB73_2947
.LBB73_2937:
	s_trap 2
	s_or_b64 s[4:5], s[4:5], exec
	s_cbranch_execz .LBB73_2883
	s_branch .LBB73_2884
.LBB73_2938:
	s_or_saveexec_b64 s[10:11], s[10:11]
                                        ; implicit-def: $sgpr16
	s_xor_b64 exec, exec, s[10:11]
	s_cbranch_execz .LBB73_2848
.LBB73_2939:
	s_mov_b32 s16, 0x42800000
	v_add_f32_e64 v1, |v10|, s16
	v_and_b32_e32 v1, 0xff, v1
	v_cmp_ne_u32_e32 vcc, 0, v1
	s_andn2_b64 s[6:7], s[6:7], exec
	s_and_b64 s[20:21], vcc, exec
	s_mov_b32 s16, 0
	s_or_b64 s[6:7], s[6:7], s[20:21]
	s_or_b64 exec, exec, s[10:11]
	v_mov_b32_e32 v3, s16
	s_and_saveexec_b64 s[10:11], s[6:7]
	s_cbranch_execnz .LBB73_2849
	s_branch .LBB73_2850
.LBB73_2940:
	s_mov_b64 s[0:1], 0
.LBB73_2941:
	s_and_b64 vcc, exec, s[10:11]
	s_cbranch_vccz .LBB73_2946
; %bb.2942:
	v_mov_b32_e32 v1, 44
	v_cmp_eq_u16_sdwa s[10:11], s18, v1 src0_sel:BYTE_0 src1_sel:DWORD
	s_mov_b64 s[0:1], -1
	s_and_b64 vcc, exec, s[10:11]
	s_cbranch_vccz .LBB73_2946
; %bb.2943:
	v_bfe_u32 v1, v14, 23, 8
	s_movk_i32 s0, 0xff
	v_cmp_ne_u32_e32 vcc, s0, v1
	v_mov_b32_e32 v3, 0xff
	s_and_saveexec_b64 s[6:7], vcc
; %bb.2944:
	s_mov_b32 s0, 0x3fffff
	v_and_b32_e32 v6, 0x400000, v14
	v_and_or_b32 v1, v14, s0, v1
	v_cmp_ne_u32_e32 vcc, 0, v6
	v_cmp_ne_u32_e64 s[0:1], 0, v1
	s_and_b64 s[0:1], vcc, s[0:1]
	v_lshrrev_b32_e32 v3, 23, v14
	v_cndmask_b32_e64 v1, 0, 1, s[0:1]
	v_add_u32_e32 v3, v3, v1
; %bb.2945:
	s_or_b64 exec, exec, s[6:7]
	s_mov_b64 s[0:1], 0
	s_mov_b64 s[6:7], -1
	global_store_byte v[4:5], v3, off
.LBB73_2946:
	s_mov_b64 s[10:11], 0
.LBB73_2947:
	s_and_b64 vcc, exec, s[10:11]
	s_cbranch_vccz .LBB73_2950
; %bb.2948:
	v_mov_b32_e32 v1, 29
	v_cmp_eq_u16_sdwa s[10:11], s18, v1 src0_sel:BYTE_0 src1_sel:DWORD
	s_mov_b64 s[0:1], -1
	s_and_b64 vcc, exec, s[10:11]
	s_cbranch_vccz .LBB73_2950
; %bb.2949:
	v_trunc_f32_e32 v1, v14
	v_mul_f32_e32 v3, 0x2f800000, v1
	v_floor_f32_e32 v3, v3
	v_fmac_f32_e32 v1, 0xcf800000, v3
	v_cvt_u32_f32_e32 v7, v3
	v_cvt_u32_f32_e32 v6, v1
	s_mov_b64 s[0:1], 0
	s_mov_b64 s[6:7], -1
	s_mov_b64 s[10:11], 0
	global_store_dwordx2 v[4:5], v[6:7], off
	s_branch .LBB73_2951
.LBB73_2950:
	s_mov_b64 s[10:11], 0
.LBB73_2951:
	s_and_b64 vcc, exec, s[10:11]
	s_cbranch_vccz .LBB73_2967
; %bb.2952:
	v_mov_b32_e32 v1, 27
	v_cmp_lt_i16_sdwa s[10:11], s18, v1 src0_sel:BYTE_0 src1_sel:DWORD
	s_mov_b64 s[6:7], -1
	s_and_b64 vcc, exec, s[10:11]
	s_cbranch_vccnz .LBB73_2958
; %bb.2953:
	v_cmp_gt_i16_sdwa s[10:11], s18, v1 src0_sel:BYTE_0 src1_sel:DWORD
	s_and_b64 vcc, exec, s[10:11]
	s_cbranch_vccz .LBB73_2955
; %bb.2954:
	v_cvt_u32_f32_e32 v1, v14
	s_mov_b64 s[6:7], 0
	global_store_dword v[4:5], v1, off
.LBB73_2955:
	s_andn2_b64 vcc, exec, s[6:7]
	s_cbranch_vccnz .LBB73_2957
; %bb.2956:
	v_cvt_u32_f32_e32 v1, v14
	global_store_short v[4:5], v1, off
.LBB73_2957:
	s_mov_b64 s[6:7], 0
.LBB73_2958:
	s_andn2_b64 vcc, exec, s[6:7]
	s_cbranch_vccnz .LBB73_2966
; %bb.2959:
	v_and_b32_e32 v1, 0x7fffffff, v14
	s_mov_b32 s6, 0x43800000
	v_cmp_gt_u32_e32 vcc, s6, v1
	v_mov_b32_e32 v3, 0x80
	s_and_saveexec_b64 s[6:7], vcc
	s_cbranch_execz .LBB73_2965
; %bb.2960:
	s_mov_b32 s10, 0x3bffffff
	v_cmp_lt_u32_e32 vcc, s10, v1
	s_mov_b64 s[10:11], 0
                                        ; implicit-def: $vgpr1
	s_and_saveexec_b64 s[16:17], vcc
	s_xor_b64 s[16:17], exec, s[16:17]
	s_cbranch_execz .LBB73_3061
; %bb.2961:
	v_bfe_u32 v1, v14, 20, 1
	s_mov_b32 s19, 0x487ffff
	v_add3_u32 v1, v14, v1, s19
	s_mov_b64 s[10:11], exec
	v_lshrrev_b32_e32 v1, 20, v1
	s_or_saveexec_b64 s[16:17], s[16:17]
                                        ; implicit-def: $sgpr19
	s_xor_b64 exec, exec, s[16:17]
	s_cbranch_execnz .LBB73_3062
.LBB73_2962:
	s_or_b64 exec, exec, s[16:17]
	v_mov_b32_e32 v3, s19
	s_and_saveexec_b64 s[16:17], s[10:11]
.LBB73_2963:
	v_lshrrev_b32_e32 v3, 24, v14
	s_movk_i32 s10, 0x80
	v_and_or_b32 v3, v3, s10, v1
.LBB73_2964:
	s_or_b64 exec, exec, s[16:17]
.LBB73_2965:
	s_or_b64 exec, exec, s[6:7]
	global_store_byte v[4:5], v3, off
.LBB73_2966:
	s_mov_b64 s[6:7], -1
.LBB73_2967:
	s_mov_b64 s[10:11], 0
.LBB73_2968:
	s_and_b64 vcc, exec, s[10:11]
	s_cbranch_vccz .LBB73_3008
; %bb.2969:
	v_mov_b32_e32 v1, 22
	v_cmp_gt_i16_sdwa s[10:11], s18, v1 src0_sel:BYTE_0 src1_sel:DWORD
	s_mov_b64 s[2:3], -1
	s_and_b64 vcc, exec, s[10:11]
	s_cbranch_vccz .LBB73_3001
; %bb.2970:
	v_mov_b32_e32 v1, 24
	v_cmp_lt_i16_sdwa s[6:7], s18, v1 src0_sel:BYTE_0 src1_sel:DWORD
	s_and_b64 vcc, exec, s[6:7]
	s_cbranch_vccnz .LBB73_2990
; %bb.2971:
	v_cmp_gt_i16_sdwa s[6:7], s18, v1 src0_sel:BYTE_0 src1_sel:DWORD
	s_and_b64 vcc, exec, s[6:7]
	s_cbranch_vccz .LBB73_2979
; %bb.2972:
	v_and_b32_e32 v1, 0x7fffffff, v14
	s_mov_b32 s2, 0x47800000
	v_cmp_gt_u32_e32 vcc, s2, v1
	v_mov_b32_e32 v3, 0x80
	s_and_saveexec_b64 s[2:3], vcc
	s_cbranch_execz .LBB73_2978
; %bb.2973:
	s_mov_b32 s6, 0x37ffffff
	v_cmp_lt_u32_e32 vcc, s6, v1
	s_mov_b64 s[6:7], 0
                                        ; implicit-def: $vgpr1
	s_and_saveexec_b64 s[10:11], vcc
	s_xor_b64 s[10:11], exec, s[10:11]
	s_cbranch_execz .LBB73_3065
; %bb.2974:
	v_bfe_u32 v1, v14, 21, 1
	s_mov_b32 s16, 0x88fffff
	v_add3_u32 v1, v14, v1, s16
	s_mov_b64 s[6:7], exec
	v_lshrrev_b32_e32 v1, 21, v1
	s_or_saveexec_b64 s[10:11], s[10:11]
                                        ; implicit-def: $sgpr16
	s_xor_b64 exec, exec, s[10:11]
	s_cbranch_execnz .LBB73_3066
.LBB73_2975:
	s_or_b64 exec, exec, s[10:11]
	v_mov_b32_e32 v3, s16
	s_and_saveexec_b64 s[10:11], s[6:7]
.LBB73_2976:
	v_lshrrev_b32_e32 v3, 24, v14
	s_movk_i32 s6, 0x80
	v_and_or_b32 v3, v3, s6, v1
.LBB73_2977:
	s_or_b64 exec, exec, s[10:11]
.LBB73_2978:
	s_or_b64 exec, exec, s[2:3]
	s_mov_b64 s[2:3], 0
	global_store_byte v[4:5], v3, off
.LBB73_2979:
	s_and_b64 vcc, exec, s[2:3]
	s_cbranch_vccz .LBB73_2989
; %bb.2980:
	v_and_b32_e32 v3, 0x7fffffff, v14
	s_mov_b32 s2, 0x43f00000
	v_cmp_gt_u32_e32 vcc, s2, v3
                                        ; implicit-def: $vgpr1
	s_and_saveexec_b64 s[2:3], vcc
	s_xor_b64 s[2:3], exec, s[2:3]
	s_cbranch_execz .LBB73_2986
; %bb.2981:
	s_mov_b32 s6, 0x3c7fffff
	v_cmp_lt_u32_e32 vcc, s6, v3
                                        ; implicit-def: $vgpr1
	s_and_saveexec_b64 s[6:7], vcc
	s_xor_b64 s[6:7], exec, s[6:7]
; %bb.2982:
	v_bfe_u32 v1, v14, 20, 1
	s_mov_b32 s10, 0x407ffff
	v_add3_u32 v1, v14, v1, s10
	v_lshrrev_b32_e32 v3, 20, v1
	v_and_b32_e32 v1, 0xff00000, v1
	s_mov_b32 s10, 0x7f00000
	v_mov_b32_e32 v6, 0x7e
	v_cmp_ne_u32_e32 vcc, s10, v1
	v_cndmask_b32_e32 v1, v6, v3, vcc
; %bb.2983:
	s_andn2_saveexec_b64 s[6:7], s[6:7]
; %bb.2984:
	s_mov_b32 s10, 0x46800000
	v_add_f32_e64 v1, |v14|, s10
; %bb.2985:
	s_or_b64 exec, exec, s[6:7]
                                        ; implicit-def: $vgpr3
.LBB73_2986:
	s_andn2_saveexec_b64 s[2:3], s[2:3]
; %bb.2987:
	s_mov_b32 s6, 0x7f800000
	v_mov_b32_e32 v1, 0x7e
	v_mov_b32_e32 v6, 0x7f
	v_cmp_lt_u32_e32 vcc, s6, v3
	v_cndmask_b32_e32 v1, v1, v6, vcc
; %bb.2988:
	s_or_b64 exec, exec, s[2:3]
	v_lshrrev_b32_e32 v3, 24, v14
	s_movk_i32 s2, 0x80
	v_and_or_b32 v1, v3, s2, v1
	global_store_byte v[4:5], v1, off
.LBB73_2989:
	s_mov_b64 s[2:3], 0
.LBB73_2990:
	s_andn2_b64 vcc, exec, s[2:3]
	s_cbranch_vccnz .LBB73_3000
; %bb.2991:
	v_and_b32_e32 v3, 0x7fffffff, v14
	s_mov_b32 s2, 0x47800000
	v_cmp_gt_u32_e32 vcc, s2, v3
                                        ; implicit-def: $vgpr1
	s_and_saveexec_b64 s[2:3], vcc
	s_xor_b64 s[2:3], exec, s[2:3]
	s_cbranch_execz .LBB73_2997
; %bb.2992:
	s_mov_b32 s6, 0x387fffff
	v_cmp_lt_u32_e32 vcc, s6, v3
                                        ; implicit-def: $vgpr1
	s_and_saveexec_b64 s[6:7], vcc
	s_xor_b64 s[6:7], exec, s[6:7]
; %bb.2993:
	v_bfe_u32 v1, v14, 21, 1
	s_mov_b32 s10, 0x80fffff
	v_add3_u32 v1, v14, v1, s10
	v_lshrrev_b32_e32 v1, 21, v1
; %bb.2994:
	s_andn2_saveexec_b64 s[6:7], s[6:7]
; %bb.2995:
	s_mov_b32 s10, 0x43000000
	v_add_f32_e64 v1, |v14|, s10
; %bb.2996:
	s_or_b64 exec, exec, s[6:7]
                                        ; implicit-def: $vgpr3
.LBB73_2997:
	s_andn2_saveexec_b64 s[2:3], s[2:3]
; %bb.2998:
	s_mov_b32 s6, 0x7f800000
	v_mov_b32_e32 v1, 0x7c
	v_mov_b32_e32 v6, 0x7f
	v_cmp_lt_u32_e32 vcc, s6, v3
	v_cndmask_b32_e32 v1, v1, v6, vcc
; %bb.2999:
	s_or_b64 exec, exec, s[2:3]
	v_lshrrev_b32_e32 v3, 24, v14
	s_movk_i32 s2, 0x80
	v_and_or_b32 v1, v3, s2, v1
	global_store_byte v[4:5], v1, off
.LBB73_3000:
	s_mov_b64 s[2:3], 0
	s_mov_b64 s[6:7], -1
.LBB73_3001:
	s_andn2_b64 vcc, exec, s[2:3]
	s_mov_b64 s[2:3], 0
	s_cbranch_vccnz .LBB73_3008
; %bb.3002:
	v_mov_b32_e32 v1, 14
	v_cmp_gt_i16_sdwa s[2:3], s18, v1 src0_sel:BYTE_0 src1_sel:DWORD
	s_mov_b64 s[10:11], -1
	s_and_b64 vcc, exec, s[2:3]
	s_cbranch_vccz .LBB73_3006
; %bb.3003:
	v_mov_b32_e32 v1, 15
	v_cmp_eq_u16_sdwa s[2:3], s18, v1 src0_sel:BYTE_0 src1_sel:DWORD
	s_mov_b64 s[0:1], -1
	s_and_b64 vcc, exec, s[2:3]
	s_cbranch_vccz .LBB73_3005
; %bb.3004:
	v_bfe_u32 v1, v14, 16, 1
	s_movk_i32 s0, 0x7fff
	v_add3_u32 v1, v14, v1, s0
	v_lshrrev_b32_e32 v1, 16, v1
	v_mov_b32_e32 v3, 0x7fc0
	v_cmp_o_f32_e32 vcc, v14, v14
	v_cndmask_b32_e32 v1, v3, v1, vcc
	global_store_short v[4:5], v1, off
	s_mov_b64 s[0:1], 0
	s_mov_b64 s[6:7], -1
.LBB73_3005:
	s_mov_b64 s[10:11], 0
.LBB73_3006:
	s_mov_b64 s[2:3], 0
	s_and_b64 vcc, exec, s[10:11]
	s_cbranch_vccz .LBB73_3008
; %bb.3007:
	v_mov_b32_e32 v1, 11
	v_cmp_ne_u16_sdwa s[0:1], s18, v1 src0_sel:BYTE_0 src1_sel:DWORD
	s_mov_b64 s[2:3], -1
.LBB73_3008:
	s_and_b64 vcc, exec, s[0:1]
	s_cbranch_vccnz .LBB73_3064
; %bb.3009:
	s_andn2_b64 vcc, exec, s[2:3]
	s_cbranch_vccnz .LBB73_3011
.LBB73_3010:
	v_cmp_neq_f32_e32 vcc, 0, v14
	v_cndmask_b32_e64 v1, 0, 1, vcc
	s_mov_b64 s[6:7], -1
	global_store_byte v[4:5], v1, off
.LBB73_3011:
	s_mov_b64 s[0:1], 0
.LBB73_3012:
	s_and_b64 vcc, exec, s[0:1]
	s_cbranch_vccz .LBB73_3051
; %bb.3013:
	v_mov_b32_e32 v1, 5
	v_cmp_lt_i16_sdwa s[2:3], s18, v1 src0_sel:BYTE_0 src1_sel:DWORD
	s_mov_b64 s[0:1], -1
	s_and_b64 vcc, exec, s[2:3]
	s_cbranch_vccnz .LBB73_3034
; %bb.3014:
	v_mov_b32_e32 v1, 8
	v_cmp_lt_i16_sdwa s[2:3], s18, v1 src0_sel:BYTE_0 src1_sel:DWORD
	s_and_b64 vcc, exec, s[2:3]
	s_cbranch_vccnz .LBB73_3024
; %bb.3015:
	v_mov_b32_e32 v1, 9
	v_cmp_lt_i16_sdwa s[2:3], s18, v1 src0_sel:BYTE_0 src1_sel:DWORD
	s_and_b64 vcc, exec, s[2:3]
	s_cbranch_vccnz .LBB73_3021
; %bb.3016:
	v_cmp_gt_i16_sdwa s[2:3], s18, v1 src0_sel:BYTE_0 src1_sel:DWORD
	s_and_b64 vcc, exec, s[2:3]
	s_cbranch_vccz .LBB73_3018
; %bb.3017:
	v_mov_b32_e32 v12, 0
	v_cvt_f64_f32_e32 v[10:11], v14
	v_mov_b32_e32 v13, v12
	global_store_dwordx4 v[4:5], v[10:13], off
	s_mov_b64 s[0:1], 0
.LBB73_3018:
	s_andn2_b64 vcc, exec, s[0:1]
	s_cbranch_vccnz .LBB73_3020
; %bb.3019:
	v_mov_b32_e32 v15, 0
	global_store_dwordx2 v[4:5], v[14:15], off
.LBB73_3020:
	s_mov_b64 s[0:1], 0
.LBB73_3021:
	s_andn2_b64 vcc, exec, s[0:1]
	s_cbranch_vccnz .LBB73_3023
; %bb.3022:
	v_cvt_f16_f32_e32 v1, v14
	global_store_dword v[4:5], v1, off
.LBB73_3023:
	s_mov_b64 s[0:1], 0
.LBB73_3024:
	s_andn2_b64 vcc, exec, s[0:1]
	s_cbranch_vccnz .LBB73_3033
; %bb.3025:
	v_mov_b32_e32 v1, 6
	v_cmp_lt_i16_sdwa s[2:3], s18, v1 src0_sel:BYTE_0 src1_sel:DWORD
	s_mov_b64 s[0:1], -1
	s_and_b64 vcc, exec, s[2:3]
	s_cbranch_vccnz .LBB73_3031
; %bb.3026:
	v_cmp_gt_i16_sdwa s[2:3], s18, v1 src0_sel:BYTE_0 src1_sel:DWORD
	s_and_b64 vcc, exec, s[2:3]
	s_cbranch_vccz .LBB73_3028
; %bb.3027:
	v_cvt_f64_f32_e32 v[6:7], v14
	global_store_dwordx2 v[4:5], v[6:7], off
	s_mov_b64 s[0:1], 0
.LBB73_3028:
	s_andn2_b64 vcc, exec, s[0:1]
	s_cbranch_vccnz .LBB73_3030
; %bb.3029:
	global_store_dword v[4:5], v14, off
.LBB73_3030:
	s_mov_b64 s[0:1], 0
.LBB73_3031:
	s_andn2_b64 vcc, exec, s[0:1]
	s_cbranch_vccnz .LBB73_3033
; %bb.3032:
	v_cvt_f16_f32_e32 v1, v14
	global_store_short v[4:5], v1, off
.LBB73_3033:
	s_mov_b64 s[0:1], 0
.LBB73_3034:
	s_andn2_b64 vcc, exec, s[0:1]
	s_cbranch_vccnz .LBB73_3050
; %bb.3035:
	v_mov_b32_e32 v1, 2
	v_cmp_lt_i16_sdwa s[2:3], s18, v1 src0_sel:BYTE_0 src1_sel:DWORD
	s_mov_b64 s[0:1], -1
	s_and_b64 vcc, exec, s[2:3]
	s_cbranch_vccnz .LBB73_3045
; %bb.3036:
	v_mov_b32_e32 v1, 3
	v_cmp_lt_i16_sdwa s[2:3], s18, v1 src0_sel:BYTE_0 src1_sel:DWORD
	s_and_b64 vcc, exec, s[2:3]
	s_cbranch_vccnz .LBB73_3042
; %bb.3037:
	v_cmp_gt_i16_sdwa s[2:3], s18, v1 src0_sel:BYTE_0 src1_sel:DWORD
	s_and_b64 vcc, exec, s[2:3]
	s_cbranch_vccz .LBB73_3039
; %bb.3038:
	v_trunc_f32_e32 v1, v14
	s_mov_b32 s0, 0x2f800000
	v_mul_f32_e64 v3, |v1|, s0
	v_floor_f32_e32 v3, v3
	s_mov_b32 s0, 0xcf800000
	v_cvt_u32_f32_e32 v6, v3
	v_fma_f32 v3, v3, s0, |v1|
	v_cvt_u32_f32_e32 v3, v3
	v_ashrrev_i32_e32 v1, 31, v1
	v_xor_b32_e32 v7, v6, v1
	s_mov_b64 s[0:1], 0
	v_xor_b32_e32 v3, v3, v1
	v_sub_co_u32_e32 v6, vcc, v3, v1
	v_subb_co_u32_e32 v7, vcc, v7, v1, vcc
	global_store_dwordx2 v[4:5], v[6:7], off
.LBB73_3039:
	s_andn2_b64 vcc, exec, s[0:1]
	s_cbranch_vccnz .LBB73_3041
; %bb.3040:
	v_cvt_i32_f32_e32 v1, v14
	global_store_dword v[4:5], v1, off
.LBB73_3041:
	s_mov_b64 s[0:1], 0
.LBB73_3042:
	s_andn2_b64 vcc, exec, s[0:1]
	s_cbranch_vccnz .LBB73_3044
; %bb.3043:
	v_cvt_i32_f32_e32 v1, v14
	global_store_short v[4:5], v1, off
.LBB73_3044:
	s_mov_b64 s[0:1], 0
.LBB73_3045:
	s_andn2_b64 vcc, exec, s[0:1]
	s_cbranch_vccnz .LBB73_3050
; %bb.3046:
	v_mov_b32_e32 v1, 0
	v_cmp_gt_i16_sdwa s[2:3], s18, v1 src0_sel:BYTE_0 src1_sel:DWORD
	s_mov_b64 s[0:1], -1
	s_and_b64 vcc, exec, s[2:3]
	s_cbranch_vccz .LBB73_3048
; %bb.3047:
	v_cvt_i32_f32_e32 v1, v14
	s_mov_b64 s[0:1], 0
	global_store_byte v[4:5], v1, off
.LBB73_3048:
	s_andn2_b64 vcc, exec, s[0:1]
	s_cbranch_vccnz .LBB73_3050
; %bb.3049:
	v_trunc_f32_e32 v1, v14
	s_mov_b32 s0, 0x2f800000
	v_mul_f32_e64 v3, |v1|, s0
	v_floor_f32_e32 v3, v3
	s_mov_b32 s0, 0xcf800000
	v_fma_f32 v3, v3, s0, |v1|
	v_cvt_u32_f32_e32 v3, v3
	v_ashrrev_i32_e32 v1, 31, v1
	v_xor_b32_e32 v3, v3, v1
	v_sub_u32_e32 v1, v3, v1
	global_store_byte v[4:5], v1, off
.LBB73_3050:
	s_mov_b64 s[6:7], -1
.LBB73_3051:
	s_andn2_b64 vcc, exec, s[6:7]
	s_cbranch_vccnz .LBB73_3255
; %bb.3052:
	v_mov_b32_e32 v1, s9
	v_add_co_u32_e32 v2, vcc, s8, v2
	v_addc_co_u32_e32 v3, vcc, 0, v1, vcc
	v_mov_b32_e32 v1, 11
	v_cmp_lt_i16_sdwa s[0:1], s18, v1 src0_sel:BYTE_0 src1_sel:DWORD
	s_and_b64 vcc, exec, s[0:1]
	s_cbranch_vccnz .LBB73_3059
; %bb.3053:
	v_mov_b32_e32 v1, 25
	v_cmp_gt_i16_sdwa s[0:1], s18, v1 src0_sel:BYTE_0 src1_sel:DWORD
	s_mov_b64 s[10:11], -1
	s_mov_b64 s[2:3], 0
	s_and_b64 vcc, exec, s[0:1]
	s_mov_b64 s[6:7], 0
	s_mov_b64 s[0:1], 0
	s_cbranch_vccz .LBB73_3095
; %bb.3054:
	v_mov_b32_e32 v1, 28
	v_cmp_gt_i16_sdwa s[0:1], s18, v1 src0_sel:BYTE_0 src1_sel:DWORD
	s_and_b64 vcc, exec, s[0:1]
	s_cbranch_vccz .LBB73_3060
; %bb.3055:
	v_mov_b32_e32 v1, 43
	v_cmp_gt_i16_sdwa s[0:1], s18, v1 src0_sel:BYTE_0 src1_sel:DWORD
	s_and_b64 vcc, exec, s[0:1]
	;; [unrolled: 5-line block ×3, first 2 shown]
	s_cbranch_vccz .LBB73_3067
; %bb.3057:
	v_mov_b32_e32 v1, 46
	v_cmp_eq_u16_sdwa s[6:7], s18, v1 src0_sel:BYTE_0 src1_sel:DWORD
	s_mov_b64 s[0:1], -1
	s_mov_b64 s[10:11], 0
	s_and_b64 vcc, exec, s[6:7]
	s_mov_b64 s[6:7], 0
	s_cbranch_vccz .LBB73_3068
; %bb.3058:
	v_bfe_u32 v1, v16, 16, 1
	s_movk_i32 s0, 0x7fff
	v_add3_u32 v1, v16, v1, s0
	v_lshrrev_b32_e32 v1, 16, v1
	v_mov_b32_e32 v4, 0x7fc0
	v_cmp_o_f32_e32 vcc, v16, v16
	v_cndmask_b32_e32 v1, v4, v1, vcc
	global_store_dword v[2:3], v1, off
	s_mov_b64 s[0:1], 0
	s_mov_b64 s[6:7], -1
	s_branch .LBB73_3068
.LBB73_3059:
	s_mov_b64 s[0:1], -1
	s_mov_b64 s[6:7], 0
	s_branch .LBB73_3139
.LBB73_3060:
	s_mov_b64 s[0:1], 0
	s_branch .LBB73_3078
.LBB73_3061:
	s_or_saveexec_b64 s[16:17], s[16:17]
                                        ; implicit-def: $sgpr19
	s_xor_b64 exec, exec, s[16:17]
	s_cbranch_execz .LBB73_2962
.LBB73_3062:
	s_mov_b32 s19, 0x46000000
	v_add_f32_e64 v1, |v14|, s19
	v_and_b32_e32 v1, 0xff, v1
	v_cmp_ne_u32_e32 vcc, 0, v1
	s_andn2_b64 s[10:11], s[10:11], exec
	s_and_b64 s[20:21], vcc, exec
	s_mov_b32 s19, 0
	s_or_b64 s[10:11], s[10:11], s[20:21]
	s_or_b64 exec, exec, s[16:17]
	v_mov_b32_e32 v3, s19
	s_and_saveexec_b64 s[16:17], s[10:11]
	s_cbranch_execnz .LBB73_2963
	s_branch .LBB73_2964
.LBB73_3063:
	s_mov_b64 s[0:1], 0
	s_branch .LBB73_3074
.LBB73_3064:
	s_trap 2
	s_or_b64 s[4:5], s[4:5], exec
	s_cbranch_execz .LBB73_3010
	s_branch .LBB73_3011
.LBB73_3065:
	s_or_saveexec_b64 s[10:11], s[10:11]
                                        ; implicit-def: $sgpr16
	s_xor_b64 exec, exec, s[10:11]
	s_cbranch_execz .LBB73_2975
.LBB73_3066:
	s_mov_b32 s16, 0x42800000
	v_add_f32_e64 v1, |v14|, s16
	v_and_b32_e32 v1, 0xff, v1
	v_cmp_ne_u32_e32 vcc, 0, v1
	s_andn2_b64 s[6:7], s[6:7], exec
	s_and_b64 s[20:21], vcc, exec
	s_mov_b32 s16, 0
	s_or_b64 s[6:7], s[6:7], s[20:21]
	s_or_b64 exec, exec, s[10:11]
	v_mov_b32_e32 v3, s16
	s_and_saveexec_b64 s[10:11], s[6:7]
	s_cbranch_execnz .LBB73_2976
	s_branch .LBB73_2977
.LBB73_3067:
	s_mov_b64 s[0:1], 0
.LBB73_3068:
	s_and_b64 vcc, exec, s[10:11]
	s_cbranch_vccz .LBB73_3073
; %bb.3069:
	v_mov_b32_e32 v1, 44
	v_cmp_eq_u16_sdwa s[10:11], s18, v1 src0_sel:BYTE_0 src1_sel:DWORD
	s_mov_b64 s[0:1], -1
	s_and_b64 vcc, exec, s[10:11]
	s_cbranch_vccz .LBB73_3073
; %bb.3070:
	v_bfe_u32 v1, v16, 23, 8
	s_movk_i32 s0, 0xff
	v_cmp_ne_u32_e32 vcc, s0, v1
	v_mov_b32_e32 v4, 0xff
	s_and_saveexec_b64 s[6:7], vcc
; %bb.3071:
	s_mov_b32 s0, 0x3fffff
	v_and_b32_e32 v5, 0x400000, v16
	v_and_or_b32 v1, v16, s0, v1
	v_cmp_ne_u32_e32 vcc, 0, v5
	v_cmp_ne_u32_e64 s[0:1], 0, v1
	s_and_b64 s[0:1], vcc, s[0:1]
	v_lshrrev_b32_e32 v4, 23, v16
	v_cndmask_b32_e64 v1, 0, 1, s[0:1]
	v_add_u32_e32 v4, v4, v1
; %bb.3072:
	s_or_b64 exec, exec, s[6:7]
	s_mov_b64 s[0:1], 0
	s_mov_b64 s[6:7], -1
	global_store_byte v[2:3], v4, off
.LBB73_3073:
	s_mov_b64 s[10:11], 0
.LBB73_3074:
	s_and_b64 vcc, exec, s[10:11]
	s_cbranch_vccz .LBB73_3077
; %bb.3075:
	v_mov_b32_e32 v1, 29
	v_cmp_eq_u16_sdwa s[10:11], s18, v1 src0_sel:BYTE_0 src1_sel:DWORD
	s_mov_b64 s[0:1], -1
	s_and_b64 vcc, exec, s[10:11]
	s_cbranch_vccz .LBB73_3077
; %bb.3076:
	v_trunc_f32_e32 v1, v16
	v_mul_f32_e32 v4, 0x2f800000, v1
	v_floor_f32_e32 v4, v4
	v_fmac_f32_e32 v1, 0xcf800000, v4
	v_cvt_u32_f32_e32 v5, v4
	v_cvt_u32_f32_e32 v4, v1
	s_mov_b64 s[0:1], 0
	s_mov_b64 s[6:7], -1
	s_mov_b64 s[10:11], 0
	global_store_dwordx2 v[2:3], v[4:5], off
	s_branch .LBB73_3078
.LBB73_3077:
	s_mov_b64 s[10:11], 0
.LBB73_3078:
	s_and_b64 vcc, exec, s[10:11]
	s_cbranch_vccz .LBB73_3094
; %bb.3079:
	v_mov_b32_e32 v1, 27
	v_cmp_lt_i16_sdwa s[10:11], s18, v1 src0_sel:BYTE_0 src1_sel:DWORD
	s_mov_b64 s[6:7], -1
	s_and_b64 vcc, exec, s[10:11]
	s_cbranch_vccnz .LBB73_3085
; %bb.3080:
	v_cmp_gt_i16_sdwa s[10:11], s18, v1 src0_sel:BYTE_0 src1_sel:DWORD
	s_and_b64 vcc, exec, s[10:11]
	s_cbranch_vccz .LBB73_3082
; %bb.3081:
	v_cvt_u32_f32_e32 v1, v16
	s_mov_b64 s[6:7], 0
	global_store_dword v[2:3], v1, off
.LBB73_3082:
	s_andn2_b64 vcc, exec, s[6:7]
	s_cbranch_vccnz .LBB73_3084
; %bb.3083:
	v_cvt_u32_f32_e32 v1, v16
	global_store_short v[2:3], v1, off
.LBB73_3084:
	s_mov_b64 s[6:7], 0
.LBB73_3085:
	s_andn2_b64 vcc, exec, s[6:7]
	s_cbranch_vccnz .LBB73_3093
; %bb.3086:
	v_and_b32_e32 v1, 0x7fffffff, v16
	s_mov_b32 s6, 0x43800000
	v_cmp_gt_u32_e32 vcc, s6, v1
	v_mov_b32_e32 v4, 0x80
	s_and_saveexec_b64 s[6:7], vcc
	s_cbranch_execz .LBB73_3092
; %bb.3087:
	s_mov_b32 s10, 0x3bffffff
	v_cmp_lt_u32_e32 vcc, s10, v1
	s_mov_b64 s[10:11], 0
                                        ; implicit-def: $vgpr1
	s_and_saveexec_b64 s[16:17], vcc
	s_xor_b64 s[16:17], exec, s[16:17]
	s_cbranch_execz .LBB73_3257
; %bb.3088:
	v_bfe_u32 v1, v16, 20, 1
	s_mov_b32 s19, 0x487ffff
	v_add3_u32 v1, v16, v1, s19
	s_mov_b64 s[10:11], exec
	v_lshrrev_b32_e32 v1, 20, v1
	s_or_saveexec_b64 s[16:17], s[16:17]
                                        ; implicit-def: $sgpr19
	s_xor_b64 exec, exec, s[16:17]
	s_cbranch_execnz .LBB73_3258
.LBB73_3089:
	s_or_b64 exec, exec, s[16:17]
	v_mov_b32_e32 v4, s19
	s_and_saveexec_b64 s[16:17], s[10:11]
.LBB73_3090:
	v_lshrrev_b32_e32 v4, 24, v16
	s_movk_i32 s10, 0x80
	v_and_or_b32 v4, v4, s10, v1
.LBB73_3091:
	s_or_b64 exec, exec, s[16:17]
.LBB73_3092:
	s_or_b64 exec, exec, s[6:7]
	global_store_byte v[2:3], v4, off
.LBB73_3093:
	s_mov_b64 s[6:7], -1
.LBB73_3094:
	s_mov_b64 s[10:11], 0
.LBB73_3095:
	s_and_b64 vcc, exec, s[10:11]
	s_cbranch_vccz .LBB73_3135
; %bb.3096:
	v_mov_b32_e32 v1, 22
	v_cmp_gt_i16_sdwa s[10:11], s18, v1 src0_sel:BYTE_0 src1_sel:DWORD
	s_mov_b64 s[2:3], -1
	s_and_b64 vcc, exec, s[10:11]
	s_cbranch_vccz .LBB73_3128
; %bb.3097:
	v_mov_b32_e32 v1, 24
	v_cmp_lt_i16_sdwa s[6:7], s18, v1 src0_sel:BYTE_0 src1_sel:DWORD
	s_and_b64 vcc, exec, s[6:7]
	s_cbranch_vccnz .LBB73_3117
; %bb.3098:
	v_cmp_gt_i16_sdwa s[6:7], s18, v1 src0_sel:BYTE_0 src1_sel:DWORD
	s_and_b64 vcc, exec, s[6:7]
	s_cbranch_vccz .LBB73_3106
; %bb.3099:
	v_and_b32_e32 v1, 0x7fffffff, v16
	s_mov_b32 s2, 0x47800000
	v_cmp_gt_u32_e32 vcc, s2, v1
	v_mov_b32_e32 v4, 0x80
	s_and_saveexec_b64 s[2:3], vcc
	s_cbranch_execz .LBB73_3105
; %bb.3100:
	s_mov_b32 s6, 0x37ffffff
	v_cmp_lt_u32_e32 vcc, s6, v1
	s_mov_b64 s[6:7], 0
                                        ; implicit-def: $vgpr1
	s_and_saveexec_b64 s[10:11], vcc
	s_xor_b64 s[10:11], exec, s[10:11]
	s_cbranch_execz .LBB73_3260
; %bb.3101:
	v_bfe_u32 v1, v16, 21, 1
	s_mov_b32 s16, 0x88fffff
	v_add3_u32 v1, v16, v1, s16
	s_mov_b64 s[6:7], exec
	v_lshrrev_b32_e32 v1, 21, v1
	s_or_saveexec_b64 s[10:11], s[10:11]
                                        ; implicit-def: $sgpr16
	s_xor_b64 exec, exec, s[10:11]
	s_cbranch_execnz .LBB73_3261
.LBB73_3102:
	s_or_b64 exec, exec, s[10:11]
	v_mov_b32_e32 v4, s16
	s_and_saveexec_b64 s[10:11], s[6:7]
.LBB73_3103:
	v_lshrrev_b32_e32 v4, 24, v16
	s_movk_i32 s6, 0x80
	v_and_or_b32 v4, v4, s6, v1
.LBB73_3104:
	s_or_b64 exec, exec, s[10:11]
.LBB73_3105:
	s_or_b64 exec, exec, s[2:3]
	s_mov_b64 s[2:3], 0
	global_store_byte v[2:3], v4, off
.LBB73_3106:
	s_and_b64 vcc, exec, s[2:3]
	s_cbranch_vccz .LBB73_3116
; %bb.3107:
	v_and_b32_e32 v4, 0x7fffffff, v16
	s_mov_b32 s2, 0x43f00000
	v_cmp_gt_u32_e32 vcc, s2, v4
                                        ; implicit-def: $vgpr1
	s_and_saveexec_b64 s[2:3], vcc
	s_xor_b64 s[2:3], exec, s[2:3]
	s_cbranch_execz .LBB73_3113
; %bb.3108:
	s_mov_b32 s6, 0x3c7fffff
	v_cmp_lt_u32_e32 vcc, s6, v4
                                        ; implicit-def: $vgpr1
	s_and_saveexec_b64 s[6:7], vcc
	s_xor_b64 s[6:7], exec, s[6:7]
; %bb.3109:
	v_bfe_u32 v1, v16, 20, 1
	s_mov_b32 s10, 0x407ffff
	v_add3_u32 v1, v16, v1, s10
	v_lshrrev_b32_e32 v4, 20, v1
	v_and_b32_e32 v1, 0xff00000, v1
	s_mov_b32 s10, 0x7f00000
	v_mov_b32_e32 v5, 0x7e
	v_cmp_ne_u32_e32 vcc, s10, v1
	v_cndmask_b32_e32 v1, v5, v4, vcc
; %bb.3110:
	s_andn2_saveexec_b64 s[6:7], s[6:7]
; %bb.3111:
	s_mov_b32 s10, 0x46800000
	v_add_f32_e64 v1, |v16|, s10
; %bb.3112:
	s_or_b64 exec, exec, s[6:7]
                                        ; implicit-def: $vgpr4
.LBB73_3113:
	s_andn2_saveexec_b64 s[2:3], s[2:3]
; %bb.3114:
	s_mov_b32 s6, 0x7f800000
	v_mov_b32_e32 v1, 0x7e
	v_mov_b32_e32 v5, 0x7f
	v_cmp_lt_u32_e32 vcc, s6, v4
	v_cndmask_b32_e32 v1, v1, v5, vcc
; %bb.3115:
	s_or_b64 exec, exec, s[2:3]
	v_lshrrev_b32_e32 v4, 24, v16
	s_movk_i32 s2, 0x80
	v_and_or_b32 v1, v4, s2, v1
	global_store_byte v[2:3], v1, off
.LBB73_3116:
	s_mov_b64 s[2:3], 0
.LBB73_3117:
	s_andn2_b64 vcc, exec, s[2:3]
	s_cbranch_vccnz .LBB73_3127
; %bb.3118:
	v_and_b32_e32 v4, 0x7fffffff, v16
	s_mov_b32 s2, 0x47800000
	v_cmp_gt_u32_e32 vcc, s2, v4
                                        ; implicit-def: $vgpr1
	s_and_saveexec_b64 s[2:3], vcc
	s_xor_b64 s[2:3], exec, s[2:3]
	s_cbranch_execz .LBB73_3124
; %bb.3119:
	s_mov_b32 s6, 0x387fffff
	v_cmp_lt_u32_e32 vcc, s6, v4
                                        ; implicit-def: $vgpr1
	s_and_saveexec_b64 s[6:7], vcc
	s_xor_b64 s[6:7], exec, s[6:7]
; %bb.3120:
	v_bfe_u32 v1, v16, 21, 1
	s_mov_b32 s10, 0x80fffff
	v_add3_u32 v1, v16, v1, s10
	v_lshrrev_b32_e32 v1, 21, v1
; %bb.3121:
	s_andn2_saveexec_b64 s[6:7], s[6:7]
; %bb.3122:
	s_mov_b32 s10, 0x43000000
	v_add_f32_e64 v1, |v16|, s10
; %bb.3123:
	s_or_b64 exec, exec, s[6:7]
                                        ; implicit-def: $vgpr4
.LBB73_3124:
	s_andn2_saveexec_b64 s[2:3], s[2:3]
; %bb.3125:
	s_mov_b32 s6, 0x7f800000
	v_mov_b32_e32 v1, 0x7c
	v_mov_b32_e32 v5, 0x7f
	v_cmp_lt_u32_e32 vcc, s6, v4
	v_cndmask_b32_e32 v1, v1, v5, vcc
; %bb.3126:
	s_or_b64 exec, exec, s[2:3]
	v_lshrrev_b32_e32 v4, 24, v16
	s_movk_i32 s2, 0x80
	v_and_or_b32 v1, v4, s2, v1
	global_store_byte v[2:3], v1, off
.LBB73_3127:
	s_mov_b64 s[2:3], 0
	s_mov_b64 s[6:7], -1
.LBB73_3128:
	s_andn2_b64 vcc, exec, s[2:3]
	s_mov_b64 s[2:3], 0
	s_cbranch_vccnz .LBB73_3135
; %bb.3129:
	v_mov_b32_e32 v1, 14
	v_cmp_gt_i16_sdwa s[2:3], s18, v1 src0_sel:BYTE_0 src1_sel:DWORD
	s_mov_b64 s[10:11], -1
	s_and_b64 vcc, exec, s[2:3]
	s_cbranch_vccz .LBB73_3133
; %bb.3130:
	v_mov_b32_e32 v1, 15
	v_cmp_eq_u16_sdwa s[2:3], s18, v1 src0_sel:BYTE_0 src1_sel:DWORD
	s_mov_b64 s[0:1], -1
	s_and_b64 vcc, exec, s[2:3]
	s_cbranch_vccz .LBB73_3132
; %bb.3131:
	v_bfe_u32 v1, v16, 16, 1
	s_movk_i32 s0, 0x7fff
	v_add3_u32 v1, v16, v1, s0
	v_lshrrev_b32_e32 v1, 16, v1
	v_mov_b32_e32 v4, 0x7fc0
	v_cmp_o_f32_e32 vcc, v16, v16
	v_cndmask_b32_e32 v1, v4, v1, vcc
	global_store_short v[2:3], v1, off
	s_mov_b64 s[0:1], 0
	s_mov_b64 s[6:7], -1
.LBB73_3132:
	s_mov_b64 s[10:11], 0
.LBB73_3133:
	s_mov_b64 s[2:3], 0
	s_and_b64 vcc, exec, s[10:11]
	s_cbranch_vccz .LBB73_3135
; %bb.3134:
	v_mov_b32_e32 v1, 11
	v_cmp_ne_u16_sdwa s[0:1], s18, v1 src0_sel:BYTE_0 src1_sel:DWORD
	s_mov_b64 s[2:3], -1
.LBB73_3135:
	s_and_b64 vcc, exec, s[0:1]
	s_cbranch_vccnz .LBB73_3259
; %bb.3136:
	s_andn2_b64 vcc, exec, s[2:3]
	s_cbranch_vccnz .LBB73_3138
.LBB73_3137:
	v_cmp_neq_f32_e32 vcc, 0, v16
	v_cndmask_b32_e64 v1, 0, 1, vcc
	s_mov_b64 s[6:7], -1
	global_store_byte v[2:3], v1, off
.LBB73_3138:
	s_mov_b64 s[0:1], 0
.LBB73_3139:
	s_and_b64 vcc, exec, s[0:1]
	s_cbranch_vccz .LBB73_3178
; %bb.3140:
	v_mov_b32_e32 v1, 5
	v_cmp_lt_i16_sdwa s[2:3], s18, v1 src0_sel:BYTE_0 src1_sel:DWORD
	s_mov_b64 s[0:1], -1
	s_and_b64 vcc, exec, s[2:3]
	s_cbranch_vccnz .LBB73_3161
; %bb.3141:
	v_mov_b32_e32 v1, 8
	v_cmp_lt_i16_sdwa s[2:3], s18, v1 src0_sel:BYTE_0 src1_sel:DWORD
	s_and_b64 vcc, exec, s[2:3]
	s_cbranch_vccnz .LBB73_3151
; %bb.3142:
	v_mov_b32_e32 v1, 9
	v_cmp_lt_i16_sdwa s[2:3], s18, v1 src0_sel:BYTE_0 src1_sel:DWORD
	s_and_b64 vcc, exec, s[2:3]
	s_cbranch_vccnz .LBB73_3148
; %bb.3143:
	v_cmp_gt_i16_sdwa s[2:3], s18, v1 src0_sel:BYTE_0 src1_sel:DWORD
	s_and_b64 vcc, exec, s[2:3]
	s_cbranch_vccz .LBB73_3145
; %bb.3144:
	v_mov_b32_e32 v6, 0
	v_cvt_f64_f32_e32 v[4:5], v16
	v_mov_b32_e32 v7, v6
	global_store_dwordx4 v[2:3], v[4:7], off
	s_mov_b64 s[0:1], 0
.LBB73_3145:
	s_andn2_b64 vcc, exec, s[0:1]
	s_cbranch_vccnz .LBB73_3147
; %bb.3146:
	v_mov_b32_e32 v17, 0
	global_store_dwordx2 v[2:3], v[16:17], off
.LBB73_3147:
	s_mov_b64 s[0:1], 0
.LBB73_3148:
	s_andn2_b64 vcc, exec, s[0:1]
	s_cbranch_vccnz .LBB73_3150
; %bb.3149:
	v_cvt_f16_f32_e32 v1, v16
	global_store_dword v[2:3], v1, off
.LBB73_3150:
	s_mov_b64 s[0:1], 0
.LBB73_3151:
	s_andn2_b64 vcc, exec, s[0:1]
	s_cbranch_vccnz .LBB73_3160
; %bb.3152:
	v_mov_b32_e32 v1, 6
	v_cmp_lt_i16_sdwa s[2:3], s18, v1 src0_sel:BYTE_0 src1_sel:DWORD
	s_mov_b64 s[0:1], -1
	s_and_b64 vcc, exec, s[2:3]
	s_cbranch_vccnz .LBB73_3158
; %bb.3153:
	v_cmp_gt_i16_sdwa s[2:3], s18, v1 src0_sel:BYTE_0 src1_sel:DWORD
	s_and_b64 vcc, exec, s[2:3]
	s_cbranch_vccz .LBB73_3155
; %bb.3154:
	v_cvt_f64_f32_e32 v[4:5], v16
	global_store_dwordx2 v[2:3], v[4:5], off
	s_mov_b64 s[0:1], 0
.LBB73_3155:
	s_andn2_b64 vcc, exec, s[0:1]
	s_cbranch_vccnz .LBB73_3157
; %bb.3156:
	global_store_dword v[2:3], v16, off
.LBB73_3157:
	s_mov_b64 s[0:1], 0
.LBB73_3158:
	s_andn2_b64 vcc, exec, s[0:1]
	s_cbranch_vccnz .LBB73_3160
; %bb.3159:
	v_cvt_f16_f32_e32 v1, v16
	global_store_short v[2:3], v1, off
.LBB73_3160:
	s_mov_b64 s[0:1], 0
.LBB73_3161:
	s_andn2_b64 vcc, exec, s[0:1]
	s_cbranch_vccnz .LBB73_3177
; %bb.3162:
	v_mov_b32_e32 v1, 2
	v_cmp_lt_i16_sdwa s[2:3], s18, v1 src0_sel:BYTE_0 src1_sel:DWORD
	s_mov_b64 s[0:1], -1
	s_and_b64 vcc, exec, s[2:3]
	s_cbranch_vccnz .LBB73_3172
; %bb.3163:
	v_mov_b32_e32 v1, 3
	v_cmp_lt_i16_sdwa s[2:3], s18, v1 src0_sel:BYTE_0 src1_sel:DWORD
	s_and_b64 vcc, exec, s[2:3]
	s_cbranch_vccnz .LBB73_3169
; %bb.3164:
	v_cmp_gt_i16_sdwa s[2:3], s18, v1 src0_sel:BYTE_0 src1_sel:DWORD
	s_and_b64 vcc, exec, s[2:3]
	s_cbranch_vccz .LBB73_3166
; %bb.3165:
	v_trunc_f32_e32 v1, v16
	s_mov_b32 s0, 0x2f800000
	v_mul_f32_e64 v4, |v1|, s0
	v_floor_f32_e32 v4, v4
	s_mov_b32 s0, 0xcf800000
	v_cvt_u32_f32_e32 v5, v4
	v_fma_f32 v4, v4, s0, |v1|
	v_cvt_u32_f32_e32 v4, v4
	v_ashrrev_i32_e32 v1, 31, v1
	v_xor_b32_e32 v5, v5, v1
	s_mov_b64 s[0:1], 0
	v_xor_b32_e32 v4, v4, v1
	v_sub_co_u32_e32 v4, vcc, v4, v1
	v_subb_co_u32_e32 v5, vcc, v5, v1, vcc
	global_store_dwordx2 v[2:3], v[4:5], off
.LBB73_3166:
	s_andn2_b64 vcc, exec, s[0:1]
	s_cbranch_vccnz .LBB73_3168
; %bb.3167:
	v_cvt_i32_f32_e32 v1, v16
	global_store_dword v[2:3], v1, off
.LBB73_3168:
	s_mov_b64 s[0:1], 0
.LBB73_3169:
	s_andn2_b64 vcc, exec, s[0:1]
	s_cbranch_vccnz .LBB73_3171
; %bb.3170:
	v_cvt_i32_f32_e32 v1, v16
	global_store_short v[2:3], v1, off
.LBB73_3171:
	s_mov_b64 s[0:1], 0
.LBB73_3172:
	s_andn2_b64 vcc, exec, s[0:1]
	s_cbranch_vccnz .LBB73_3177
; %bb.3173:
	v_mov_b32_e32 v1, 0
	v_cmp_gt_i16_sdwa s[2:3], s18, v1 src0_sel:BYTE_0 src1_sel:DWORD
	s_mov_b64 s[0:1], -1
	s_and_b64 vcc, exec, s[2:3]
	s_cbranch_vccz .LBB73_3175
; %bb.3174:
	v_cvt_i32_f32_e32 v1, v16
	s_mov_b64 s[0:1], 0
	global_store_byte v[2:3], v1, off
.LBB73_3175:
	s_andn2_b64 vcc, exec, s[0:1]
	s_cbranch_vccnz .LBB73_3177
; %bb.3176:
	v_trunc_f32_e32 v1, v16
	s_mov_b32 s0, 0x2f800000
	v_mul_f32_e64 v4, |v1|, s0
	v_floor_f32_e32 v4, v4
	s_mov_b32 s0, 0xcf800000
	v_fma_f32 v4, v4, s0, |v1|
	v_cvt_u32_f32_e32 v4, v4
	v_ashrrev_i32_e32 v1, 31, v1
	v_xor_b32_e32 v4, v4, v1
	v_sub_u32_e32 v1, v4, v1
	global_store_byte v[2:3], v1, off
.LBB73_3177:
	s_mov_b64 s[6:7], -1
.LBB73_3178:
	s_andn2_b64 vcc, exec, s[6:7]
	s_cbranch_vccnz .LBB73_3255
; %bb.3179:
	v_mov_b32_e32 v1, 0xff
	v_and_b32_e32 v2, s18, v1
	v_mov_b32_e32 v1, s9
	v_add_co_u32_e32 v0, vcc, s8, v0
	v_addc_co_u32_e32 v1, vcc, 0, v1, vcc
	v_cmp_gt_i16_e32 vcc, 11, v2
	s_cbranch_vccnz .LBB73_3256
; %bb.3180:
	v_cmp_lt_i16_e32 vcc, 25, v2
	s_mov_b64 s[6:7], -1
	s_mov_b64 s[2:3], 0
	s_mov_b64 s[0:1], 0
	s_cbranch_vccz .LBB73_3213
; %bb.3181:
	v_cmp_lt_i16_e32 vcc, 28, v2
	s_cbranch_vccz .LBB73_3197
; %bb.3182:
	v_cmp_lt_i16_e32 vcc, 43, v2
	s_cbranch_vccz .LBB73_3193
; %bb.3183:
	v_cmp_lt_i16_e32 vcc, 45, v2
	s_cbranch_vccz .LBB73_3187
; %bb.3184:
	v_cmp_eq_u16_e32 vcc, 46, v2
	s_mov_b64 s[0:1], -1
	s_cbranch_vccz .LBB73_3186
; %bb.3185:
	v_bfe_u32 v3, v8, 16, 1
	s_movk_i32 s0, 0x7fff
	v_add3_u32 v3, v8, v3, s0
	v_lshrrev_b32_e32 v3, 16, v3
	v_mov_b32_e32 v4, 0x7fc0
	v_cmp_o_f32_e32 vcc, v8, v8
	v_cndmask_b32_e32 v3, v4, v3, vcc
	global_store_dword v[0:1], v3, off
	s_mov_b64 s[0:1], 0
.LBB73_3186:
	s_mov_b64 s[6:7], 0
.LBB73_3187:
	s_and_b64 vcc, exec, s[6:7]
	s_cbranch_vccz .LBB73_3192
; %bb.3188:
	v_cmp_eq_u16_e32 vcc, 44, v2
	s_mov_b64 s[0:1], -1
	s_cbranch_vccz .LBB73_3192
; %bb.3189:
	v_bfe_u32 v3, v8, 23, 8
	s_movk_i32 s0, 0xff
	v_cmp_ne_u32_e32 vcc, s0, v3
	v_mov_b32_e32 v4, 0xff
	s_and_saveexec_b64 s[6:7], vcc
; %bb.3190:
	s_mov_b32 s0, 0x3fffff
	v_and_b32_e32 v5, 0x400000, v8
	v_and_or_b32 v3, v8, s0, v3
	v_cmp_ne_u32_e32 vcc, 0, v5
	v_cmp_ne_u32_e64 s[0:1], 0, v3
	s_and_b64 s[0:1], vcc, s[0:1]
	v_lshrrev_b32_e32 v4, 23, v8
	v_cndmask_b32_e64 v3, 0, 1, s[0:1]
	v_add_u32_e32 v4, v4, v3
; %bb.3191:
	s_or_b64 exec, exec, s[6:7]
	s_mov_b64 s[0:1], 0
	global_store_byte v[0:1], v4, off
.LBB73_3192:
	s_mov_b64 s[6:7], 0
.LBB73_3193:
	s_and_b64 vcc, exec, s[6:7]
	s_cbranch_vccz .LBB73_3196
; %bb.3194:
	v_cmp_eq_u16_e32 vcc, 29, v2
	s_mov_b64 s[0:1], -1
	s_cbranch_vccz .LBB73_3196
; %bb.3195:
	v_trunc_f32_e32 v3, v8
	v_mul_f32_e32 v4, 0x2f800000, v3
	v_floor_f32_e32 v4, v4
	v_fmac_f32_e32 v3, 0xcf800000, v4
	v_cvt_u32_f32_e32 v5, v4
	v_cvt_u32_f32_e32 v4, v3
	s_mov_b64 s[0:1], 0
	global_store_dwordx2 v[0:1], v[4:5], off
.LBB73_3196:
	s_mov_b64 s[6:7], 0
.LBB73_3197:
	s_and_b64 vcc, exec, s[6:7]
	s_cbranch_vccz .LBB73_3212
; %bb.3198:
	v_cmp_gt_i16_e32 vcc, 27, v2
	s_mov_b64 s[6:7], -1
	s_cbranch_vccnz .LBB73_3204
; %bb.3199:
	v_cvt_u32_f32_e32 v3, v8
	v_cmp_lt_i16_e32 vcc, 27, v2
	s_cbranch_vccz .LBB73_3201
; %bb.3200:
	global_store_dword v[0:1], v3, off
	s_mov_b64 s[6:7], 0
.LBB73_3201:
	s_andn2_b64 vcc, exec, s[6:7]
	s_cbranch_vccnz .LBB73_3203
; %bb.3202:
	global_store_short v[0:1], v3, off
.LBB73_3203:
	s_mov_b64 s[6:7], 0
.LBB73_3204:
	s_andn2_b64 vcc, exec, s[6:7]
	s_cbranch_vccnz .LBB73_3212
; %bb.3205:
	v_and_b32_e32 v3, 0x7fffffff, v8
	s_mov_b32 s6, 0x43800000
	v_cmp_gt_u32_e32 vcc, s6, v3
	v_mov_b32_e32 v4, 0x80
	s_and_saveexec_b64 s[6:7], vcc
	s_cbranch_execz .LBB73_3211
; %bb.3206:
	s_mov_b32 s8, 0x3bffffff
	v_cmp_lt_u32_e32 vcc, s8, v3
	s_mov_b64 s[8:9], 0
                                        ; implicit-def: $vgpr3
	s_and_saveexec_b64 s[10:11], vcc
	s_xor_b64 s[10:11], exec, s[10:11]
	s_cbranch_execz .LBB73_3262
; %bb.3207:
	v_bfe_u32 v3, v8, 20, 1
	s_mov_b32 s16, 0x487ffff
	v_add3_u32 v3, v8, v3, s16
	s_mov_b64 s[8:9], exec
	v_lshrrev_b32_e32 v3, 20, v3
	s_or_saveexec_b64 s[10:11], s[10:11]
                                        ; implicit-def: $sgpr16
	s_xor_b64 exec, exec, s[10:11]
	s_cbranch_execnz .LBB73_3263
.LBB73_3208:
	s_or_b64 exec, exec, s[10:11]
	v_mov_b32_e32 v4, s16
	s_and_saveexec_b64 s[10:11], s[8:9]
.LBB73_3209:
	v_lshrrev_b32_e32 v4, 24, v8
	s_movk_i32 s8, 0x80
	v_and_or_b32 v4, v4, s8, v3
.LBB73_3210:
	s_or_b64 exec, exec, s[10:11]
.LBB73_3211:
	s_or_b64 exec, exec, s[6:7]
	global_store_byte v[0:1], v4, off
.LBB73_3212:
	s_mov_b64 s[6:7], 0
.LBB73_3213:
	s_and_b64 vcc, exec, s[6:7]
	s_cbranch_vccz .LBB73_3253
; %bb.3214:
	v_cmp_lt_i16_e32 vcc, 22, v2
	s_mov_b64 s[2:3], -1
	s_cbranch_vccz .LBB73_3246
; %bb.3215:
	v_cmp_gt_i16_e32 vcc, 24, v2
	s_cbranch_vccnz .LBB73_3235
; %bb.3216:
	v_cmp_lt_i16_e32 vcc, 24, v2
	s_cbranch_vccz .LBB73_3224
; %bb.3217:
	v_and_b32_e32 v3, 0x7fffffff, v8
	s_mov_b32 s2, 0x47800000
	v_cmp_gt_u32_e32 vcc, s2, v3
	v_mov_b32_e32 v4, 0x80
	s_and_saveexec_b64 s[2:3], vcc
	s_cbranch_execz .LBB73_3223
; %bb.3218:
	s_mov_b32 s6, 0x37ffffff
	v_cmp_lt_u32_e32 vcc, s6, v3
	s_mov_b64 s[6:7], 0
                                        ; implicit-def: $vgpr3
	s_and_saveexec_b64 s[8:9], vcc
	s_xor_b64 s[8:9], exec, s[8:9]
	s_cbranch_execz .LBB73_3265
; %bb.3219:
	v_bfe_u32 v3, v8, 21, 1
	s_mov_b32 s10, 0x88fffff
	v_add3_u32 v3, v8, v3, s10
	s_mov_b64 s[6:7], exec
	v_lshrrev_b32_e32 v3, 21, v3
	s_or_saveexec_b64 s[8:9], s[8:9]
                                        ; implicit-def: $sgpr10
	s_xor_b64 exec, exec, s[8:9]
	s_cbranch_execnz .LBB73_3266
.LBB73_3220:
	s_or_b64 exec, exec, s[8:9]
	v_mov_b32_e32 v4, s10
	s_and_saveexec_b64 s[8:9], s[6:7]
.LBB73_3221:
	v_lshrrev_b32_e32 v4, 24, v8
	s_movk_i32 s6, 0x80
	v_and_or_b32 v4, v4, s6, v3
.LBB73_3222:
	s_or_b64 exec, exec, s[8:9]
.LBB73_3223:
	s_or_b64 exec, exec, s[2:3]
	s_mov_b64 s[2:3], 0
	global_store_byte v[0:1], v4, off
.LBB73_3224:
	s_and_b64 vcc, exec, s[2:3]
	s_cbranch_vccz .LBB73_3234
; %bb.3225:
	v_and_b32_e32 v4, 0x7fffffff, v8
	s_mov_b32 s2, 0x43f00000
	v_cmp_gt_u32_e32 vcc, s2, v4
                                        ; implicit-def: $vgpr3
	s_and_saveexec_b64 s[2:3], vcc
	s_xor_b64 s[2:3], exec, s[2:3]
	s_cbranch_execz .LBB73_3231
; %bb.3226:
	s_mov_b32 s6, 0x3c7fffff
	v_cmp_lt_u32_e32 vcc, s6, v4
                                        ; implicit-def: $vgpr3
	s_and_saveexec_b64 s[6:7], vcc
	s_xor_b64 s[6:7], exec, s[6:7]
; %bb.3227:
	v_bfe_u32 v3, v8, 20, 1
	s_mov_b32 s8, 0x407ffff
	v_add3_u32 v3, v8, v3, s8
	v_lshrrev_b32_e32 v4, 20, v3
	v_and_b32_e32 v3, 0xff00000, v3
	s_mov_b32 s8, 0x7f00000
	v_mov_b32_e32 v5, 0x7e
	v_cmp_ne_u32_e32 vcc, s8, v3
	v_cndmask_b32_e32 v3, v5, v4, vcc
; %bb.3228:
	s_andn2_saveexec_b64 s[6:7], s[6:7]
; %bb.3229:
	s_mov_b32 s8, 0x46800000
	v_add_f32_e64 v3, |v8|, s8
; %bb.3230:
	s_or_b64 exec, exec, s[6:7]
                                        ; implicit-def: $vgpr4
.LBB73_3231:
	s_andn2_saveexec_b64 s[2:3], s[2:3]
; %bb.3232:
	s_mov_b32 s6, 0x7f800000
	v_mov_b32_e32 v3, 0x7e
	v_mov_b32_e32 v5, 0x7f
	v_cmp_lt_u32_e32 vcc, s6, v4
	v_cndmask_b32_e32 v3, v3, v5, vcc
; %bb.3233:
	s_or_b64 exec, exec, s[2:3]
	v_lshrrev_b32_e32 v4, 24, v8
	s_movk_i32 s2, 0x80
	v_and_or_b32 v3, v4, s2, v3
	global_store_byte v[0:1], v3, off
.LBB73_3234:
	s_mov_b64 s[2:3], 0
.LBB73_3235:
	s_andn2_b64 vcc, exec, s[2:3]
	s_cbranch_vccnz .LBB73_3245
; %bb.3236:
	v_and_b32_e32 v4, 0x7fffffff, v8
	s_mov_b32 s2, 0x47800000
	v_cmp_gt_u32_e32 vcc, s2, v4
                                        ; implicit-def: $vgpr3
	s_and_saveexec_b64 s[2:3], vcc
	s_xor_b64 s[2:3], exec, s[2:3]
	s_cbranch_execz .LBB73_3242
; %bb.3237:
	s_mov_b32 s6, 0x387fffff
	v_cmp_lt_u32_e32 vcc, s6, v4
                                        ; implicit-def: $vgpr3
	s_and_saveexec_b64 s[6:7], vcc
	s_xor_b64 s[6:7], exec, s[6:7]
; %bb.3238:
	v_bfe_u32 v3, v8, 21, 1
	s_mov_b32 s8, 0x80fffff
	v_add3_u32 v3, v8, v3, s8
	v_lshrrev_b32_e32 v3, 21, v3
; %bb.3239:
	s_andn2_saveexec_b64 s[6:7], s[6:7]
; %bb.3240:
	s_mov_b32 s8, 0x43000000
	v_add_f32_e64 v3, |v8|, s8
; %bb.3241:
	s_or_b64 exec, exec, s[6:7]
                                        ; implicit-def: $vgpr4
.LBB73_3242:
	s_andn2_saveexec_b64 s[2:3], s[2:3]
; %bb.3243:
	s_mov_b32 s6, 0x7f800000
	v_mov_b32_e32 v3, 0x7c
	v_mov_b32_e32 v5, 0x7f
	v_cmp_lt_u32_e32 vcc, s6, v4
	v_cndmask_b32_e32 v3, v3, v5, vcc
; %bb.3244:
	s_or_b64 exec, exec, s[2:3]
	v_lshrrev_b32_e32 v4, 24, v8
	s_movk_i32 s2, 0x80
	v_and_or_b32 v3, v4, s2, v3
	global_store_byte v[0:1], v3, off
.LBB73_3245:
	s_mov_b64 s[2:3], 0
.LBB73_3246:
	s_andn2_b64 vcc, exec, s[2:3]
	s_mov_b64 s[2:3], 0
	s_cbranch_vccnz .LBB73_3253
; %bb.3247:
	v_cmp_lt_i16_e32 vcc, 14, v2
	s_mov_b64 s[6:7], -1
	s_cbranch_vccz .LBB73_3251
; %bb.3248:
	v_cmp_eq_u16_e32 vcc, 15, v2
	s_mov_b64 s[0:1], -1
	s_cbranch_vccz .LBB73_3250
; %bb.3249:
	v_bfe_u32 v3, v8, 16, 1
	s_movk_i32 s0, 0x7fff
	v_add3_u32 v3, v8, v3, s0
	v_lshrrev_b32_e32 v3, 16, v3
	v_mov_b32_e32 v4, 0x7fc0
	v_cmp_o_f32_e32 vcc, v8, v8
	v_cndmask_b32_e32 v3, v4, v3, vcc
	global_store_short v[0:1], v3, off
	s_mov_b64 s[0:1], 0
.LBB73_3250:
	s_mov_b64 s[6:7], 0
.LBB73_3251:
	s_and_b64 vcc, exec, s[6:7]
	s_cbranch_vccz .LBB73_3253
; %bb.3252:
	v_cmp_ne_u16_e64 s[0:1], 11, v2
	s_mov_b64 s[2:3], -1
.LBB73_3253:
	s_and_b64 vcc, exec, s[0:1]
	s_cbranch_vccnz .LBB73_3264
.LBB73_3254:
	s_mov_b64 s[0:1], 0
	s_branch .LBB73_2765
.LBB73_3255:
	s_mov_b64 s[0:1], 0
                                        ; implicit-def: $vgpr0_vgpr1
                                        ; implicit-def: $vgpr2
	s_branch .LBB73_2764
.LBB73_3256:
	s_mov_b64 s[2:3], 0
	s_mov_b64 s[0:1], -1
	s_branch .LBB73_2765
.LBB73_3257:
	s_or_saveexec_b64 s[16:17], s[16:17]
                                        ; implicit-def: $sgpr19
	s_xor_b64 exec, exec, s[16:17]
	s_cbranch_execz .LBB73_3089
.LBB73_3258:
	s_mov_b32 s19, 0x46000000
	v_add_f32_e64 v1, |v16|, s19
	v_and_b32_e32 v1, 0xff, v1
	v_cmp_ne_u32_e32 vcc, 0, v1
	s_andn2_b64 s[10:11], s[10:11], exec
	s_and_b64 s[20:21], vcc, exec
	s_mov_b32 s19, 0
	s_or_b64 s[10:11], s[10:11], s[20:21]
	s_or_b64 exec, exec, s[16:17]
	v_mov_b32_e32 v4, s19
	s_and_saveexec_b64 s[16:17], s[10:11]
	s_cbranch_execnz .LBB73_3090
	s_branch .LBB73_3091
.LBB73_3259:
	s_trap 2
	s_or_b64 s[4:5], s[4:5], exec
	s_cbranch_execz .LBB73_3137
	s_branch .LBB73_3138
.LBB73_3260:
	s_or_saveexec_b64 s[10:11], s[10:11]
                                        ; implicit-def: $sgpr16
	s_xor_b64 exec, exec, s[10:11]
	s_cbranch_execz .LBB73_3102
.LBB73_3261:
	s_mov_b32 s16, 0x42800000
	v_add_f32_e64 v1, |v16|, s16
	v_and_b32_e32 v1, 0xff, v1
	v_cmp_ne_u32_e32 vcc, 0, v1
	s_andn2_b64 s[6:7], s[6:7], exec
	s_and_b64 s[20:21], vcc, exec
	s_mov_b32 s16, 0
	s_or_b64 s[6:7], s[6:7], s[20:21]
	s_or_b64 exec, exec, s[10:11]
	v_mov_b32_e32 v4, s16
	s_and_saveexec_b64 s[10:11], s[6:7]
	s_cbranch_execnz .LBB73_3103
	s_branch .LBB73_3104
.LBB73_3262:
	s_or_saveexec_b64 s[10:11], s[10:11]
                                        ; implicit-def: $sgpr16
	s_xor_b64 exec, exec, s[10:11]
	s_cbranch_execz .LBB73_3208
.LBB73_3263:
	s_mov_b32 s16, 0x46000000
	v_add_f32_e64 v3, |v8|, s16
	v_and_b32_e32 v3, 0xff, v3
	v_cmp_ne_u32_e32 vcc, 0, v3
	s_andn2_b64 s[8:9], s[8:9], exec
	s_and_b64 s[18:19], vcc, exec
	s_mov_b32 s16, 0
	s_or_b64 s[8:9], s[8:9], s[18:19]
	s_or_b64 exec, exec, s[10:11]
	v_mov_b32_e32 v4, s16
	s_and_saveexec_b64 s[10:11], s[8:9]
	s_cbranch_execnz .LBB73_3209
	s_branch .LBB73_3210
.LBB73_3264:
	s_mov_b64 s[2:3], 0
	s_or_b64 s[4:5], s[4:5], exec
	s_trap 2
	s_branch .LBB73_3254
.LBB73_3265:
	s_or_saveexec_b64 s[8:9], s[8:9]
                                        ; implicit-def: $sgpr10
	s_xor_b64 exec, exec, s[8:9]
	s_cbranch_execz .LBB73_3220
.LBB73_3266:
	s_mov_b32 s10, 0x42800000
	v_add_f32_e64 v3, |v8|, s10
	v_and_b32_e32 v3, 0xff, v3
	v_cmp_ne_u32_e32 vcc, 0, v3
	s_andn2_b64 s[6:7], s[6:7], exec
	s_and_b64 s[16:17], vcc, exec
	s_mov_b32 s10, 0
	s_or_b64 s[6:7], s[6:7], s[16:17]
	s_or_b64 exec, exec, s[8:9]
	v_mov_b32_e32 v4, s10
	s_and_saveexec_b64 s[8:9], s[6:7]
	s_cbranch_execnz .LBB73_3221
	s_branch .LBB73_3222
	.section	.rodata,"a",@progbits
	.p2align	6, 0x0
	.amdhsa_kernel _ZN2at6native32elementwise_kernel_manual_unrollILi128ELi4EZNS0_15gpu_kernel_implINS0_13BinaryFunctorIfffZZZNS0_12_GLOBAL__N_133hermite_polynomial_he_kernel_cudaERNS_18TensorIteratorBaseEENKUlvE_clEvENKUlvE0_clEvEUlffE_EEEEvS6_RKT_EUlibE0_EEviT1_
		.amdhsa_group_segment_fixed_size 0
		.amdhsa_private_segment_fixed_size 0
		.amdhsa_kernarg_size 432
		.amdhsa_user_sgpr_count 6
		.amdhsa_user_sgpr_private_segment_buffer 1
		.amdhsa_user_sgpr_dispatch_ptr 0
		.amdhsa_user_sgpr_queue_ptr 0
		.amdhsa_user_sgpr_kernarg_segment_ptr 1
		.amdhsa_user_sgpr_dispatch_id 0
		.amdhsa_user_sgpr_flat_scratch_init 0
		.amdhsa_user_sgpr_kernarg_preload_length 0
		.amdhsa_user_sgpr_kernarg_preload_offset 0
		.amdhsa_user_sgpr_private_segment_size 0
		.amdhsa_uses_dynamic_stack 0
		.amdhsa_system_sgpr_private_segment_wavefront_offset 0
		.amdhsa_system_sgpr_workgroup_id_x 1
		.amdhsa_system_sgpr_workgroup_id_y 0
		.amdhsa_system_sgpr_workgroup_id_z 0
		.amdhsa_system_sgpr_workgroup_info 0
		.amdhsa_system_vgpr_workitem_id 0
		.amdhsa_next_free_vgpr 26
		.amdhsa_next_free_sgpr 78
		.amdhsa_accum_offset 28
		.amdhsa_reserve_vcc 1
		.amdhsa_reserve_flat_scratch 0
		.amdhsa_float_round_mode_32 0
		.amdhsa_float_round_mode_16_64 0
		.amdhsa_float_denorm_mode_32 3
		.amdhsa_float_denorm_mode_16_64 3
		.amdhsa_dx10_clamp 1
		.amdhsa_ieee_mode 1
		.amdhsa_fp16_overflow 0
		.amdhsa_tg_split 0
		.amdhsa_exception_fp_ieee_invalid_op 0
		.amdhsa_exception_fp_denorm_src 0
		.amdhsa_exception_fp_ieee_div_zero 0
		.amdhsa_exception_fp_ieee_overflow 0
		.amdhsa_exception_fp_ieee_underflow 0
		.amdhsa_exception_fp_ieee_inexact 0
		.amdhsa_exception_int_div_zero 0
	.end_amdhsa_kernel
	.section	.text._ZN2at6native32elementwise_kernel_manual_unrollILi128ELi4EZNS0_15gpu_kernel_implINS0_13BinaryFunctorIfffZZZNS0_12_GLOBAL__N_133hermite_polynomial_he_kernel_cudaERNS_18TensorIteratorBaseEENKUlvE_clEvENKUlvE0_clEvEUlffE_EEEEvS6_RKT_EUlibE0_EEviT1_,"axG",@progbits,_ZN2at6native32elementwise_kernel_manual_unrollILi128ELi4EZNS0_15gpu_kernel_implINS0_13BinaryFunctorIfffZZZNS0_12_GLOBAL__N_133hermite_polynomial_he_kernel_cudaERNS_18TensorIteratorBaseEENKUlvE_clEvENKUlvE0_clEvEUlffE_EEEEvS6_RKT_EUlibE0_EEviT1_,comdat
.Lfunc_end73:
	.size	_ZN2at6native32elementwise_kernel_manual_unrollILi128ELi4EZNS0_15gpu_kernel_implINS0_13BinaryFunctorIfffZZZNS0_12_GLOBAL__N_133hermite_polynomial_he_kernel_cudaERNS_18TensorIteratorBaseEENKUlvE_clEvENKUlvE0_clEvEUlffE_EEEEvS6_RKT_EUlibE0_EEviT1_, .Lfunc_end73-_ZN2at6native32elementwise_kernel_manual_unrollILi128ELi4EZNS0_15gpu_kernel_implINS0_13BinaryFunctorIfffZZZNS0_12_GLOBAL__N_133hermite_polynomial_he_kernel_cudaERNS_18TensorIteratorBaseEENKUlvE_clEvENKUlvE0_clEvEUlffE_EEEEvS6_RKT_EUlibE0_EEviT1_
                                        ; -- End function
	.section	.AMDGPU.csdata,"",@progbits
; Kernel info:
; codeLenInByte = 59688
; NumSgprs: 82
; NumVgprs: 26
; NumAgprs: 0
; TotalNumVgprs: 26
; ScratchSize: 0
; MemoryBound: 1
; FloatMode: 240
; IeeeMode: 1
; LDSByteSize: 0 bytes/workgroup (compile time only)
; SGPRBlocks: 10
; VGPRBlocks: 3
; NumSGPRsForWavesPerEU: 82
; NumVGPRsForWavesPerEU: 26
; AccumOffset: 28
; Occupancy: 8
; WaveLimiterHint : 1
; COMPUTE_PGM_RSRC2:SCRATCH_EN: 0
; COMPUTE_PGM_RSRC2:USER_SGPR: 6
; COMPUTE_PGM_RSRC2:TRAP_HANDLER: 0
; COMPUTE_PGM_RSRC2:TGID_X_EN: 1
; COMPUTE_PGM_RSRC2:TGID_Y_EN: 0
; COMPUTE_PGM_RSRC2:TGID_Z_EN: 0
; COMPUTE_PGM_RSRC2:TIDIG_COMP_CNT: 0
; COMPUTE_PGM_RSRC3_GFX90A:ACCUM_OFFSET: 6
; COMPUTE_PGM_RSRC3_GFX90A:TG_SPLIT: 0
	.text
	.p2alignl 6, 3212836864
	.fill 256, 4, 3212836864
	.type	__hip_cuid_130b94806b37bd6d,@object ; @__hip_cuid_130b94806b37bd6d
	.section	.bss,"aw",@nobits
	.globl	__hip_cuid_130b94806b37bd6d
__hip_cuid_130b94806b37bd6d:
	.byte	0                               ; 0x0
	.size	__hip_cuid_130b94806b37bd6d, 1

	.ident	"AMD clang version 19.0.0git (https://github.com/RadeonOpenCompute/llvm-project roc-6.4.0 25133 c7fe45cf4b819c5991fe208aaa96edf142730f1d)"
	.section	".note.GNU-stack","",@progbits
	.addrsig
	.addrsig_sym __hip_cuid_130b94806b37bd6d
	.amdgpu_metadata
---
amdhsa.kernels:
  - .agpr_count:     0
    .args:
      - .offset:         0
        .size:           4
        .value_kind:     by_value
      - .offset:         8
        .size:           16
        .value_kind:     by_value
      - .offset:         24
        .size:           16
        .value_kind:     by_value
    .group_segment_fixed_size: 0
    .kernarg_segment_align: 8
    .kernarg_segment_size: 40
    .language:       OpenCL C
    .language_version:
      - 2
      - 0
    .max_flat_workgroup_size: 256
    .name:           _ZN2at6native29vectorized_elementwise_kernelILi16ENS0_13AUnaryFunctorIdddZZZNS0_12_GLOBAL__N_133hermite_polynomial_he_kernel_cudaERNS_18TensorIteratorBaseEENKUlvE_clEvENKUlvE_clEvEUlddE_EESt5arrayIPcLm2EEEEviT0_T1_
    .private_segment_fixed_size: 0
    .sgpr_count:     27
    .sgpr_spill_count: 0
    .symbol:         _ZN2at6native29vectorized_elementwise_kernelILi16ENS0_13AUnaryFunctorIdddZZZNS0_12_GLOBAL__N_133hermite_polynomial_he_kernel_cudaERNS_18TensorIteratorBaseEENKUlvE_clEvENKUlvE_clEvEUlddE_EESt5arrayIPcLm2EEEEviT0_T1_.kd
    .uniform_work_group_size: 1
    .uses_dynamic_stack: false
    .vgpr_count:     24
    .vgpr_spill_count: 0
    .wavefront_size: 64
  - .agpr_count:     0
    .args:
      - .offset:         0
        .size:           4
        .value_kind:     by_value
      - .offset:         8
        .size:           16
        .value_kind:     by_value
      - .offset:         24
        .size:           16
        .value_kind:     by_value
    .group_segment_fixed_size: 0
    .kernarg_segment_align: 8
    .kernarg_segment_size: 40
    .language:       OpenCL C
    .language_version:
      - 2
      - 0
    .max_flat_workgroup_size: 256
    .name:           _ZN2at6native29vectorized_elementwise_kernelILi8ENS0_13AUnaryFunctorIdddZZZNS0_12_GLOBAL__N_133hermite_polynomial_he_kernel_cudaERNS_18TensorIteratorBaseEENKUlvE_clEvENKUlvE_clEvEUlddE_EESt5arrayIPcLm2EEEEviT0_T1_
    .private_segment_fixed_size: 0
    .sgpr_count:     27
    .sgpr_spill_count: 0
    .symbol:         _ZN2at6native29vectorized_elementwise_kernelILi8ENS0_13AUnaryFunctorIdddZZZNS0_12_GLOBAL__N_133hermite_polynomial_he_kernel_cudaERNS_18TensorIteratorBaseEENKUlvE_clEvENKUlvE_clEvEUlddE_EESt5arrayIPcLm2EEEEviT0_T1_.kd
    .uniform_work_group_size: 1
    .uses_dynamic_stack: false
    .vgpr_count:     24
    .vgpr_spill_count: 0
    .wavefront_size: 64
  - .agpr_count:     0
    .args:
      - .offset:         0
        .size:           4
        .value_kind:     by_value
      - .offset:         8
        .size:           16
        .value_kind:     by_value
      - .offset:         24
        .size:           16
        .value_kind:     by_value
    .group_segment_fixed_size: 0
    .kernarg_segment_align: 8
    .kernarg_segment_size: 40
    .language:       OpenCL C
    .language_version:
      - 2
      - 0
    .max_flat_workgroup_size: 256
    .name:           _ZN2at6native29vectorized_elementwise_kernelILi4ENS0_13AUnaryFunctorIdddZZZNS0_12_GLOBAL__N_133hermite_polynomial_he_kernel_cudaERNS_18TensorIteratorBaseEENKUlvE_clEvENKUlvE_clEvEUlddE_EESt5arrayIPcLm2EEEEviT0_T1_
    .private_segment_fixed_size: 0
    .sgpr_count:     27
    .sgpr_spill_count: 0
    .symbol:         _ZN2at6native29vectorized_elementwise_kernelILi4ENS0_13AUnaryFunctorIdddZZZNS0_12_GLOBAL__N_133hermite_polynomial_he_kernel_cudaERNS_18TensorIteratorBaseEENKUlvE_clEvENKUlvE_clEvEUlddE_EESt5arrayIPcLm2EEEEviT0_T1_.kd
    .uniform_work_group_size: 1
    .uses_dynamic_stack: false
    .vgpr_count:     24
    .vgpr_spill_count: 0
    .wavefront_size: 64
  - .agpr_count:     0
    .args:
      - .offset:         0
        .size:           4
        .value_kind:     by_value
      - .offset:         8
        .size:           16
        .value_kind:     by_value
      - .offset:         24
        .size:           16
        .value_kind:     by_value
    .group_segment_fixed_size: 0
    .kernarg_segment_align: 8
    .kernarg_segment_size: 40
    .language:       OpenCL C
    .language_version:
      - 2
      - 0
    .max_flat_workgroup_size: 256
    .name:           _ZN2at6native29vectorized_elementwise_kernelILi2ENS0_13AUnaryFunctorIdddZZZNS0_12_GLOBAL__N_133hermite_polynomial_he_kernel_cudaERNS_18TensorIteratorBaseEENKUlvE_clEvENKUlvE_clEvEUlddE_EESt5arrayIPcLm2EEEEviT0_T1_
    .private_segment_fixed_size: 0
    .sgpr_count:     27
    .sgpr_spill_count: 0
    .symbol:         _ZN2at6native29vectorized_elementwise_kernelILi2ENS0_13AUnaryFunctorIdddZZZNS0_12_GLOBAL__N_133hermite_polynomial_he_kernel_cudaERNS_18TensorIteratorBaseEENKUlvE_clEvENKUlvE_clEvEUlddE_EESt5arrayIPcLm2EEEEviT0_T1_.kd
    .uniform_work_group_size: 1
    .uses_dynamic_stack: false
    .vgpr_count:     24
    .vgpr_spill_count: 0
    .wavefront_size: 64
  - .agpr_count:     0
    .args:
      - .offset:         0
        .size:           4
        .value_kind:     by_value
      - .offset:         8
        .size:           16
        .value_kind:     by_value
      - .offset:         24
        .size:           16
        .value_kind:     by_value
      - .offset:         40
        .size:           1
        .value_kind:     by_value
      - .offset:         41
        .size:           1
        .value_kind:     by_value
      - .offset:         42
        .size:           1
        .value_kind:     by_value
      - .offset:         43
        .size:           1
        .value_kind:     by_value
    .group_segment_fixed_size: 0
    .kernarg_segment_align: 8
    .kernarg_segment_size: 44
    .language:       OpenCL C
    .language_version:
      - 2
      - 0
    .max_flat_workgroup_size: 256
    .name:           _ZN2at6native27unrolled_elementwise_kernelINS0_13AUnaryFunctorIdddZZZNS0_12_GLOBAL__N_133hermite_polynomial_he_kernel_cudaERNS_18TensorIteratorBaseEENKUlvE_clEvENKUlvE_clEvEUlddE_EESt5arrayIPcLm2EELi4E23TrivialOffsetCalculatorILi1EjESE_NS0_6memory15LoadWithoutCastENSF_16StoreWithoutCastEEEviT_T0_T2_T3_T4_T5_
    .private_segment_fixed_size: 0
    .sgpr_count:     26
    .sgpr_spill_count: 0
    .symbol:         _ZN2at6native27unrolled_elementwise_kernelINS0_13AUnaryFunctorIdddZZZNS0_12_GLOBAL__N_133hermite_polynomial_he_kernel_cudaERNS_18TensorIteratorBaseEENKUlvE_clEvENKUlvE_clEvEUlddE_EESt5arrayIPcLm2EELi4E23TrivialOffsetCalculatorILi1EjESE_NS0_6memory15LoadWithoutCastENSF_16StoreWithoutCastEEEviT_T0_T2_T3_T4_T5_.kd
    .uniform_work_group_size: 1
    .uses_dynamic_stack: false
    .vgpr_count:     24
    .vgpr_spill_count: 0
    .wavefront_size: 64
  - .agpr_count:     0
    .args:
      - .offset:         0
        .size:           4
        .value_kind:     by_value
      - .offset:         8
        .size:           360
        .value_kind:     by_value
    .group_segment_fixed_size: 0
    .kernarg_segment_align: 8
    .kernarg_segment_size: 368
    .language:       OpenCL C
    .language_version:
      - 2
      - 0
    .max_flat_workgroup_size: 128
    .name:           _ZN2at6native32elementwise_kernel_manual_unrollILi128ELi4EZNS0_22gpu_kernel_impl_nocastINS0_13AUnaryFunctorIdddZZZNS0_12_GLOBAL__N_133hermite_polynomial_he_kernel_cudaERNS_18TensorIteratorBaseEENKUlvE_clEvENKUlvE_clEvEUlddE_EEEEvS6_RKT_EUlibE_EEviT1_
    .private_segment_fixed_size: 0
    .sgpr_count:     66
    .sgpr_spill_count: 0
    .symbol:         _ZN2at6native32elementwise_kernel_manual_unrollILi128ELi4EZNS0_22gpu_kernel_impl_nocastINS0_13AUnaryFunctorIdddZZZNS0_12_GLOBAL__N_133hermite_polynomial_he_kernel_cudaERNS_18TensorIteratorBaseEENKUlvE_clEvENKUlvE_clEvEUlddE_EEEEvS6_RKT_EUlibE_EEviT1_.kd
    .uniform_work_group_size: 1
    .uses_dynamic_stack: false
    .vgpr_count:     24
    .vgpr_spill_count: 0
    .wavefront_size: 64
  - .agpr_count:     0
    .args:
      - .offset:         0
        .size:           4
        .value_kind:     by_value
      - .offset:         8
        .size:           48
        .value_kind:     by_value
    .group_segment_fixed_size: 0
    .kernarg_segment_align: 8
    .kernarg_segment_size: 56
    .language:       OpenCL C
    .language_version:
      - 2
      - 0
    .max_flat_workgroup_size: 128
    .name:           _ZN2at6native32elementwise_kernel_manual_unrollILi128ELi4EZNS0_15gpu_kernel_implINS0_13AUnaryFunctorIdddZZZNS0_12_GLOBAL__N_133hermite_polynomial_he_kernel_cudaERNS_18TensorIteratorBaseEENKUlvE_clEvENKUlvE_clEvEUlddE_EEEEvS6_RKT_EUlibE_EEviT1_
    .private_segment_fixed_size: 0
    .sgpr_count:     50
    .sgpr_spill_count: 0
    .symbol:         _ZN2at6native32elementwise_kernel_manual_unrollILi128ELi4EZNS0_15gpu_kernel_implINS0_13AUnaryFunctorIdddZZZNS0_12_GLOBAL__N_133hermite_polynomial_he_kernel_cudaERNS_18TensorIteratorBaseEENKUlvE_clEvENKUlvE_clEvEUlddE_EEEEvS6_RKT_EUlibE_EEviT1_.kd
    .uniform_work_group_size: 1
    .uses_dynamic_stack: false
    .vgpr_count:     18
    .vgpr_spill_count: 0
    .wavefront_size: 64
  - .agpr_count:     0
    .args:
      - .offset:         0
        .size:           4
        .value_kind:     by_value
      - .offset:         8
        .size:           368
        .value_kind:     by_value
    .group_segment_fixed_size: 0
    .kernarg_segment_align: 8
    .kernarg_segment_size: 376
    .language:       OpenCL C
    .language_version:
      - 2
      - 0
    .max_flat_workgroup_size: 128
    .name:           _ZN2at6native32elementwise_kernel_manual_unrollILi128ELi4EZNS0_15gpu_kernel_implINS0_13AUnaryFunctorIdddZZZNS0_12_GLOBAL__N_133hermite_polynomial_he_kernel_cudaERNS_18TensorIteratorBaseEENKUlvE_clEvENKUlvE_clEvEUlddE_EEEEvS6_RKT_EUlibE0_EEviT1_
    .private_segment_fixed_size: 0
    .sgpr_count:     83
    .sgpr_spill_count: 0
    .symbol:         _ZN2at6native32elementwise_kernel_manual_unrollILi128ELi4EZNS0_15gpu_kernel_implINS0_13AUnaryFunctorIdddZZZNS0_12_GLOBAL__N_133hermite_polynomial_he_kernel_cudaERNS_18TensorIteratorBaseEENKUlvE_clEvENKUlvE_clEvEUlddE_EEEEvS6_RKT_EUlibE0_EEviT1_.kd
    .uniform_work_group_size: 1
    .uses_dynamic_stack: false
    .vgpr_count:     24
    .vgpr_spill_count: 0
    .wavefront_size: 64
  - .agpr_count:     0
    .args:
      - .offset:         0
        .size:           4
        .value_kind:     by_value
      - .offset:         8
        .size:           16
        .value_kind:     by_value
      - .offset:         24
        .size:           16
        .value_kind:     by_value
    .group_segment_fixed_size: 0
    .kernarg_segment_align: 8
    .kernarg_segment_size: 40
    .language:       OpenCL C
    .language_version:
      - 2
      - 0
    .max_flat_workgroup_size: 256
    .name:           _ZN2at6native29vectorized_elementwise_kernelILi16ENS0_13BUnaryFunctorIdddZZZNS0_12_GLOBAL__N_133hermite_polynomial_he_kernel_cudaERNS_18TensorIteratorBaseEENKUlvE_clEvENKUlvE_clEvEUlddE_EESt5arrayIPcLm2EEEEviT0_T1_
    .private_segment_fixed_size: 0
    .sgpr_count:     23
    .sgpr_spill_count: 0
    .symbol:         _ZN2at6native29vectorized_elementwise_kernelILi16ENS0_13BUnaryFunctorIdddZZZNS0_12_GLOBAL__N_133hermite_polynomial_he_kernel_cudaERNS_18TensorIteratorBaseEENKUlvE_clEvENKUlvE_clEvEUlddE_EESt5arrayIPcLm2EEEEviT0_T1_.kd
    .uniform_work_group_size: 1
    .uses_dynamic_stack: false
    .vgpr_count:     24
    .vgpr_spill_count: 0
    .wavefront_size: 64
  - .agpr_count:     0
    .args:
      - .offset:         0
        .size:           4
        .value_kind:     by_value
      - .offset:         8
        .size:           16
        .value_kind:     by_value
      - .offset:         24
        .size:           16
        .value_kind:     by_value
    .group_segment_fixed_size: 0
    .kernarg_segment_align: 8
    .kernarg_segment_size: 40
    .language:       OpenCL C
    .language_version:
      - 2
      - 0
    .max_flat_workgroup_size: 256
    .name:           _ZN2at6native29vectorized_elementwise_kernelILi8ENS0_13BUnaryFunctorIdddZZZNS0_12_GLOBAL__N_133hermite_polynomial_he_kernel_cudaERNS_18TensorIteratorBaseEENKUlvE_clEvENKUlvE_clEvEUlddE_EESt5arrayIPcLm2EEEEviT0_T1_
    .private_segment_fixed_size: 0
    .sgpr_count:     23
    .sgpr_spill_count: 0
    .symbol:         _ZN2at6native29vectorized_elementwise_kernelILi8ENS0_13BUnaryFunctorIdddZZZNS0_12_GLOBAL__N_133hermite_polynomial_he_kernel_cudaERNS_18TensorIteratorBaseEENKUlvE_clEvENKUlvE_clEvEUlddE_EESt5arrayIPcLm2EEEEviT0_T1_.kd
    .uniform_work_group_size: 1
    .uses_dynamic_stack: false
    .vgpr_count:     24
    .vgpr_spill_count: 0
    .wavefront_size: 64
  - .agpr_count:     0
    .args:
      - .offset:         0
        .size:           4
        .value_kind:     by_value
      - .offset:         8
        .size:           16
        .value_kind:     by_value
      - .offset:         24
        .size:           16
        .value_kind:     by_value
    .group_segment_fixed_size: 0
    .kernarg_segment_align: 8
    .kernarg_segment_size: 40
    .language:       OpenCL C
    .language_version:
      - 2
      - 0
    .max_flat_workgroup_size: 256
    .name:           _ZN2at6native29vectorized_elementwise_kernelILi4ENS0_13BUnaryFunctorIdddZZZNS0_12_GLOBAL__N_133hermite_polynomial_he_kernel_cudaERNS_18TensorIteratorBaseEENKUlvE_clEvENKUlvE_clEvEUlddE_EESt5arrayIPcLm2EEEEviT0_T1_
    .private_segment_fixed_size: 0
    .sgpr_count:     23
    .sgpr_spill_count: 0
    .symbol:         _ZN2at6native29vectorized_elementwise_kernelILi4ENS0_13BUnaryFunctorIdddZZZNS0_12_GLOBAL__N_133hermite_polynomial_he_kernel_cudaERNS_18TensorIteratorBaseEENKUlvE_clEvENKUlvE_clEvEUlddE_EESt5arrayIPcLm2EEEEviT0_T1_.kd
    .uniform_work_group_size: 1
    .uses_dynamic_stack: false
    .vgpr_count:     24
    .vgpr_spill_count: 0
    .wavefront_size: 64
  - .agpr_count:     0
    .args:
      - .offset:         0
        .size:           4
        .value_kind:     by_value
      - .offset:         8
        .size:           16
        .value_kind:     by_value
      - .offset:         24
        .size:           16
        .value_kind:     by_value
    .group_segment_fixed_size: 0
    .kernarg_segment_align: 8
    .kernarg_segment_size: 40
    .language:       OpenCL C
    .language_version:
      - 2
      - 0
    .max_flat_workgroup_size: 256
    .name:           _ZN2at6native29vectorized_elementwise_kernelILi2ENS0_13BUnaryFunctorIdddZZZNS0_12_GLOBAL__N_133hermite_polynomial_he_kernel_cudaERNS_18TensorIteratorBaseEENKUlvE_clEvENKUlvE_clEvEUlddE_EESt5arrayIPcLm2EEEEviT0_T1_
    .private_segment_fixed_size: 0
    .sgpr_count:     23
    .sgpr_spill_count: 0
    .symbol:         _ZN2at6native29vectorized_elementwise_kernelILi2ENS0_13BUnaryFunctorIdddZZZNS0_12_GLOBAL__N_133hermite_polynomial_he_kernel_cudaERNS_18TensorIteratorBaseEENKUlvE_clEvENKUlvE_clEvEUlddE_EESt5arrayIPcLm2EEEEviT0_T1_.kd
    .uniform_work_group_size: 1
    .uses_dynamic_stack: false
    .vgpr_count:     24
    .vgpr_spill_count: 0
    .wavefront_size: 64
  - .agpr_count:     0
    .args:
      - .offset:         0
        .size:           4
        .value_kind:     by_value
      - .offset:         8
        .size:           16
        .value_kind:     by_value
      - .offset:         24
        .size:           16
        .value_kind:     by_value
      - .offset:         40
        .size:           1
        .value_kind:     by_value
      - .offset:         41
        .size:           1
        .value_kind:     by_value
      - .offset:         42
        .size:           1
        .value_kind:     by_value
      - .offset:         43
        .size:           1
        .value_kind:     by_value
    .group_segment_fixed_size: 0
    .kernarg_segment_align: 8
    .kernarg_segment_size: 44
    .language:       OpenCL C
    .language_version:
      - 2
      - 0
    .max_flat_workgroup_size: 256
    .name:           _ZN2at6native27unrolled_elementwise_kernelINS0_13BUnaryFunctorIdddZZZNS0_12_GLOBAL__N_133hermite_polynomial_he_kernel_cudaERNS_18TensorIteratorBaseEENKUlvE_clEvENKUlvE_clEvEUlddE_EESt5arrayIPcLm2EELi4E23TrivialOffsetCalculatorILi1EjESE_NS0_6memory15LoadWithoutCastENSF_16StoreWithoutCastEEEviT_T0_T2_T3_T4_T5_
    .private_segment_fixed_size: 0
    .sgpr_count:     20
    .sgpr_spill_count: 0
    .symbol:         _ZN2at6native27unrolled_elementwise_kernelINS0_13BUnaryFunctorIdddZZZNS0_12_GLOBAL__N_133hermite_polynomial_he_kernel_cudaERNS_18TensorIteratorBaseEENKUlvE_clEvENKUlvE_clEvEUlddE_EESt5arrayIPcLm2EELi4E23TrivialOffsetCalculatorILi1EjESE_NS0_6memory15LoadWithoutCastENSF_16StoreWithoutCastEEEviT_T0_T2_T3_T4_T5_.kd
    .uniform_work_group_size: 1
    .uses_dynamic_stack: false
    .vgpr_count:     24
    .vgpr_spill_count: 0
    .wavefront_size: 64
  - .agpr_count:     0
    .args:
      - .offset:         0
        .size:           4
        .value_kind:     by_value
      - .offset:         8
        .size:           360
        .value_kind:     by_value
    .group_segment_fixed_size: 0
    .kernarg_segment_align: 8
    .kernarg_segment_size: 368
    .language:       OpenCL C
    .language_version:
      - 2
      - 0
    .max_flat_workgroup_size: 128
    .name:           _ZN2at6native32elementwise_kernel_manual_unrollILi128ELi4EZNS0_22gpu_kernel_impl_nocastINS0_13BUnaryFunctorIdddZZZNS0_12_GLOBAL__N_133hermite_polynomial_he_kernel_cudaERNS_18TensorIteratorBaseEENKUlvE_clEvENKUlvE_clEvEUlddE_EEEEvS6_RKT_EUlibE_EEviT1_
    .private_segment_fixed_size: 0
    .sgpr_count:     70
    .sgpr_spill_count: 0
    .symbol:         _ZN2at6native32elementwise_kernel_manual_unrollILi128ELi4EZNS0_22gpu_kernel_impl_nocastINS0_13BUnaryFunctorIdddZZZNS0_12_GLOBAL__N_133hermite_polynomial_he_kernel_cudaERNS_18TensorIteratorBaseEENKUlvE_clEvENKUlvE_clEvEUlddE_EEEEvS6_RKT_EUlibE_EEviT1_.kd
    .uniform_work_group_size: 1
    .uses_dynamic_stack: false
    .vgpr_count:     24
    .vgpr_spill_count: 0
    .wavefront_size: 64
  - .agpr_count:     0
    .args:
      - .offset:         0
        .size:           4
        .value_kind:     by_value
      - .offset:         8
        .size:           48
        .value_kind:     by_value
    .group_segment_fixed_size: 0
    .kernarg_segment_align: 8
    .kernarg_segment_size: 56
    .language:       OpenCL C
    .language_version:
      - 2
      - 0
    .max_flat_workgroup_size: 128
    .name:           _ZN2at6native32elementwise_kernel_manual_unrollILi128ELi4EZNS0_15gpu_kernel_implINS0_13BUnaryFunctorIdddZZZNS0_12_GLOBAL__N_133hermite_polynomial_he_kernel_cudaERNS_18TensorIteratorBaseEENKUlvE_clEvENKUlvE_clEvEUlddE_EEEEvS6_RKT_EUlibE_EEviT1_
    .private_segment_fixed_size: 0
    .sgpr_count:     56
    .sgpr_spill_count: 0
    .symbol:         _ZN2at6native32elementwise_kernel_manual_unrollILi128ELi4EZNS0_15gpu_kernel_implINS0_13BUnaryFunctorIdddZZZNS0_12_GLOBAL__N_133hermite_polynomial_he_kernel_cudaERNS_18TensorIteratorBaseEENKUlvE_clEvENKUlvE_clEvEUlddE_EEEEvS6_RKT_EUlibE_EEviT1_.kd
    .uniform_work_group_size: 1
    .uses_dynamic_stack: false
    .vgpr_count:     18
    .vgpr_spill_count: 0
    .wavefront_size: 64
  - .agpr_count:     0
    .args:
      - .offset:         0
        .size:           4
        .value_kind:     by_value
      - .offset:         8
        .size:           368
        .value_kind:     by_value
    .group_segment_fixed_size: 0
    .kernarg_segment_align: 8
    .kernarg_segment_size: 376
    .language:       OpenCL C
    .language_version:
      - 2
      - 0
    .max_flat_workgroup_size: 128
    .name:           _ZN2at6native32elementwise_kernel_manual_unrollILi128ELi4EZNS0_15gpu_kernel_implINS0_13BUnaryFunctorIdddZZZNS0_12_GLOBAL__N_133hermite_polynomial_he_kernel_cudaERNS_18TensorIteratorBaseEENKUlvE_clEvENKUlvE_clEvEUlddE_EEEEvS6_RKT_EUlibE0_EEviT1_
    .private_segment_fixed_size: 0
    .sgpr_count:     87
    .sgpr_spill_count: 0
    .symbol:         _ZN2at6native32elementwise_kernel_manual_unrollILi128ELi4EZNS0_15gpu_kernel_implINS0_13BUnaryFunctorIdddZZZNS0_12_GLOBAL__N_133hermite_polynomial_he_kernel_cudaERNS_18TensorIteratorBaseEENKUlvE_clEvENKUlvE_clEvEUlddE_EEEEvS6_RKT_EUlibE0_EEviT1_.kd
    .uniform_work_group_size: 1
    .uses_dynamic_stack: false
    .vgpr_count:     24
    .vgpr_spill_count: 0
    .wavefront_size: 64
  - .agpr_count:     0
    .args:
      - .offset:         0
        .size:           4
        .value_kind:     by_value
      - .offset:         4
        .size:           1
        .value_kind:     by_value
      - .offset:         8
        .size:           24
        .value_kind:     by_value
    .group_segment_fixed_size: 0
    .kernarg_segment_align: 8
    .kernarg_segment_size: 32
    .language:       OpenCL C
    .language_version:
      - 2
      - 0
    .max_flat_workgroup_size: 256
    .name:           _ZN2at6native29vectorized_elementwise_kernelILi16ENS0_13BinaryFunctorIdddZZZNS0_12_GLOBAL__N_133hermite_polynomial_he_kernel_cudaERNS_18TensorIteratorBaseEENKUlvE_clEvENKUlvE_clEvEUlddE_EESt5arrayIPcLm3EEEEviT0_T1_
    .private_segment_fixed_size: 0
    .sgpr_count:     27
    .sgpr_spill_count: 0
    .symbol:         _ZN2at6native29vectorized_elementwise_kernelILi16ENS0_13BinaryFunctorIdddZZZNS0_12_GLOBAL__N_133hermite_polynomial_he_kernel_cudaERNS_18TensorIteratorBaseEENKUlvE_clEvENKUlvE_clEvEUlddE_EESt5arrayIPcLm3EEEEviT0_T1_.kd
    .uniform_work_group_size: 1
    .uses_dynamic_stack: false
    .vgpr_count:     30
    .vgpr_spill_count: 0
    .wavefront_size: 64
  - .agpr_count:     0
    .args:
      - .offset:         0
        .size:           4
        .value_kind:     by_value
      - .offset:         4
        .size:           1
        .value_kind:     by_value
      - .offset:         8
        .size:           24
        .value_kind:     by_value
    .group_segment_fixed_size: 0
    .kernarg_segment_align: 8
    .kernarg_segment_size: 32
    .language:       OpenCL C
    .language_version:
      - 2
      - 0
    .max_flat_workgroup_size: 256
    .name:           _ZN2at6native29vectorized_elementwise_kernelILi8ENS0_13BinaryFunctorIdddZZZNS0_12_GLOBAL__N_133hermite_polynomial_he_kernel_cudaERNS_18TensorIteratorBaseEENKUlvE_clEvENKUlvE_clEvEUlddE_EESt5arrayIPcLm3EEEEviT0_T1_
    .private_segment_fixed_size: 0
    .sgpr_count:     27
    .sgpr_spill_count: 0
    .symbol:         _ZN2at6native29vectorized_elementwise_kernelILi8ENS0_13BinaryFunctorIdddZZZNS0_12_GLOBAL__N_133hermite_polynomial_he_kernel_cudaERNS_18TensorIteratorBaseEENKUlvE_clEvENKUlvE_clEvEUlddE_EESt5arrayIPcLm3EEEEviT0_T1_.kd
    .uniform_work_group_size: 1
    .uses_dynamic_stack: false
    .vgpr_count:     30
    .vgpr_spill_count: 0
    .wavefront_size: 64
  - .agpr_count:     0
    .args:
      - .offset:         0
        .size:           4
        .value_kind:     by_value
      - .offset:         4
        .size:           1
        .value_kind:     by_value
      - .offset:         8
        .size:           24
        .value_kind:     by_value
    .group_segment_fixed_size: 0
    .kernarg_segment_align: 8
    .kernarg_segment_size: 32
    .language:       OpenCL C
    .language_version:
      - 2
      - 0
    .max_flat_workgroup_size: 256
    .name:           _ZN2at6native29vectorized_elementwise_kernelILi4ENS0_13BinaryFunctorIdddZZZNS0_12_GLOBAL__N_133hermite_polynomial_he_kernel_cudaERNS_18TensorIteratorBaseEENKUlvE_clEvENKUlvE_clEvEUlddE_EESt5arrayIPcLm3EEEEviT0_T1_
    .private_segment_fixed_size: 0
    .sgpr_count:     27
    .sgpr_spill_count: 0
    .symbol:         _ZN2at6native29vectorized_elementwise_kernelILi4ENS0_13BinaryFunctorIdddZZZNS0_12_GLOBAL__N_133hermite_polynomial_he_kernel_cudaERNS_18TensorIteratorBaseEENKUlvE_clEvENKUlvE_clEvEUlddE_EESt5arrayIPcLm3EEEEviT0_T1_.kd
    .uniform_work_group_size: 1
    .uses_dynamic_stack: false
    .vgpr_count:     30
    .vgpr_spill_count: 0
    .wavefront_size: 64
  - .agpr_count:     0
    .args:
      - .offset:         0
        .size:           4
        .value_kind:     by_value
      - .offset:         4
        .size:           1
        .value_kind:     by_value
      - .offset:         8
        .size:           24
        .value_kind:     by_value
    .group_segment_fixed_size: 0
    .kernarg_segment_align: 8
    .kernarg_segment_size: 32
    .language:       OpenCL C
    .language_version:
      - 2
      - 0
    .max_flat_workgroup_size: 256
    .name:           _ZN2at6native29vectorized_elementwise_kernelILi2ENS0_13BinaryFunctorIdddZZZNS0_12_GLOBAL__N_133hermite_polynomial_he_kernel_cudaERNS_18TensorIteratorBaseEENKUlvE_clEvENKUlvE_clEvEUlddE_EESt5arrayIPcLm3EEEEviT0_T1_
    .private_segment_fixed_size: 0
    .sgpr_count:     27
    .sgpr_spill_count: 0
    .symbol:         _ZN2at6native29vectorized_elementwise_kernelILi2ENS0_13BinaryFunctorIdddZZZNS0_12_GLOBAL__N_133hermite_polynomial_he_kernel_cudaERNS_18TensorIteratorBaseEENKUlvE_clEvENKUlvE_clEvEUlddE_EESt5arrayIPcLm3EEEEviT0_T1_.kd
    .uniform_work_group_size: 1
    .uses_dynamic_stack: false
    .vgpr_count:     30
    .vgpr_spill_count: 0
    .wavefront_size: 64
  - .agpr_count:     0
    .args:
      - .offset:         0
        .size:           4
        .value_kind:     by_value
      - .offset:         4
        .size:           1
        .value_kind:     by_value
      - .offset:         8
        .size:           24
        .value_kind:     by_value
      - .offset:         32
        .size:           1
        .value_kind:     by_value
      - .offset:         33
        .size:           1
        .value_kind:     by_value
      - .offset:         34
        .size:           1
        .value_kind:     by_value
      - .offset:         35
        .size:           1
        .value_kind:     by_value
    .group_segment_fixed_size: 0
    .kernarg_segment_align: 8
    .kernarg_segment_size: 36
    .language:       OpenCL C
    .language_version:
      - 2
      - 0
    .max_flat_workgroup_size: 256
    .name:           _ZN2at6native27unrolled_elementwise_kernelINS0_13BinaryFunctorIdddZZZNS0_12_GLOBAL__N_133hermite_polynomial_he_kernel_cudaERNS_18TensorIteratorBaseEENKUlvE_clEvENKUlvE_clEvEUlddE_EESt5arrayIPcLm3EELi4E23TrivialOffsetCalculatorILi2EjESD_ILi1EjENS0_6memory15LoadWithoutCastENSG_16StoreWithoutCastEEEviT_T0_T2_T3_T4_T5_
    .private_segment_fixed_size: 0
    .sgpr_count:     24
    .sgpr_spill_count: 0
    .symbol:         _ZN2at6native27unrolled_elementwise_kernelINS0_13BinaryFunctorIdddZZZNS0_12_GLOBAL__N_133hermite_polynomial_he_kernel_cudaERNS_18TensorIteratorBaseEENKUlvE_clEvENKUlvE_clEvEUlddE_EESt5arrayIPcLm3EELi4E23TrivialOffsetCalculatorILi2EjESD_ILi1EjENS0_6memory15LoadWithoutCastENSG_16StoreWithoutCastEEEviT_T0_T2_T3_T4_T5_.kd
    .uniform_work_group_size: 1
    .uses_dynamic_stack: false
    .vgpr_count:     30
    .vgpr_spill_count: 0
    .wavefront_size: 64
  - .agpr_count:     0
    .args:
      - .offset:         0
        .size:           4
        .value_kind:     by_value
      - .offset:         8
        .size:           424
        .value_kind:     by_value
    .group_segment_fixed_size: 0
    .kernarg_segment_align: 8
    .kernarg_segment_size: 432
    .language:       OpenCL C
    .language_version:
      - 2
      - 0
    .max_flat_workgroup_size: 128
    .name:           _ZN2at6native32elementwise_kernel_manual_unrollILi128ELi4EZNS0_22gpu_kernel_impl_nocastINS0_13BinaryFunctorIdddZZZNS0_12_GLOBAL__N_133hermite_polynomial_he_kernel_cudaERNS_18TensorIteratorBaseEENKUlvE_clEvENKUlvE_clEvEUlddE_EEEEvS6_RKT_EUlibE_EEviT1_
    .private_segment_fixed_size: 0
    .sgpr_count:     58
    .sgpr_spill_count: 0
    .symbol:         _ZN2at6native32elementwise_kernel_manual_unrollILi128ELi4EZNS0_22gpu_kernel_impl_nocastINS0_13BinaryFunctorIdddZZZNS0_12_GLOBAL__N_133hermite_polynomial_he_kernel_cudaERNS_18TensorIteratorBaseEENKUlvE_clEvENKUlvE_clEvEUlddE_EEEEvS6_RKT_EUlibE_EEviT1_.kd
    .uniform_work_group_size: 1
    .uses_dynamic_stack: false
    .vgpr_count:     32
    .vgpr_spill_count: 0
    .wavefront_size: 64
  - .agpr_count:     0
    .args:
      - .offset:         0
        .size:           4
        .value_kind:     by_value
      - .offset:         8
        .size:           40
        .value_kind:     by_value
    .group_segment_fixed_size: 0
    .kernarg_segment_align: 8
    .kernarg_segment_size: 48
    .language:       OpenCL C
    .language_version:
      - 2
      - 0
    .max_flat_workgroup_size: 128
    .name:           _ZN2at6native32elementwise_kernel_manual_unrollILi128ELi4EZNS0_15gpu_kernel_implINS0_13BinaryFunctorIdddZZZNS0_12_GLOBAL__N_133hermite_polynomial_he_kernel_cudaERNS_18TensorIteratorBaseEENKUlvE_clEvENKUlvE_clEvEUlddE_EEEEvS6_RKT_EUlibE_EEviT1_
    .private_segment_fixed_size: 0
    .sgpr_count:     58
    .sgpr_spill_count: 0
    .symbol:         _ZN2at6native32elementwise_kernel_manual_unrollILi128ELi4EZNS0_15gpu_kernel_implINS0_13BinaryFunctorIdddZZZNS0_12_GLOBAL__N_133hermite_polynomial_he_kernel_cudaERNS_18TensorIteratorBaseEENKUlvE_clEvENKUlvE_clEvEUlddE_EEEEvS6_RKT_EUlibE_EEviT1_.kd
    .uniform_work_group_size: 1
    .uses_dynamic_stack: false
    .vgpr_count:     22
    .vgpr_spill_count: 0
    .wavefront_size: 64
  - .agpr_count:     0
    .args:
      - .offset:         0
        .size:           4
        .value_kind:     by_value
      - .offset:         8
        .size:           424
        .value_kind:     by_value
    .group_segment_fixed_size: 0
    .kernarg_segment_align: 8
    .kernarg_segment_size: 432
    .language:       OpenCL C
    .language_version:
      - 2
      - 0
    .max_flat_workgroup_size: 128
    .name:           _ZN2at6native32elementwise_kernel_manual_unrollILi128ELi4EZNS0_15gpu_kernel_implINS0_13BinaryFunctorIdddZZZNS0_12_GLOBAL__N_133hermite_polynomial_he_kernel_cudaERNS_18TensorIteratorBaseEENKUlvE_clEvENKUlvE_clEvEUlddE_EEEEvS6_RKT_EUlibE0_EEviT1_
    .private_segment_fixed_size: 0
    .sgpr_count:     82
    .sgpr_spill_count: 0
    .symbol:         _ZN2at6native32elementwise_kernel_manual_unrollILi128ELi4EZNS0_15gpu_kernel_implINS0_13BinaryFunctorIdddZZZNS0_12_GLOBAL__N_133hermite_polynomial_he_kernel_cudaERNS_18TensorIteratorBaseEENKUlvE_clEvENKUlvE_clEvEUlddE_EEEEvS6_RKT_EUlibE0_EEviT1_.kd
    .uniform_work_group_size: 1
    .uses_dynamic_stack: false
    .vgpr_count:     32
    .vgpr_spill_count: 0
    .wavefront_size: 64
  - .agpr_count:     0
    .args:
      - .offset:         0
        .size:           4
        .value_kind:     by_value
      - .offset:         4
        .size:           8
        .value_kind:     by_value
      - .offset:         16
        .size:           16
        .value_kind:     by_value
    .group_segment_fixed_size: 0
    .kernarg_segment_align: 8
    .kernarg_segment_size: 32
    .language:       OpenCL C
    .language_version:
      - 2
      - 0
    .max_flat_workgroup_size: 256
    .name:           _ZN2at6native29vectorized_elementwise_kernelILi16ENS0_13AUnaryFunctorIfffZZZNS0_12_GLOBAL__N_133hermite_polynomial_he_kernel_cudaERNS_18TensorIteratorBaseEENKUlvE_clEvENKUlvE0_clEvEUlffE_EESt5arrayIPcLm2EEEEviT0_T1_
    .private_segment_fixed_size: 0
    .sgpr_count:     28
    .sgpr_spill_count: 0
    .symbol:         _ZN2at6native29vectorized_elementwise_kernelILi16ENS0_13AUnaryFunctorIfffZZZNS0_12_GLOBAL__N_133hermite_polynomial_he_kernel_cudaERNS_18TensorIteratorBaseEENKUlvE_clEvENKUlvE0_clEvEUlffE_EESt5arrayIPcLm2EEEEviT0_T1_.kd
    .uniform_work_group_size: 1
    .uses_dynamic_stack: false
    .vgpr_count:     13
    .vgpr_spill_count: 0
    .wavefront_size: 64
  - .agpr_count:     0
    .args:
      - .offset:         0
        .size:           4
        .value_kind:     by_value
      - .offset:         4
        .size:           8
        .value_kind:     by_value
      - .offset:         16
        .size:           16
        .value_kind:     by_value
    .group_segment_fixed_size: 0
    .kernarg_segment_align: 8
    .kernarg_segment_size: 32
    .language:       OpenCL C
    .language_version:
      - 2
      - 0
    .max_flat_workgroup_size: 256
    .name:           _ZN2at6native29vectorized_elementwise_kernelILi8ENS0_13AUnaryFunctorIfffZZZNS0_12_GLOBAL__N_133hermite_polynomial_he_kernel_cudaERNS_18TensorIteratorBaseEENKUlvE_clEvENKUlvE0_clEvEUlffE_EESt5arrayIPcLm2EEEEviT0_T1_
    .private_segment_fixed_size: 0
    .sgpr_count:     28
    .sgpr_spill_count: 0
    .symbol:         _ZN2at6native29vectorized_elementwise_kernelILi8ENS0_13AUnaryFunctorIfffZZZNS0_12_GLOBAL__N_133hermite_polynomial_he_kernel_cudaERNS_18TensorIteratorBaseEENKUlvE_clEvENKUlvE0_clEvEUlffE_EESt5arrayIPcLm2EEEEviT0_T1_.kd
    .uniform_work_group_size: 1
    .uses_dynamic_stack: false
    .vgpr_count:     13
    .vgpr_spill_count: 0
    .wavefront_size: 64
  - .agpr_count:     0
    .args:
      - .offset:         0
        .size:           4
        .value_kind:     by_value
      - .offset:         4
        .size:           8
        .value_kind:     by_value
      - .offset:         16
        .size:           16
        .value_kind:     by_value
    .group_segment_fixed_size: 0
    .kernarg_segment_align: 8
    .kernarg_segment_size: 32
    .language:       OpenCL C
    .language_version:
      - 2
      - 0
    .max_flat_workgroup_size: 256
    .name:           _ZN2at6native29vectorized_elementwise_kernelILi4ENS0_13AUnaryFunctorIfffZZZNS0_12_GLOBAL__N_133hermite_polynomial_he_kernel_cudaERNS_18TensorIteratorBaseEENKUlvE_clEvENKUlvE0_clEvEUlffE_EESt5arrayIPcLm2EEEEviT0_T1_
    .private_segment_fixed_size: 0
    .sgpr_count:     28
    .sgpr_spill_count: 0
    .symbol:         _ZN2at6native29vectorized_elementwise_kernelILi4ENS0_13AUnaryFunctorIfffZZZNS0_12_GLOBAL__N_133hermite_polynomial_he_kernel_cudaERNS_18TensorIteratorBaseEENKUlvE_clEvENKUlvE0_clEvEUlffE_EESt5arrayIPcLm2EEEEviT0_T1_.kd
    .uniform_work_group_size: 1
    .uses_dynamic_stack: false
    .vgpr_count:     13
    .vgpr_spill_count: 0
    .wavefront_size: 64
  - .agpr_count:     0
    .args:
      - .offset:         0
        .size:           4
        .value_kind:     by_value
      - .offset:         4
        .size:           8
        .value_kind:     by_value
      - .offset:         16
        .size:           16
        .value_kind:     by_value
    .group_segment_fixed_size: 0
    .kernarg_segment_align: 8
    .kernarg_segment_size: 32
    .language:       OpenCL C
    .language_version:
      - 2
      - 0
    .max_flat_workgroup_size: 256
    .name:           _ZN2at6native29vectorized_elementwise_kernelILi2ENS0_13AUnaryFunctorIfffZZZNS0_12_GLOBAL__N_133hermite_polynomial_he_kernel_cudaERNS_18TensorIteratorBaseEENKUlvE_clEvENKUlvE0_clEvEUlffE_EESt5arrayIPcLm2EEEEviT0_T1_
    .private_segment_fixed_size: 0
    .sgpr_count:     28
    .sgpr_spill_count: 0
    .symbol:         _ZN2at6native29vectorized_elementwise_kernelILi2ENS0_13AUnaryFunctorIfffZZZNS0_12_GLOBAL__N_133hermite_polynomial_he_kernel_cudaERNS_18TensorIteratorBaseEENKUlvE_clEvENKUlvE0_clEvEUlffE_EESt5arrayIPcLm2EEEEviT0_T1_.kd
    .uniform_work_group_size: 1
    .uses_dynamic_stack: false
    .vgpr_count:     13
    .vgpr_spill_count: 0
    .wavefront_size: 64
  - .agpr_count:     0
    .args:
      - .offset:         0
        .size:           4
        .value_kind:     by_value
      - .offset:         4
        .size:           8
        .value_kind:     by_value
      - .offset:         16
        .size:           16
        .value_kind:     by_value
      - .offset:         32
        .size:           1
        .value_kind:     by_value
      - .offset:         33
        .size:           1
        .value_kind:     by_value
      - .offset:         34
        .size:           1
        .value_kind:     by_value
      - .offset:         35
        .size:           1
        .value_kind:     by_value
    .group_segment_fixed_size: 0
    .kernarg_segment_align: 8
    .kernarg_segment_size: 36
    .language:       OpenCL C
    .language_version:
      - 2
      - 0
    .max_flat_workgroup_size: 256
    .name:           _ZN2at6native27unrolled_elementwise_kernelINS0_13AUnaryFunctorIfffZZZNS0_12_GLOBAL__N_133hermite_polynomial_he_kernel_cudaERNS_18TensorIteratorBaseEENKUlvE_clEvENKUlvE0_clEvEUlffE_EESt5arrayIPcLm2EELi4E23TrivialOffsetCalculatorILi1EjESE_NS0_6memory15LoadWithoutCastENSF_16StoreWithoutCastEEEviT_T0_T2_T3_T4_T5_
    .private_segment_fixed_size: 0
    .sgpr_count:     26
    .sgpr_spill_count: 0
    .symbol:         _ZN2at6native27unrolled_elementwise_kernelINS0_13AUnaryFunctorIfffZZZNS0_12_GLOBAL__N_133hermite_polynomial_he_kernel_cudaERNS_18TensorIteratorBaseEENKUlvE_clEvENKUlvE0_clEvEUlffE_EESt5arrayIPcLm2EELi4E23TrivialOffsetCalculatorILi1EjESE_NS0_6memory15LoadWithoutCastENSF_16StoreWithoutCastEEEviT_T0_T2_T3_T4_T5_.kd
    .uniform_work_group_size: 1
    .uses_dynamic_stack: false
    .vgpr_count:     13
    .vgpr_spill_count: 0
    .wavefront_size: 64
  - .agpr_count:     0
    .args:
      - .offset:         0
        .size:           4
        .value_kind:     by_value
      - .offset:         8
        .size:           352
        .value_kind:     by_value
    .group_segment_fixed_size: 0
    .kernarg_segment_align: 8
    .kernarg_segment_size: 360
    .language:       OpenCL C
    .language_version:
      - 2
      - 0
    .max_flat_workgroup_size: 128
    .name:           _ZN2at6native32elementwise_kernel_manual_unrollILi128ELi4EZNS0_22gpu_kernel_impl_nocastINS0_13AUnaryFunctorIfffZZZNS0_12_GLOBAL__N_133hermite_polynomial_he_kernel_cudaERNS_18TensorIteratorBaseEENKUlvE_clEvENKUlvE0_clEvEUlffE_EEEEvS6_RKT_EUlibE_EEviT1_
    .private_segment_fixed_size: 0
    .sgpr_count:     65
    .sgpr_spill_count: 0
    .symbol:         _ZN2at6native32elementwise_kernel_manual_unrollILi128ELi4EZNS0_22gpu_kernel_impl_nocastINS0_13AUnaryFunctorIfffZZZNS0_12_GLOBAL__N_133hermite_polynomial_he_kernel_cudaERNS_18TensorIteratorBaseEENKUlvE_clEvENKUlvE0_clEvEUlffE_EEEEvS6_RKT_EUlibE_EEviT1_.kd
    .uniform_work_group_size: 1
    .uses_dynamic_stack: false
    .vgpr_count:     18
    .vgpr_spill_count: 0
    .wavefront_size: 64
  - .agpr_count:     0
    .args:
      - .offset:         0
        .size:           4
        .value_kind:     by_value
      - .offset:         8
        .size:           40
        .value_kind:     by_value
    .group_segment_fixed_size: 0
    .kernarg_segment_align: 8
    .kernarg_segment_size: 48
    .language:       OpenCL C
    .language_version:
      - 2
      - 0
    .max_flat_workgroup_size: 128
    .name:           _ZN2at6native32elementwise_kernel_manual_unrollILi128ELi4EZNS0_15gpu_kernel_implINS0_13AUnaryFunctorIfffZZZNS0_12_GLOBAL__N_133hermite_polynomial_he_kernel_cudaERNS_18TensorIteratorBaseEENKUlvE_clEvENKUlvE0_clEvEUlffE_EEEEvS6_RKT_EUlibE_EEviT1_
    .private_segment_fixed_size: 0
    .sgpr_count:     49
    .sgpr_spill_count: 0
    .symbol:         _ZN2at6native32elementwise_kernel_manual_unrollILi128ELi4EZNS0_15gpu_kernel_implINS0_13AUnaryFunctorIfffZZZNS0_12_GLOBAL__N_133hermite_polynomial_he_kernel_cudaERNS_18TensorIteratorBaseEENKUlvE_clEvENKUlvE0_clEvEUlffE_EEEEvS6_RKT_EUlibE_EEviT1_.kd
    .uniform_work_group_size: 1
    .uses_dynamic_stack: false
    .vgpr_count:     14
    .vgpr_spill_count: 0
    .wavefront_size: 64
  - .agpr_count:     0
    .args:
      - .offset:         0
        .size:           4
        .value_kind:     by_value
      - .offset:         8
        .size:           360
        .value_kind:     by_value
    .group_segment_fixed_size: 0
    .kernarg_segment_align: 8
    .kernarg_segment_size: 368
    .language:       OpenCL C
    .language_version:
      - 2
      - 0
    .max_flat_workgroup_size: 128
    .name:           _ZN2at6native32elementwise_kernel_manual_unrollILi128ELi4EZNS0_15gpu_kernel_implINS0_13AUnaryFunctorIfffZZZNS0_12_GLOBAL__N_133hermite_polynomial_he_kernel_cudaERNS_18TensorIteratorBaseEENKUlvE_clEvENKUlvE0_clEvEUlffE_EEEEvS6_RKT_EUlibE0_EEviT1_
    .private_segment_fixed_size: 0
    .sgpr_count:     82
    .sgpr_spill_count: 0
    .symbol:         _ZN2at6native32elementwise_kernel_manual_unrollILi128ELi4EZNS0_15gpu_kernel_implINS0_13AUnaryFunctorIfffZZZNS0_12_GLOBAL__N_133hermite_polynomial_he_kernel_cudaERNS_18TensorIteratorBaseEENKUlvE_clEvENKUlvE0_clEvEUlffE_EEEEvS6_RKT_EUlibE0_EEviT1_.kd
    .uniform_work_group_size: 1
    .uses_dynamic_stack: false
    .vgpr_count:     20
    .vgpr_spill_count: 0
    .wavefront_size: 64
  - .agpr_count:     0
    .args:
      - .offset:         0
        .size:           4
        .value_kind:     by_value
      - .offset:         4
        .size:           8
        .value_kind:     by_value
      - .offset:         16
        .size:           16
        .value_kind:     by_value
    .group_segment_fixed_size: 0
    .kernarg_segment_align: 8
    .kernarg_segment_size: 32
    .language:       OpenCL C
    .language_version:
      - 2
      - 0
    .max_flat_workgroup_size: 256
    .name:           _ZN2at6native29vectorized_elementwise_kernelILi16ENS0_13BUnaryFunctorIfffZZZNS0_12_GLOBAL__N_133hermite_polynomial_he_kernel_cudaERNS_18TensorIteratorBaseEENKUlvE_clEvENKUlvE0_clEvEUlffE_EESt5arrayIPcLm2EEEEviT0_T1_
    .private_segment_fixed_size: 0
    .sgpr_count:     26
    .sgpr_spill_count: 0
    .symbol:         _ZN2at6native29vectorized_elementwise_kernelILi16ENS0_13BUnaryFunctorIfffZZZNS0_12_GLOBAL__N_133hermite_polynomial_he_kernel_cudaERNS_18TensorIteratorBaseEENKUlvE_clEvENKUlvE0_clEvEUlffE_EESt5arrayIPcLm2EEEEviT0_T1_.kd
    .uniform_work_group_size: 1
    .uses_dynamic_stack: false
    .vgpr_count:     12
    .vgpr_spill_count: 0
    .wavefront_size: 64
  - .agpr_count:     0
    .args:
      - .offset:         0
        .size:           4
        .value_kind:     by_value
      - .offset:         4
        .size:           8
        .value_kind:     by_value
      - .offset:         16
        .size:           16
        .value_kind:     by_value
    .group_segment_fixed_size: 0
    .kernarg_segment_align: 8
    .kernarg_segment_size: 32
    .language:       OpenCL C
    .language_version:
      - 2
      - 0
    .max_flat_workgroup_size: 256
    .name:           _ZN2at6native29vectorized_elementwise_kernelILi8ENS0_13BUnaryFunctorIfffZZZNS0_12_GLOBAL__N_133hermite_polynomial_he_kernel_cudaERNS_18TensorIteratorBaseEENKUlvE_clEvENKUlvE0_clEvEUlffE_EESt5arrayIPcLm2EEEEviT0_T1_
    .private_segment_fixed_size: 0
    .sgpr_count:     26
    .sgpr_spill_count: 0
    .symbol:         _ZN2at6native29vectorized_elementwise_kernelILi8ENS0_13BUnaryFunctorIfffZZZNS0_12_GLOBAL__N_133hermite_polynomial_he_kernel_cudaERNS_18TensorIteratorBaseEENKUlvE_clEvENKUlvE0_clEvEUlffE_EESt5arrayIPcLm2EEEEviT0_T1_.kd
    .uniform_work_group_size: 1
    .uses_dynamic_stack: false
    .vgpr_count:     12
    .vgpr_spill_count: 0
    .wavefront_size: 64
  - .agpr_count:     0
    .args:
      - .offset:         0
        .size:           4
        .value_kind:     by_value
      - .offset:         4
        .size:           8
        .value_kind:     by_value
      - .offset:         16
        .size:           16
        .value_kind:     by_value
    .group_segment_fixed_size: 0
    .kernarg_segment_align: 8
    .kernarg_segment_size: 32
    .language:       OpenCL C
    .language_version:
      - 2
      - 0
    .max_flat_workgroup_size: 256
    .name:           _ZN2at6native29vectorized_elementwise_kernelILi4ENS0_13BUnaryFunctorIfffZZZNS0_12_GLOBAL__N_133hermite_polynomial_he_kernel_cudaERNS_18TensorIteratorBaseEENKUlvE_clEvENKUlvE0_clEvEUlffE_EESt5arrayIPcLm2EEEEviT0_T1_
    .private_segment_fixed_size: 0
    .sgpr_count:     26
    .sgpr_spill_count: 0
    .symbol:         _ZN2at6native29vectorized_elementwise_kernelILi4ENS0_13BUnaryFunctorIfffZZZNS0_12_GLOBAL__N_133hermite_polynomial_he_kernel_cudaERNS_18TensorIteratorBaseEENKUlvE_clEvENKUlvE0_clEvEUlffE_EESt5arrayIPcLm2EEEEviT0_T1_.kd
    .uniform_work_group_size: 1
    .uses_dynamic_stack: false
    .vgpr_count:     12
    .vgpr_spill_count: 0
    .wavefront_size: 64
  - .agpr_count:     0
    .args:
      - .offset:         0
        .size:           4
        .value_kind:     by_value
      - .offset:         4
        .size:           8
        .value_kind:     by_value
      - .offset:         16
        .size:           16
        .value_kind:     by_value
    .group_segment_fixed_size: 0
    .kernarg_segment_align: 8
    .kernarg_segment_size: 32
    .language:       OpenCL C
    .language_version:
      - 2
      - 0
    .max_flat_workgroup_size: 256
    .name:           _ZN2at6native29vectorized_elementwise_kernelILi2ENS0_13BUnaryFunctorIfffZZZNS0_12_GLOBAL__N_133hermite_polynomial_he_kernel_cudaERNS_18TensorIteratorBaseEENKUlvE_clEvENKUlvE0_clEvEUlffE_EESt5arrayIPcLm2EEEEviT0_T1_
    .private_segment_fixed_size: 0
    .sgpr_count:     26
    .sgpr_spill_count: 0
    .symbol:         _ZN2at6native29vectorized_elementwise_kernelILi2ENS0_13BUnaryFunctorIfffZZZNS0_12_GLOBAL__N_133hermite_polynomial_he_kernel_cudaERNS_18TensorIteratorBaseEENKUlvE_clEvENKUlvE0_clEvEUlffE_EESt5arrayIPcLm2EEEEviT0_T1_.kd
    .uniform_work_group_size: 1
    .uses_dynamic_stack: false
    .vgpr_count:     12
    .vgpr_spill_count: 0
    .wavefront_size: 64
  - .agpr_count:     0
    .args:
      - .offset:         0
        .size:           4
        .value_kind:     by_value
      - .offset:         4
        .size:           8
        .value_kind:     by_value
      - .offset:         16
        .size:           16
        .value_kind:     by_value
      - .offset:         32
        .size:           1
        .value_kind:     by_value
      - .offset:         33
        .size:           1
        .value_kind:     by_value
      - .offset:         34
        .size:           1
        .value_kind:     by_value
      - .offset:         35
        .size:           1
        .value_kind:     by_value
    .group_segment_fixed_size: 0
    .kernarg_segment_align: 8
    .kernarg_segment_size: 36
    .language:       OpenCL C
    .language_version:
      - 2
      - 0
    .max_flat_workgroup_size: 256
    .name:           _ZN2at6native27unrolled_elementwise_kernelINS0_13BUnaryFunctorIfffZZZNS0_12_GLOBAL__N_133hermite_polynomial_he_kernel_cudaERNS_18TensorIteratorBaseEENKUlvE_clEvENKUlvE0_clEvEUlffE_EESt5arrayIPcLm2EELi4E23TrivialOffsetCalculatorILi1EjESE_NS0_6memory15LoadWithoutCastENSF_16StoreWithoutCastEEEviT_T0_T2_T3_T4_T5_
    .private_segment_fixed_size: 0
    .sgpr_count:     23
    .sgpr_spill_count: 0
    .symbol:         _ZN2at6native27unrolled_elementwise_kernelINS0_13BUnaryFunctorIfffZZZNS0_12_GLOBAL__N_133hermite_polynomial_he_kernel_cudaERNS_18TensorIteratorBaseEENKUlvE_clEvENKUlvE0_clEvEUlffE_EESt5arrayIPcLm2EELi4E23TrivialOffsetCalculatorILi1EjESE_NS0_6memory15LoadWithoutCastENSF_16StoreWithoutCastEEEviT_T0_T2_T3_T4_T5_.kd
    .uniform_work_group_size: 1
    .uses_dynamic_stack: false
    .vgpr_count:     12
    .vgpr_spill_count: 0
    .wavefront_size: 64
  - .agpr_count:     0
    .args:
      - .offset:         0
        .size:           4
        .value_kind:     by_value
      - .offset:         8
        .size:           352
        .value_kind:     by_value
    .group_segment_fixed_size: 0
    .kernarg_segment_align: 8
    .kernarg_segment_size: 360
    .language:       OpenCL C
    .language_version:
      - 2
      - 0
    .max_flat_workgroup_size: 128
    .name:           _ZN2at6native32elementwise_kernel_manual_unrollILi128ELi4EZNS0_22gpu_kernel_impl_nocastINS0_13BUnaryFunctorIfffZZZNS0_12_GLOBAL__N_133hermite_polynomial_he_kernel_cudaERNS_18TensorIteratorBaseEENKUlvE_clEvENKUlvE0_clEvEUlffE_EEEEvS6_RKT_EUlibE_EEviT1_
    .private_segment_fixed_size: 0
    .sgpr_count:     70
    .sgpr_spill_count: 0
    .symbol:         _ZN2at6native32elementwise_kernel_manual_unrollILi128ELi4EZNS0_22gpu_kernel_impl_nocastINS0_13BUnaryFunctorIfffZZZNS0_12_GLOBAL__N_133hermite_polynomial_he_kernel_cudaERNS_18TensorIteratorBaseEENKUlvE_clEvENKUlvE0_clEvEUlffE_EEEEvS6_RKT_EUlibE_EEviT1_.kd
    .uniform_work_group_size: 1
    .uses_dynamic_stack: false
    .vgpr_count:     18
    .vgpr_spill_count: 0
    .wavefront_size: 64
  - .agpr_count:     0
    .args:
      - .offset:         0
        .size:           4
        .value_kind:     by_value
      - .offset:         8
        .size:           40
        .value_kind:     by_value
    .group_segment_fixed_size: 0
    .kernarg_segment_align: 8
    .kernarg_segment_size: 48
    .language:       OpenCL C
    .language_version:
      - 2
      - 0
    .max_flat_workgroup_size: 128
    .name:           _ZN2at6native32elementwise_kernel_manual_unrollILi128ELi4EZNS0_15gpu_kernel_implINS0_13BUnaryFunctorIfffZZZNS0_12_GLOBAL__N_133hermite_polynomial_he_kernel_cudaERNS_18TensorIteratorBaseEENKUlvE_clEvENKUlvE0_clEvEUlffE_EEEEvS6_RKT_EUlibE_EEviT1_
    .private_segment_fixed_size: 0
    .sgpr_count:     54
    .sgpr_spill_count: 0
    .symbol:         _ZN2at6native32elementwise_kernel_manual_unrollILi128ELi4EZNS0_15gpu_kernel_implINS0_13BUnaryFunctorIfffZZZNS0_12_GLOBAL__N_133hermite_polynomial_he_kernel_cudaERNS_18TensorIteratorBaseEENKUlvE_clEvENKUlvE0_clEvEUlffE_EEEEvS6_RKT_EUlibE_EEviT1_.kd
    .uniform_work_group_size: 1
    .uses_dynamic_stack: false
    .vgpr_count:     14
    .vgpr_spill_count: 0
    .wavefront_size: 64
  - .agpr_count:     0
    .args:
      - .offset:         0
        .size:           4
        .value_kind:     by_value
      - .offset:         8
        .size:           360
        .value_kind:     by_value
    .group_segment_fixed_size: 0
    .kernarg_segment_align: 8
    .kernarg_segment_size: 368
    .language:       OpenCL C
    .language_version:
      - 2
      - 0
    .max_flat_workgroup_size: 128
    .name:           _ZN2at6native32elementwise_kernel_manual_unrollILi128ELi4EZNS0_15gpu_kernel_implINS0_13BUnaryFunctorIfffZZZNS0_12_GLOBAL__N_133hermite_polynomial_he_kernel_cudaERNS_18TensorIteratorBaseEENKUlvE_clEvENKUlvE0_clEvEUlffE_EEEEvS6_RKT_EUlibE0_EEviT1_
    .private_segment_fixed_size: 0
    .sgpr_count:     87
    .sgpr_spill_count: 0
    .symbol:         _ZN2at6native32elementwise_kernel_manual_unrollILi128ELi4EZNS0_15gpu_kernel_implINS0_13BUnaryFunctorIfffZZZNS0_12_GLOBAL__N_133hermite_polynomial_he_kernel_cudaERNS_18TensorIteratorBaseEENKUlvE_clEvENKUlvE0_clEvEUlffE_EEEEvS6_RKT_EUlibE0_EEviT1_.kd
    .uniform_work_group_size: 1
    .uses_dynamic_stack: false
    .vgpr_count:     20
    .vgpr_spill_count: 0
    .wavefront_size: 64
  - .agpr_count:     0
    .args:
      - .offset:         0
        .size:           4
        .value_kind:     by_value
      - .offset:         4
        .size:           1
        .value_kind:     by_value
      - .offset:         8
        .size:           24
        .value_kind:     by_value
    .group_segment_fixed_size: 0
    .kernarg_segment_align: 8
    .kernarg_segment_size: 32
    .language:       OpenCL C
    .language_version:
      - 2
      - 0
    .max_flat_workgroup_size: 256
    .name:           _ZN2at6native29vectorized_elementwise_kernelILi16ENS0_13BinaryFunctorIfffZZZNS0_12_GLOBAL__N_133hermite_polynomial_he_kernel_cudaERNS_18TensorIteratorBaseEENKUlvE_clEvENKUlvE0_clEvEUlffE_EESt5arrayIPcLm3EEEEviT0_T1_
    .private_segment_fixed_size: 0
    .sgpr_count:     30
    .sgpr_spill_count: 0
    .symbol:         _ZN2at6native29vectorized_elementwise_kernelILi16ENS0_13BinaryFunctorIfffZZZNS0_12_GLOBAL__N_133hermite_polynomial_he_kernel_cudaERNS_18TensorIteratorBaseEENKUlvE_clEvENKUlvE0_clEvEUlffE_EESt5arrayIPcLm3EEEEviT0_T1_.kd
    .uniform_work_group_size: 1
    .uses_dynamic_stack: false
    .vgpr_count:     16
    .vgpr_spill_count: 0
    .wavefront_size: 64
  - .agpr_count:     0
    .args:
      - .offset:         0
        .size:           4
        .value_kind:     by_value
      - .offset:         4
        .size:           1
        .value_kind:     by_value
      - .offset:         8
        .size:           24
        .value_kind:     by_value
    .group_segment_fixed_size: 0
    .kernarg_segment_align: 8
    .kernarg_segment_size: 32
    .language:       OpenCL C
    .language_version:
      - 2
      - 0
    .max_flat_workgroup_size: 256
    .name:           _ZN2at6native29vectorized_elementwise_kernelILi8ENS0_13BinaryFunctorIfffZZZNS0_12_GLOBAL__N_133hermite_polynomial_he_kernel_cudaERNS_18TensorIteratorBaseEENKUlvE_clEvENKUlvE0_clEvEUlffE_EESt5arrayIPcLm3EEEEviT0_T1_
    .private_segment_fixed_size: 0
    .sgpr_count:     30
    .sgpr_spill_count: 0
    .symbol:         _ZN2at6native29vectorized_elementwise_kernelILi8ENS0_13BinaryFunctorIfffZZZNS0_12_GLOBAL__N_133hermite_polynomial_he_kernel_cudaERNS_18TensorIteratorBaseEENKUlvE_clEvENKUlvE0_clEvEUlffE_EESt5arrayIPcLm3EEEEviT0_T1_.kd
    .uniform_work_group_size: 1
    .uses_dynamic_stack: false
    .vgpr_count:     16
    .vgpr_spill_count: 0
    .wavefront_size: 64
  - .agpr_count:     0
    .args:
      - .offset:         0
        .size:           4
        .value_kind:     by_value
      - .offset:         4
        .size:           1
        .value_kind:     by_value
      - .offset:         8
        .size:           24
        .value_kind:     by_value
    .group_segment_fixed_size: 0
    .kernarg_segment_align: 8
    .kernarg_segment_size: 32
    .language:       OpenCL C
    .language_version:
      - 2
      - 0
    .max_flat_workgroup_size: 256
    .name:           _ZN2at6native29vectorized_elementwise_kernelILi4ENS0_13BinaryFunctorIfffZZZNS0_12_GLOBAL__N_133hermite_polynomial_he_kernel_cudaERNS_18TensorIteratorBaseEENKUlvE_clEvENKUlvE0_clEvEUlffE_EESt5arrayIPcLm3EEEEviT0_T1_
    .private_segment_fixed_size: 0
    .sgpr_count:     30
    .sgpr_spill_count: 0
    .symbol:         _ZN2at6native29vectorized_elementwise_kernelILi4ENS0_13BinaryFunctorIfffZZZNS0_12_GLOBAL__N_133hermite_polynomial_he_kernel_cudaERNS_18TensorIteratorBaseEENKUlvE_clEvENKUlvE0_clEvEUlffE_EESt5arrayIPcLm3EEEEviT0_T1_.kd
    .uniform_work_group_size: 1
    .uses_dynamic_stack: false
    .vgpr_count:     16
    .vgpr_spill_count: 0
    .wavefront_size: 64
  - .agpr_count:     0
    .args:
      - .offset:         0
        .size:           4
        .value_kind:     by_value
      - .offset:         4
        .size:           1
        .value_kind:     by_value
      - .offset:         8
        .size:           24
        .value_kind:     by_value
    .group_segment_fixed_size: 0
    .kernarg_segment_align: 8
    .kernarg_segment_size: 32
    .language:       OpenCL C
    .language_version:
      - 2
      - 0
    .max_flat_workgroup_size: 256
    .name:           _ZN2at6native29vectorized_elementwise_kernelILi2ENS0_13BinaryFunctorIfffZZZNS0_12_GLOBAL__N_133hermite_polynomial_he_kernel_cudaERNS_18TensorIteratorBaseEENKUlvE_clEvENKUlvE0_clEvEUlffE_EESt5arrayIPcLm3EEEEviT0_T1_
    .private_segment_fixed_size: 0
    .sgpr_count:     30
    .sgpr_spill_count: 0
    .symbol:         _ZN2at6native29vectorized_elementwise_kernelILi2ENS0_13BinaryFunctorIfffZZZNS0_12_GLOBAL__N_133hermite_polynomial_he_kernel_cudaERNS_18TensorIteratorBaseEENKUlvE_clEvENKUlvE0_clEvEUlffE_EESt5arrayIPcLm3EEEEviT0_T1_.kd
    .uniform_work_group_size: 1
    .uses_dynamic_stack: false
    .vgpr_count:     16
    .vgpr_spill_count: 0
    .wavefront_size: 64
  - .agpr_count:     0
    .args:
      - .offset:         0
        .size:           4
        .value_kind:     by_value
      - .offset:         4
        .size:           1
        .value_kind:     by_value
      - .offset:         8
        .size:           24
        .value_kind:     by_value
      - .offset:         32
        .size:           1
        .value_kind:     by_value
      - .offset:         33
        .size:           1
        .value_kind:     by_value
      - .offset:         34
        .size:           1
        .value_kind:     by_value
      - .offset:         35
        .size:           1
        .value_kind:     by_value
    .group_segment_fixed_size: 0
    .kernarg_segment_align: 8
    .kernarg_segment_size: 36
    .language:       OpenCL C
    .language_version:
      - 2
      - 0
    .max_flat_workgroup_size: 256
    .name:           _ZN2at6native27unrolled_elementwise_kernelINS0_13BinaryFunctorIfffZZZNS0_12_GLOBAL__N_133hermite_polynomial_he_kernel_cudaERNS_18TensorIteratorBaseEENKUlvE_clEvENKUlvE0_clEvEUlffE_EESt5arrayIPcLm3EELi4E23TrivialOffsetCalculatorILi2EjESD_ILi1EjENS0_6memory15LoadWithoutCastENSG_16StoreWithoutCastEEEviT_T0_T2_T3_T4_T5_
    .private_segment_fixed_size: 0
    .sgpr_count:     25
    .sgpr_spill_count: 0
    .symbol:         _ZN2at6native27unrolled_elementwise_kernelINS0_13BinaryFunctorIfffZZZNS0_12_GLOBAL__N_133hermite_polynomial_he_kernel_cudaERNS_18TensorIteratorBaseEENKUlvE_clEvENKUlvE0_clEvEUlffE_EESt5arrayIPcLm3EELi4E23TrivialOffsetCalculatorILi2EjESD_ILi1EjENS0_6memory15LoadWithoutCastENSG_16StoreWithoutCastEEEviT_T0_T2_T3_T4_T5_.kd
    .uniform_work_group_size: 1
    .uses_dynamic_stack: false
    .vgpr_count:     16
    .vgpr_spill_count: 0
    .wavefront_size: 64
  - .agpr_count:     0
    .args:
      - .offset:         0
        .size:           4
        .value_kind:     by_value
      - .offset:         8
        .size:           424
        .value_kind:     by_value
    .group_segment_fixed_size: 0
    .kernarg_segment_align: 8
    .kernarg_segment_size: 432
    .language:       OpenCL C
    .language_version:
      - 2
      - 0
    .max_flat_workgroup_size: 128
    .name:           _ZN2at6native32elementwise_kernel_manual_unrollILi128ELi4EZNS0_22gpu_kernel_impl_nocastINS0_13BinaryFunctorIfffZZZNS0_12_GLOBAL__N_133hermite_polynomial_he_kernel_cudaERNS_18TensorIteratorBaseEENKUlvE_clEvENKUlvE0_clEvEUlffE_EEEEvS6_RKT_EUlibE_EEviT1_
    .private_segment_fixed_size: 0
    .sgpr_count:     58
    .sgpr_spill_count: 0
    .symbol:         _ZN2at6native32elementwise_kernel_manual_unrollILi128ELi4EZNS0_22gpu_kernel_impl_nocastINS0_13BinaryFunctorIfffZZZNS0_12_GLOBAL__N_133hermite_polynomial_he_kernel_cudaERNS_18TensorIteratorBaseEENKUlvE_clEvENKUlvE0_clEvEUlffE_EEEEvS6_RKT_EUlibE_EEviT1_.kd
    .uniform_work_group_size: 1
    .uses_dynamic_stack: false
    .vgpr_count:     25
    .vgpr_spill_count: 0
    .wavefront_size: 64
  - .agpr_count:     0
    .args:
      - .offset:         0
        .size:           4
        .value_kind:     by_value
      - .offset:         4
        .size:           1
        .value_kind:     by_value
      - .offset:         8
        .size:           24
        .value_kind:     by_value
      - .offset:         32
        .size:           1
        .value_kind:     by_value
      - .offset:         33
        .size:           1
        .value_kind:     by_value
      - .offset:         36
        .size:           12
        .value_kind:     by_value
      - .offset:         48
        .size:           8
        .value_kind:     by_value
      - .offset:         56
        .size:           4
        .value_kind:     hidden_block_count_x
      - .offset:         60
        .size:           4
        .value_kind:     hidden_block_count_y
      - .offset:         64
        .size:           4
        .value_kind:     hidden_block_count_z
      - .offset:         68
        .size:           2
        .value_kind:     hidden_group_size_x
      - .offset:         70
        .size:           2
        .value_kind:     hidden_group_size_y
      - .offset:         72
        .size:           2
        .value_kind:     hidden_group_size_z
      - .offset:         74
        .size:           2
        .value_kind:     hidden_remainder_x
      - .offset:         76
        .size:           2
        .value_kind:     hidden_remainder_y
      - .offset:         78
        .size:           2
        .value_kind:     hidden_remainder_z
      - .offset:         96
        .size:           8
        .value_kind:     hidden_global_offset_x
      - .offset:         104
        .size:           8
        .value_kind:     hidden_global_offset_y
      - .offset:         112
        .size:           8
        .value_kind:     hidden_global_offset_z
      - .offset:         120
        .size:           2
        .value_kind:     hidden_grid_dims
    .group_segment_fixed_size: 0
    .kernarg_segment_align: 8
    .kernarg_segment_size: 312
    .language:       OpenCL C
    .language_version:
      - 2
      - 0
    .max_flat_workgroup_size: 512
    .name:           _ZN2at6native39vectorized_templated_elementwise_kernelILi8ENS0_13BinaryFunctorIfffZZZNS0_12_GLOBAL__N_133hermite_polynomial_he_kernel_cudaERNS_18TensorIteratorBaseEENKUlvE_clEvENKUlvE0_clEvEUlffE_EESt5arrayIPcLm3EE23TrivialOffsetCalculatorILi2EjESD_ILi1EjENS0_6memory12LoadWithCastILi2EEENSG_13StoreWithCastILi1EEEfJfN3c108BFloat16EEEEviT0_T1_T2_T3_T4_T5_
    .private_segment_fixed_size: 288
    .sgpr_count:     104
    .sgpr_spill_count: 0
    .symbol:         _ZN2at6native39vectorized_templated_elementwise_kernelILi8ENS0_13BinaryFunctorIfffZZZNS0_12_GLOBAL__N_133hermite_polynomial_he_kernel_cudaERNS_18TensorIteratorBaseEENKUlvE_clEvENKUlvE0_clEvEUlffE_EESt5arrayIPcLm3EE23TrivialOffsetCalculatorILi2EjESD_ILi1EjENS0_6memory12LoadWithCastILi2EEENSG_13StoreWithCastILi1EEEfJfN3c108BFloat16EEEEviT0_T1_T2_T3_T4_T5_.kd
    .uniform_work_group_size: 1
    .uses_dynamic_stack: false
    .vgpr_count:     120
    .vgpr_spill_count: 0
    .wavefront_size: 64
  - .agpr_count:     0
    .args:
      - .offset:         0
        .size:           4
        .value_kind:     by_value
      - .offset:         4
        .size:           1
        .value_kind:     by_value
      - .offset:         8
        .size:           24
        .value_kind:     by_value
      - .offset:         32
        .size:           1
        .value_kind:     by_value
      - .offset:         33
        .size:           1
        .value_kind:     by_value
      - .offset:         36
        .size:           12
        .value_kind:     by_value
      - .offset:         48
        .size:           8
        .value_kind:     by_value
      - .offset:         56
        .size:           4
        .value_kind:     hidden_block_count_x
      - .offset:         60
        .size:           4
        .value_kind:     hidden_block_count_y
      - .offset:         64
        .size:           4
        .value_kind:     hidden_block_count_z
      - .offset:         68
        .size:           2
        .value_kind:     hidden_group_size_x
      - .offset:         70
        .size:           2
        .value_kind:     hidden_group_size_y
      - .offset:         72
        .size:           2
        .value_kind:     hidden_group_size_z
      - .offset:         74
        .size:           2
        .value_kind:     hidden_remainder_x
      - .offset:         76
        .size:           2
        .value_kind:     hidden_remainder_y
      - .offset:         78
        .size:           2
        .value_kind:     hidden_remainder_z
      - .offset:         96
        .size:           8
        .value_kind:     hidden_global_offset_x
      - .offset:         104
        .size:           8
        .value_kind:     hidden_global_offset_y
      - .offset:         112
        .size:           8
        .value_kind:     hidden_global_offset_z
      - .offset:         120
        .size:           2
        .value_kind:     hidden_grid_dims
    .group_segment_fixed_size: 0
    .kernarg_segment_align: 8
    .kernarg_segment_size: 312
    .language:       OpenCL C
    .language_version:
      - 2
      - 0
    .max_flat_workgroup_size: 512
    .name:           _ZN2at6native39vectorized_templated_elementwise_kernelILi4ENS0_13BinaryFunctorIfffZZZNS0_12_GLOBAL__N_133hermite_polynomial_he_kernel_cudaERNS_18TensorIteratorBaseEENKUlvE_clEvENKUlvE0_clEvEUlffE_EESt5arrayIPcLm3EE23TrivialOffsetCalculatorILi2EjESD_ILi1EjENS0_6memory12LoadWithCastILi2EEENSG_13StoreWithCastILi1EEEfJfN3c108BFloat16EEEEviT0_T1_T2_T3_T4_T5_
    .private_segment_fixed_size: 288
    .sgpr_count:     104
    .sgpr_spill_count: 0
    .symbol:         _ZN2at6native39vectorized_templated_elementwise_kernelILi4ENS0_13BinaryFunctorIfffZZZNS0_12_GLOBAL__N_133hermite_polynomial_he_kernel_cudaERNS_18TensorIteratorBaseEENKUlvE_clEvENKUlvE0_clEvEUlffE_EESt5arrayIPcLm3EE23TrivialOffsetCalculatorILi2EjESD_ILi1EjENS0_6memory12LoadWithCastILi2EEENSG_13StoreWithCastILi1EEEfJfN3c108BFloat16EEEEviT0_T1_T2_T3_T4_T5_.kd
    .uniform_work_group_size: 1
    .uses_dynamic_stack: false
    .vgpr_count:     120
    .vgpr_spill_count: 0
    .wavefront_size: 64
  - .agpr_count:     0
    .args:
      - .offset:         0
        .size:           4
        .value_kind:     by_value
      - .offset:         4
        .size:           1
        .value_kind:     by_value
      - .offset:         8
        .size:           24
        .value_kind:     by_value
      - .offset:         32
        .size:           1
        .value_kind:     by_value
      - .offset:         33
        .size:           1
        .value_kind:     by_value
      - .offset:         36
        .size:           12
        .value_kind:     by_value
      - .offset:         48
        .size:           8
        .value_kind:     by_value
      - .offset:         56
        .size:           4
        .value_kind:     hidden_block_count_x
      - .offset:         60
        .size:           4
        .value_kind:     hidden_block_count_y
      - .offset:         64
        .size:           4
        .value_kind:     hidden_block_count_z
      - .offset:         68
        .size:           2
        .value_kind:     hidden_group_size_x
      - .offset:         70
        .size:           2
        .value_kind:     hidden_group_size_y
      - .offset:         72
        .size:           2
        .value_kind:     hidden_group_size_z
      - .offset:         74
        .size:           2
        .value_kind:     hidden_remainder_x
      - .offset:         76
        .size:           2
        .value_kind:     hidden_remainder_y
      - .offset:         78
        .size:           2
        .value_kind:     hidden_remainder_z
      - .offset:         96
        .size:           8
        .value_kind:     hidden_global_offset_x
      - .offset:         104
        .size:           8
        .value_kind:     hidden_global_offset_y
      - .offset:         112
        .size:           8
        .value_kind:     hidden_global_offset_z
      - .offset:         120
        .size:           2
        .value_kind:     hidden_grid_dims
    .group_segment_fixed_size: 0
    .kernarg_segment_align: 8
    .kernarg_segment_size: 312
    .language:       OpenCL C
    .language_version:
      - 2
      - 0
    .max_flat_workgroup_size: 512
    .name:           _ZN2at6native39vectorized_templated_elementwise_kernelILi2ENS0_13BinaryFunctorIfffZZZNS0_12_GLOBAL__N_133hermite_polynomial_he_kernel_cudaERNS_18TensorIteratorBaseEENKUlvE_clEvENKUlvE0_clEvEUlffE_EESt5arrayIPcLm3EE23TrivialOffsetCalculatorILi2EjESD_ILi1EjENS0_6memory12LoadWithCastILi2EEENSG_13StoreWithCastILi1EEEfJfN3c108BFloat16EEEEviT0_T1_T2_T3_T4_T5_
    .private_segment_fixed_size: 288
    .sgpr_count:     104
    .sgpr_spill_count: 0
    .symbol:         _ZN2at6native39vectorized_templated_elementwise_kernelILi2ENS0_13BinaryFunctorIfffZZZNS0_12_GLOBAL__N_133hermite_polynomial_he_kernel_cudaERNS_18TensorIteratorBaseEENKUlvE_clEvENKUlvE0_clEvEUlffE_EESt5arrayIPcLm3EE23TrivialOffsetCalculatorILi2EjESD_ILi1EjENS0_6memory12LoadWithCastILi2EEENSG_13StoreWithCastILi1EEEfJfN3c108BFloat16EEEEviT0_T1_T2_T3_T4_T5_.kd
    .uniform_work_group_size: 1
    .uses_dynamic_stack: false
    .vgpr_count:     120
    .vgpr_spill_count: 0
    .wavefront_size: 64
  - .agpr_count:     0
    .args:
      - .offset:         0
        .size:           4
        .value_kind:     by_value
      - .offset:         4
        .size:           1
        .value_kind:     by_value
      - .offset:         8
        .size:           24
        .value_kind:     by_value
      - .offset:         32
        .size:           1
        .value_kind:     by_value
      - .offset:         33
        .size:           1
        .value_kind:     by_value
      - .offset:         36
        .size:           12
        .value_kind:     by_value
      - .offset:         48
        .size:           8
        .value_kind:     by_value
      - .offset:         56
        .size:           4
        .value_kind:     hidden_block_count_x
      - .offset:         60
        .size:           4
        .value_kind:     hidden_block_count_y
      - .offset:         64
        .size:           4
        .value_kind:     hidden_block_count_z
      - .offset:         68
        .size:           2
        .value_kind:     hidden_group_size_x
      - .offset:         70
        .size:           2
        .value_kind:     hidden_group_size_y
      - .offset:         72
        .size:           2
        .value_kind:     hidden_group_size_z
      - .offset:         74
        .size:           2
        .value_kind:     hidden_remainder_x
      - .offset:         76
        .size:           2
        .value_kind:     hidden_remainder_y
      - .offset:         78
        .size:           2
        .value_kind:     hidden_remainder_z
      - .offset:         96
        .size:           8
        .value_kind:     hidden_global_offset_x
      - .offset:         104
        .size:           8
        .value_kind:     hidden_global_offset_y
      - .offset:         112
        .size:           8
        .value_kind:     hidden_global_offset_z
      - .offset:         120
        .size:           2
        .value_kind:     hidden_grid_dims
    .group_segment_fixed_size: 0
    .kernarg_segment_align: 8
    .kernarg_segment_size: 312
    .language:       OpenCL C
    .language_version:
      - 2
      - 0
    .max_flat_workgroup_size: 512
    .name:           _ZN2at6native39vectorized_templated_elementwise_kernelILi8ENS0_13BinaryFunctorIfffZZZNS0_12_GLOBAL__N_133hermite_polynomial_he_kernel_cudaERNS_18TensorIteratorBaseEENKUlvE_clEvENKUlvE0_clEvEUlffE_EESt5arrayIPcLm3EE23TrivialOffsetCalculatorILi2EjESD_ILi1EjENS0_6memory12LoadWithCastILi2EEENSG_13StoreWithCastILi1EEEfJN3c108BFloat16EfEEEviT0_T1_T2_T3_T4_T5_
    .private_segment_fixed_size: 288
    .sgpr_count:     104
    .sgpr_spill_count: 0
    .symbol:         _ZN2at6native39vectorized_templated_elementwise_kernelILi8ENS0_13BinaryFunctorIfffZZZNS0_12_GLOBAL__N_133hermite_polynomial_he_kernel_cudaERNS_18TensorIteratorBaseEENKUlvE_clEvENKUlvE0_clEvEUlffE_EESt5arrayIPcLm3EE23TrivialOffsetCalculatorILi2EjESD_ILi1EjENS0_6memory12LoadWithCastILi2EEENSG_13StoreWithCastILi1EEEfJN3c108BFloat16EfEEEviT0_T1_T2_T3_T4_T5_.kd
    .uniform_work_group_size: 1
    .uses_dynamic_stack: false
    .vgpr_count:     120
    .vgpr_spill_count: 0
    .wavefront_size: 64
  - .agpr_count:     0
    .args:
      - .offset:         0
        .size:           4
        .value_kind:     by_value
      - .offset:         4
        .size:           1
        .value_kind:     by_value
      - .offset:         8
        .size:           24
        .value_kind:     by_value
      - .offset:         32
        .size:           1
        .value_kind:     by_value
      - .offset:         33
        .size:           1
        .value_kind:     by_value
      - .offset:         36
        .size:           12
        .value_kind:     by_value
      - .offset:         48
        .size:           8
        .value_kind:     by_value
      - .offset:         56
        .size:           4
        .value_kind:     hidden_block_count_x
      - .offset:         60
        .size:           4
        .value_kind:     hidden_block_count_y
      - .offset:         64
        .size:           4
        .value_kind:     hidden_block_count_z
      - .offset:         68
        .size:           2
        .value_kind:     hidden_group_size_x
      - .offset:         70
        .size:           2
        .value_kind:     hidden_group_size_y
      - .offset:         72
        .size:           2
        .value_kind:     hidden_group_size_z
      - .offset:         74
        .size:           2
        .value_kind:     hidden_remainder_x
      - .offset:         76
        .size:           2
        .value_kind:     hidden_remainder_y
      - .offset:         78
        .size:           2
        .value_kind:     hidden_remainder_z
      - .offset:         96
        .size:           8
        .value_kind:     hidden_global_offset_x
      - .offset:         104
        .size:           8
        .value_kind:     hidden_global_offset_y
      - .offset:         112
        .size:           8
        .value_kind:     hidden_global_offset_z
      - .offset:         120
        .size:           2
        .value_kind:     hidden_grid_dims
    .group_segment_fixed_size: 0
    .kernarg_segment_align: 8
    .kernarg_segment_size: 312
    .language:       OpenCL C
    .language_version:
      - 2
      - 0
    .max_flat_workgroup_size: 512
    .name:           _ZN2at6native39vectorized_templated_elementwise_kernelILi4ENS0_13BinaryFunctorIfffZZZNS0_12_GLOBAL__N_133hermite_polynomial_he_kernel_cudaERNS_18TensorIteratorBaseEENKUlvE_clEvENKUlvE0_clEvEUlffE_EESt5arrayIPcLm3EE23TrivialOffsetCalculatorILi2EjESD_ILi1EjENS0_6memory12LoadWithCastILi2EEENSG_13StoreWithCastILi1EEEfJN3c108BFloat16EfEEEviT0_T1_T2_T3_T4_T5_
    .private_segment_fixed_size: 288
    .sgpr_count:     104
    .sgpr_spill_count: 0
    .symbol:         _ZN2at6native39vectorized_templated_elementwise_kernelILi4ENS0_13BinaryFunctorIfffZZZNS0_12_GLOBAL__N_133hermite_polynomial_he_kernel_cudaERNS_18TensorIteratorBaseEENKUlvE_clEvENKUlvE0_clEvEUlffE_EESt5arrayIPcLm3EE23TrivialOffsetCalculatorILi2EjESD_ILi1EjENS0_6memory12LoadWithCastILi2EEENSG_13StoreWithCastILi1EEEfJN3c108BFloat16EfEEEviT0_T1_T2_T3_T4_T5_.kd
    .uniform_work_group_size: 1
    .uses_dynamic_stack: false
    .vgpr_count:     120
    .vgpr_spill_count: 0
    .wavefront_size: 64
  - .agpr_count:     0
    .args:
      - .offset:         0
        .size:           4
        .value_kind:     by_value
      - .offset:         4
        .size:           1
        .value_kind:     by_value
      - .offset:         8
        .size:           24
        .value_kind:     by_value
      - .offset:         32
        .size:           1
        .value_kind:     by_value
      - .offset:         33
        .size:           1
        .value_kind:     by_value
      - .offset:         36
        .size:           12
        .value_kind:     by_value
      - .offset:         48
        .size:           8
        .value_kind:     by_value
      - .offset:         56
        .size:           4
        .value_kind:     hidden_block_count_x
      - .offset:         60
        .size:           4
        .value_kind:     hidden_block_count_y
      - .offset:         64
        .size:           4
        .value_kind:     hidden_block_count_z
      - .offset:         68
        .size:           2
        .value_kind:     hidden_group_size_x
      - .offset:         70
        .size:           2
        .value_kind:     hidden_group_size_y
      - .offset:         72
        .size:           2
        .value_kind:     hidden_group_size_z
      - .offset:         74
        .size:           2
        .value_kind:     hidden_remainder_x
      - .offset:         76
        .size:           2
        .value_kind:     hidden_remainder_y
      - .offset:         78
        .size:           2
        .value_kind:     hidden_remainder_z
      - .offset:         96
        .size:           8
        .value_kind:     hidden_global_offset_x
      - .offset:         104
        .size:           8
        .value_kind:     hidden_global_offset_y
      - .offset:         112
        .size:           8
        .value_kind:     hidden_global_offset_z
      - .offset:         120
        .size:           2
        .value_kind:     hidden_grid_dims
    .group_segment_fixed_size: 0
    .kernarg_segment_align: 8
    .kernarg_segment_size: 312
    .language:       OpenCL C
    .language_version:
      - 2
      - 0
    .max_flat_workgroup_size: 512
    .name:           _ZN2at6native39vectorized_templated_elementwise_kernelILi2ENS0_13BinaryFunctorIfffZZZNS0_12_GLOBAL__N_133hermite_polynomial_he_kernel_cudaERNS_18TensorIteratorBaseEENKUlvE_clEvENKUlvE0_clEvEUlffE_EESt5arrayIPcLm3EE23TrivialOffsetCalculatorILi2EjESD_ILi1EjENS0_6memory12LoadWithCastILi2EEENSG_13StoreWithCastILi1EEEfJN3c108BFloat16EfEEEviT0_T1_T2_T3_T4_T5_
    .private_segment_fixed_size: 288
    .sgpr_count:     104
    .sgpr_spill_count: 0
    .symbol:         _ZN2at6native39vectorized_templated_elementwise_kernelILi2ENS0_13BinaryFunctorIfffZZZNS0_12_GLOBAL__N_133hermite_polynomial_he_kernel_cudaERNS_18TensorIteratorBaseEENKUlvE_clEvENKUlvE0_clEvEUlffE_EESt5arrayIPcLm3EE23TrivialOffsetCalculatorILi2EjESD_ILi1EjENS0_6memory12LoadWithCastILi2EEENSG_13StoreWithCastILi1EEEfJN3c108BFloat16EfEEEviT0_T1_T2_T3_T4_T5_.kd
    .uniform_work_group_size: 1
    .uses_dynamic_stack: false
    .vgpr_count:     120
    .vgpr_spill_count: 0
    .wavefront_size: 64
  - .agpr_count:     0
    .args:
      - .offset:         0
        .size:           4
        .value_kind:     by_value
      - .offset:         4
        .size:           1
        .value_kind:     by_value
      - .offset:         8
        .size:           24
        .value_kind:     by_value
      - .offset:         32
        .size:           1
        .value_kind:     by_value
      - .offset:         33
        .size:           1
        .value_kind:     by_value
      - .offset:         36
        .size:           12
        .value_kind:     by_value
      - .offset:         48
        .size:           8
        .value_kind:     by_value
      - .offset:         56
        .size:           4
        .value_kind:     hidden_block_count_x
      - .offset:         60
        .size:           4
        .value_kind:     hidden_block_count_y
      - .offset:         64
        .size:           4
        .value_kind:     hidden_block_count_z
      - .offset:         68
        .size:           2
        .value_kind:     hidden_group_size_x
      - .offset:         70
        .size:           2
        .value_kind:     hidden_group_size_y
      - .offset:         72
        .size:           2
        .value_kind:     hidden_group_size_z
      - .offset:         74
        .size:           2
        .value_kind:     hidden_remainder_x
      - .offset:         76
        .size:           2
        .value_kind:     hidden_remainder_y
      - .offset:         78
        .size:           2
        .value_kind:     hidden_remainder_z
      - .offset:         96
        .size:           8
        .value_kind:     hidden_global_offset_x
      - .offset:         104
        .size:           8
        .value_kind:     hidden_global_offset_y
      - .offset:         112
        .size:           8
        .value_kind:     hidden_global_offset_z
      - .offset:         120
        .size:           2
        .value_kind:     hidden_grid_dims
    .group_segment_fixed_size: 0
    .kernarg_segment_align: 8
    .kernarg_segment_size: 312
    .language:       OpenCL C
    .language_version:
      - 2
      - 0
    .max_flat_workgroup_size: 512
    .name:           _ZN2at6native39vectorized_templated_elementwise_kernelILi8ENS0_13BinaryFunctorIfffZZZNS0_12_GLOBAL__N_133hermite_polynomial_he_kernel_cudaERNS_18TensorIteratorBaseEENKUlvE_clEvENKUlvE0_clEvEUlffE_EESt5arrayIPcLm3EE23TrivialOffsetCalculatorILi2EjESD_ILi1EjENS0_6memory12LoadWithCastILi2EEENSG_13StoreWithCastILi1EEEN3c108BFloat16EJSM_fEEEviT0_T1_T2_T3_T4_T5_
    .private_segment_fixed_size: 288
    .sgpr_count:     104
    .sgpr_spill_count: 0
    .symbol:         _ZN2at6native39vectorized_templated_elementwise_kernelILi8ENS0_13BinaryFunctorIfffZZZNS0_12_GLOBAL__N_133hermite_polynomial_he_kernel_cudaERNS_18TensorIteratorBaseEENKUlvE_clEvENKUlvE0_clEvEUlffE_EESt5arrayIPcLm3EE23TrivialOffsetCalculatorILi2EjESD_ILi1EjENS0_6memory12LoadWithCastILi2EEENSG_13StoreWithCastILi1EEEN3c108BFloat16EJSM_fEEEviT0_T1_T2_T3_T4_T5_.kd
    .uniform_work_group_size: 1
    .uses_dynamic_stack: false
    .vgpr_count:     120
    .vgpr_spill_count: 0
    .wavefront_size: 64
  - .agpr_count:     0
    .args:
      - .offset:         0
        .size:           4
        .value_kind:     by_value
      - .offset:         4
        .size:           1
        .value_kind:     by_value
      - .offset:         8
        .size:           24
        .value_kind:     by_value
      - .offset:         32
        .size:           1
        .value_kind:     by_value
      - .offset:         33
        .size:           1
        .value_kind:     by_value
      - .offset:         36
        .size:           12
        .value_kind:     by_value
      - .offset:         48
        .size:           8
        .value_kind:     by_value
      - .offset:         56
        .size:           4
        .value_kind:     hidden_block_count_x
      - .offset:         60
        .size:           4
        .value_kind:     hidden_block_count_y
      - .offset:         64
        .size:           4
        .value_kind:     hidden_block_count_z
      - .offset:         68
        .size:           2
        .value_kind:     hidden_group_size_x
      - .offset:         70
        .size:           2
        .value_kind:     hidden_group_size_y
      - .offset:         72
        .size:           2
        .value_kind:     hidden_group_size_z
      - .offset:         74
        .size:           2
        .value_kind:     hidden_remainder_x
      - .offset:         76
        .size:           2
        .value_kind:     hidden_remainder_y
      - .offset:         78
        .size:           2
        .value_kind:     hidden_remainder_z
      - .offset:         96
        .size:           8
        .value_kind:     hidden_global_offset_x
      - .offset:         104
        .size:           8
        .value_kind:     hidden_global_offset_y
      - .offset:         112
        .size:           8
        .value_kind:     hidden_global_offset_z
      - .offset:         120
        .size:           2
        .value_kind:     hidden_grid_dims
    .group_segment_fixed_size: 0
    .kernarg_segment_align: 8
    .kernarg_segment_size: 312
    .language:       OpenCL C
    .language_version:
      - 2
      - 0
    .max_flat_workgroup_size: 512
    .name:           _ZN2at6native39vectorized_templated_elementwise_kernelILi4ENS0_13BinaryFunctorIfffZZZNS0_12_GLOBAL__N_133hermite_polynomial_he_kernel_cudaERNS_18TensorIteratorBaseEENKUlvE_clEvENKUlvE0_clEvEUlffE_EESt5arrayIPcLm3EE23TrivialOffsetCalculatorILi2EjESD_ILi1EjENS0_6memory12LoadWithCastILi2EEENSG_13StoreWithCastILi1EEEN3c108BFloat16EJSM_fEEEviT0_T1_T2_T3_T4_T5_
    .private_segment_fixed_size: 288
    .sgpr_count:     104
    .sgpr_spill_count: 0
    .symbol:         _ZN2at6native39vectorized_templated_elementwise_kernelILi4ENS0_13BinaryFunctorIfffZZZNS0_12_GLOBAL__N_133hermite_polynomial_he_kernel_cudaERNS_18TensorIteratorBaseEENKUlvE_clEvENKUlvE0_clEvEUlffE_EESt5arrayIPcLm3EE23TrivialOffsetCalculatorILi2EjESD_ILi1EjENS0_6memory12LoadWithCastILi2EEENSG_13StoreWithCastILi1EEEN3c108BFloat16EJSM_fEEEviT0_T1_T2_T3_T4_T5_.kd
    .uniform_work_group_size: 1
    .uses_dynamic_stack: false
    .vgpr_count:     120
    .vgpr_spill_count: 0
    .wavefront_size: 64
  - .agpr_count:     0
    .args:
      - .offset:         0
        .size:           4
        .value_kind:     by_value
      - .offset:         4
        .size:           1
        .value_kind:     by_value
      - .offset:         8
        .size:           24
        .value_kind:     by_value
      - .offset:         32
        .size:           1
        .value_kind:     by_value
      - .offset:         33
        .size:           1
        .value_kind:     by_value
      - .offset:         36
        .size:           12
        .value_kind:     by_value
      - .offset:         48
        .size:           8
        .value_kind:     by_value
      - .offset:         56
        .size:           4
        .value_kind:     hidden_block_count_x
      - .offset:         60
        .size:           4
        .value_kind:     hidden_block_count_y
      - .offset:         64
        .size:           4
        .value_kind:     hidden_block_count_z
      - .offset:         68
        .size:           2
        .value_kind:     hidden_group_size_x
      - .offset:         70
        .size:           2
        .value_kind:     hidden_group_size_y
      - .offset:         72
        .size:           2
        .value_kind:     hidden_group_size_z
      - .offset:         74
        .size:           2
        .value_kind:     hidden_remainder_x
      - .offset:         76
        .size:           2
        .value_kind:     hidden_remainder_y
      - .offset:         78
        .size:           2
        .value_kind:     hidden_remainder_z
      - .offset:         96
        .size:           8
        .value_kind:     hidden_global_offset_x
      - .offset:         104
        .size:           8
        .value_kind:     hidden_global_offset_y
      - .offset:         112
        .size:           8
        .value_kind:     hidden_global_offset_z
      - .offset:         120
        .size:           2
        .value_kind:     hidden_grid_dims
    .group_segment_fixed_size: 0
    .kernarg_segment_align: 8
    .kernarg_segment_size: 312
    .language:       OpenCL C
    .language_version:
      - 2
      - 0
    .max_flat_workgroup_size: 512
    .name:           _ZN2at6native39vectorized_templated_elementwise_kernelILi2ENS0_13BinaryFunctorIfffZZZNS0_12_GLOBAL__N_133hermite_polynomial_he_kernel_cudaERNS_18TensorIteratorBaseEENKUlvE_clEvENKUlvE0_clEvEUlffE_EESt5arrayIPcLm3EE23TrivialOffsetCalculatorILi2EjESD_ILi1EjENS0_6memory12LoadWithCastILi2EEENSG_13StoreWithCastILi1EEEN3c108BFloat16EJSM_fEEEviT0_T1_T2_T3_T4_T5_
    .private_segment_fixed_size: 288
    .sgpr_count:     104
    .sgpr_spill_count: 0
    .symbol:         _ZN2at6native39vectorized_templated_elementwise_kernelILi2ENS0_13BinaryFunctorIfffZZZNS0_12_GLOBAL__N_133hermite_polynomial_he_kernel_cudaERNS_18TensorIteratorBaseEENKUlvE_clEvENKUlvE0_clEvEUlffE_EESt5arrayIPcLm3EE23TrivialOffsetCalculatorILi2EjESD_ILi1EjENS0_6memory12LoadWithCastILi2EEENSG_13StoreWithCastILi1EEEN3c108BFloat16EJSM_fEEEviT0_T1_T2_T3_T4_T5_.kd
    .uniform_work_group_size: 1
    .uses_dynamic_stack: false
    .vgpr_count:     120
    .vgpr_spill_count: 0
    .wavefront_size: 64
  - .agpr_count:     0
    .args:
      - .offset:         0
        .size:           4
        .value_kind:     by_value
      - .offset:         4
        .size:           1
        .value_kind:     by_value
      - .offset:         8
        .size:           24
        .value_kind:     by_value
      - .offset:         32
        .size:           1
        .value_kind:     by_value
      - .offset:         33
        .size:           1
        .value_kind:     by_value
      - .offset:         36
        .size:           12
        .value_kind:     by_value
      - .offset:         48
        .size:           8
        .value_kind:     by_value
      - .offset:         56
        .size:           4
        .value_kind:     hidden_block_count_x
      - .offset:         60
        .size:           4
        .value_kind:     hidden_block_count_y
      - .offset:         64
        .size:           4
        .value_kind:     hidden_block_count_z
      - .offset:         68
        .size:           2
        .value_kind:     hidden_group_size_x
      - .offset:         70
        .size:           2
        .value_kind:     hidden_group_size_y
      - .offset:         72
        .size:           2
        .value_kind:     hidden_group_size_z
      - .offset:         74
        .size:           2
        .value_kind:     hidden_remainder_x
      - .offset:         76
        .size:           2
        .value_kind:     hidden_remainder_y
      - .offset:         78
        .size:           2
        .value_kind:     hidden_remainder_z
      - .offset:         96
        .size:           8
        .value_kind:     hidden_global_offset_x
      - .offset:         104
        .size:           8
        .value_kind:     hidden_global_offset_y
      - .offset:         112
        .size:           8
        .value_kind:     hidden_global_offset_z
      - .offset:         120
        .size:           2
        .value_kind:     hidden_grid_dims
    .group_segment_fixed_size: 0
    .kernarg_segment_align: 8
    .kernarg_segment_size: 312
    .language:       OpenCL C
    .language_version:
      - 2
      - 0
    .max_flat_workgroup_size: 512
    .name:           _ZN2at6native39vectorized_templated_elementwise_kernelILi8ENS0_13BinaryFunctorIfffZZZNS0_12_GLOBAL__N_133hermite_polynomial_he_kernel_cudaERNS_18TensorIteratorBaseEENKUlvE_clEvENKUlvE0_clEvEUlffE_EESt5arrayIPcLm3EE23TrivialOffsetCalculatorILi2EjESD_ILi1EjENS0_6memory12LoadWithCastILi2EEENSG_13StoreWithCastILi1EEEfJfN3c104HalfEEEEviT0_T1_T2_T3_T4_T5_
    .private_segment_fixed_size: 288
    .sgpr_count:     104
    .sgpr_spill_count: 0
    .symbol:         _ZN2at6native39vectorized_templated_elementwise_kernelILi8ENS0_13BinaryFunctorIfffZZZNS0_12_GLOBAL__N_133hermite_polynomial_he_kernel_cudaERNS_18TensorIteratorBaseEENKUlvE_clEvENKUlvE0_clEvEUlffE_EESt5arrayIPcLm3EE23TrivialOffsetCalculatorILi2EjESD_ILi1EjENS0_6memory12LoadWithCastILi2EEENSG_13StoreWithCastILi1EEEfJfN3c104HalfEEEEviT0_T1_T2_T3_T4_T5_.kd
    .uniform_work_group_size: 1
    .uses_dynamic_stack: false
    .vgpr_count:     120
    .vgpr_spill_count: 0
    .wavefront_size: 64
  - .agpr_count:     0
    .args:
      - .offset:         0
        .size:           4
        .value_kind:     by_value
      - .offset:         4
        .size:           1
        .value_kind:     by_value
      - .offset:         8
        .size:           24
        .value_kind:     by_value
      - .offset:         32
        .size:           1
        .value_kind:     by_value
      - .offset:         33
        .size:           1
        .value_kind:     by_value
      - .offset:         36
        .size:           12
        .value_kind:     by_value
      - .offset:         48
        .size:           8
        .value_kind:     by_value
      - .offset:         56
        .size:           4
        .value_kind:     hidden_block_count_x
      - .offset:         60
        .size:           4
        .value_kind:     hidden_block_count_y
      - .offset:         64
        .size:           4
        .value_kind:     hidden_block_count_z
      - .offset:         68
        .size:           2
        .value_kind:     hidden_group_size_x
      - .offset:         70
        .size:           2
        .value_kind:     hidden_group_size_y
      - .offset:         72
        .size:           2
        .value_kind:     hidden_group_size_z
      - .offset:         74
        .size:           2
        .value_kind:     hidden_remainder_x
      - .offset:         76
        .size:           2
        .value_kind:     hidden_remainder_y
      - .offset:         78
        .size:           2
        .value_kind:     hidden_remainder_z
      - .offset:         96
        .size:           8
        .value_kind:     hidden_global_offset_x
      - .offset:         104
        .size:           8
        .value_kind:     hidden_global_offset_y
      - .offset:         112
        .size:           8
        .value_kind:     hidden_global_offset_z
      - .offset:         120
        .size:           2
        .value_kind:     hidden_grid_dims
    .group_segment_fixed_size: 0
    .kernarg_segment_align: 8
    .kernarg_segment_size: 312
    .language:       OpenCL C
    .language_version:
      - 2
      - 0
    .max_flat_workgroup_size: 512
    .name:           _ZN2at6native39vectorized_templated_elementwise_kernelILi4ENS0_13BinaryFunctorIfffZZZNS0_12_GLOBAL__N_133hermite_polynomial_he_kernel_cudaERNS_18TensorIteratorBaseEENKUlvE_clEvENKUlvE0_clEvEUlffE_EESt5arrayIPcLm3EE23TrivialOffsetCalculatorILi2EjESD_ILi1EjENS0_6memory12LoadWithCastILi2EEENSG_13StoreWithCastILi1EEEfJfN3c104HalfEEEEviT0_T1_T2_T3_T4_T5_
    .private_segment_fixed_size: 288
    .sgpr_count:     104
    .sgpr_spill_count: 0
    .symbol:         _ZN2at6native39vectorized_templated_elementwise_kernelILi4ENS0_13BinaryFunctorIfffZZZNS0_12_GLOBAL__N_133hermite_polynomial_he_kernel_cudaERNS_18TensorIteratorBaseEENKUlvE_clEvENKUlvE0_clEvEUlffE_EESt5arrayIPcLm3EE23TrivialOffsetCalculatorILi2EjESD_ILi1EjENS0_6memory12LoadWithCastILi2EEENSG_13StoreWithCastILi1EEEfJfN3c104HalfEEEEviT0_T1_T2_T3_T4_T5_.kd
    .uniform_work_group_size: 1
    .uses_dynamic_stack: false
    .vgpr_count:     120
    .vgpr_spill_count: 0
    .wavefront_size: 64
  - .agpr_count:     0
    .args:
      - .offset:         0
        .size:           4
        .value_kind:     by_value
      - .offset:         4
        .size:           1
        .value_kind:     by_value
      - .offset:         8
        .size:           24
        .value_kind:     by_value
      - .offset:         32
        .size:           1
        .value_kind:     by_value
      - .offset:         33
        .size:           1
        .value_kind:     by_value
      - .offset:         36
        .size:           12
        .value_kind:     by_value
      - .offset:         48
        .size:           8
        .value_kind:     by_value
      - .offset:         56
        .size:           4
        .value_kind:     hidden_block_count_x
      - .offset:         60
        .size:           4
        .value_kind:     hidden_block_count_y
      - .offset:         64
        .size:           4
        .value_kind:     hidden_block_count_z
      - .offset:         68
        .size:           2
        .value_kind:     hidden_group_size_x
      - .offset:         70
        .size:           2
        .value_kind:     hidden_group_size_y
      - .offset:         72
        .size:           2
        .value_kind:     hidden_group_size_z
      - .offset:         74
        .size:           2
        .value_kind:     hidden_remainder_x
      - .offset:         76
        .size:           2
        .value_kind:     hidden_remainder_y
      - .offset:         78
        .size:           2
        .value_kind:     hidden_remainder_z
      - .offset:         96
        .size:           8
        .value_kind:     hidden_global_offset_x
      - .offset:         104
        .size:           8
        .value_kind:     hidden_global_offset_y
      - .offset:         112
        .size:           8
        .value_kind:     hidden_global_offset_z
      - .offset:         120
        .size:           2
        .value_kind:     hidden_grid_dims
    .group_segment_fixed_size: 0
    .kernarg_segment_align: 8
    .kernarg_segment_size: 312
    .language:       OpenCL C
    .language_version:
      - 2
      - 0
    .max_flat_workgroup_size: 512
    .name:           _ZN2at6native39vectorized_templated_elementwise_kernelILi2ENS0_13BinaryFunctorIfffZZZNS0_12_GLOBAL__N_133hermite_polynomial_he_kernel_cudaERNS_18TensorIteratorBaseEENKUlvE_clEvENKUlvE0_clEvEUlffE_EESt5arrayIPcLm3EE23TrivialOffsetCalculatorILi2EjESD_ILi1EjENS0_6memory12LoadWithCastILi2EEENSG_13StoreWithCastILi1EEEfJfN3c104HalfEEEEviT0_T1_T2_T3_T4_T5_
    .private_segment_fixed_size: 288
    .sgpr_count:     104
    .sgpr_spill_count: 0
    .symbol:         _ZN2at6native39vectorized_templated_elementwise_kernelILi2ENS0_13BinaryFunctorIfffZZZNS0_12_GLOBAL__N_133hermite_polynomial_he_kernel_cudaERNS_18TensorIteratorBaseEENKUlvE_clEvENKUlvE0_clEvEUlffE_EESt5arrayIPcLm3EE23TrivialOffsetCalculatorILi2EjESD_ILi1EjENS0_6memory12LoadWithCastILi2EEENSG_13StoreWithCastILi1EEEfJfN3c104HalfEEEEviT0_T1_T2_T3_T4_T5_.kd
    .uniform_work_group_size: 1
    .uses_dynamic_stack: false
    .vgpr_count:     120
    .vgpr_spill_count: 0
    .wavefront_size: 64
  - .agpr_count:     0
    .args:
      - .offset:         0
        .size:           4
        .value_kind:     by_value
      - .offset:         4
        .size:           1
        .value_kind:     by_value
      - .offset:         8
        .size:           24
        .value_kind:     by_value
      - .offset:         32
        .size:           1
        .value_kind:     by_value
      - .offset:         33
        .size:           1
        .value_kind:     by_value
      - .offset:         36
        .size:           12
        .value_kind:     by_value
      - .offset:         48
        .size:           8
        .value_kind:     by_value
      - .offset:         56
        .size:           4
        .value_kind:     hidden_block_count_x
      - .offset:         60
        .size:           4
        .value_kind:     hidden_block_count_y
      - .offset:         64
        .size:           4
        .value_kind:     hidden_block_count_z
      - .offset:         68
        .size:           2
        .value_kind:     hidden_group_size_x
      - .offset:         70
        .size:           2
        .value_kind:     hidden_group_size_y
      - .offset:         72
        .size:           2
        .value_kind:     hidden_group_size_z
      - .offset:         74
        .size:           2
        .value_kind:     hidden_remainder_x
      - .offset:         76
        .size:           2
        .value_kind:     hidden_remainder_y
      - .offset:         78
        .size:           2
        .value_kind:     hidden_remainder_z
      - .offset:         96
        .size:           8
        .value_kind:     hidden_global_offset_x
      - .offset:         104
        .size:           8
        .value_kind:     hidden_global_offset_y
      - .offset:         112
        .size:           8
        .value_kind:     hidden_global_offset_z
      - .offset:         120
        .size:           2
        .value_kind:     hidden_grid_dims
    .group_segment_fixed_size: 0
    .kernarg_segment_align: 8
    .kernarg_segment_size: 312
    .language:       OpenCL C
    .language_version:
      - 2
      - 0
    .max_flat_workgroup_size: 512
    .name:           _ZN2at6native39vectorized_templated_elementwise_kernelILi8ENS0_13BinaryFunctorIfffZZZNS0_12_GLOBAL__N_133hermite_polynomial_he_kernel_cudaERNS_18TensorIteratorBaseEENKUlvE_clEvENKUlvE0_clEvEUlffE_EESt5arrayIPcLm3EE23TrivialOffsetCalculatorILi2EjESD_ILi1EjENS0_6memory12LoadWithCastILi2EEENSG_13StoreWithCastILi1EEEfJN3c104HalfEfEEEviT0_T1_T2_T3_T4_T5_
    .private_segment_fixed_size: 288
    .sgpr_count:     104
    .sgpr_spill_count: 0
    .symbol:         _ZN2at6native39vectorized_templated_elementwise_kernelILi8ENS0_13BinaryFunctorIfffZZZNS0_12_GLOBAL__N_133hermite_polynomial_he_kernel_cudaERNS_18TensorIteratorBaseEENKUlvE_clEvENKUlvE0_clEvEUlffE_EESt5arrayIPcLm3EE23TrivialOffsetCalculatorILi2EjESD_ILi1EjENS0_6memory12LoadWithCastILi2EEENSG_13StoreWithCastILi1EEEfJN3c104HalfEfEEEviT0_T1_T2_T3_T4_T5_.kd
    .uniform_work_group_size: 1
    .uses_dynamic_stack: false
    .vgpr_count:     120
    .vgpr_spill_count: 0
    .wavefront_size: 64
  - .agpr_count:     0
    .args:
      - .offset:         0
        .size:           4
        .value_kind:     by_value
      - .offset:         4
        .size:           1
        .value_kind:     by_value
      - .offset:         8
        .size:           24
        .value_kind:     by_value
      - .offset:         32
        .size:           1
        .value_kind:     by_value
      - .offset:         33
        .size:           1
        .value_kind:     by_value
      - .offset:         36
        .size:           12
        .value_kind:     by_value
      - .offset:         48
        .size:           8
        .value_kind:     by_value
      - .offset:         56
        .size:           4
        .value_kind:     hidden_block_count_x
      - .offset:         60
        .size:           4
        .value_kind:     hidden_block_count_y
      - .offset:         64
        .size:           4
        .value_kind:     hidden_block_count_z
      - .offset:         68
        .size:           2
        .value_kind:     hidden_group_size_x
      - .offset:         70
        .size:           2
        .value_kind:     hidden_group_size_y
      - .offset:         72
        .size:           2
        .value_kind:     hidden_group_size_z
      - .offset:         74
        .size:           2
        .value_kind:     hidden_remainder_x
      - .offset:         76
        .size:           2
        .value_kind:     hidden_remainder_y
      - .offset:         78
        .size:           2
        .value_kind:     hidden_remainder_z
      - .offset:         96
        .size:           8
        .value_kind:     hidden_global_offset_x
      - .offset:         104
        .size:           8
        .value_kind:     hidden_global_offset_y
      - .offset:         112
        .size:           8
        .value_kind:     hidden_global_offset_z
      - .offset:         120
        .size:           2
        .value_kind:     hidden_grid_dims
    .group_segment_fixed_size: 0
    .kernarg_segment_align: 8
    .kernarg_segment_size: 312
    .language:       OpenCL C
    .language_version:
      - 2
      - 0
    .max_flat_workgroup_size: 512
    .name:           _ZN2at6native39vectorized_templated_elementwise_kernelILi4ENS0_13BinaryFunctorIfffZZZNS0_12_GLOBAL__N_133hermite_polynomial_he_kernel_cudaERNS_18TensorIteratorBaseEENKUlvE_clEvENKUlvE0_clEvEUlffE_EESt5arrayIPcLm3EE23TrivialOffsetCalculatorILi2EjESD_ILi1EjENS0_6memory12LoadWithCastILi2EEENSG_13StoreWithCastILi1EEEfJN3c104HalfEfEEEviT0_T1_T2_T3_T4_T5_
    .private_segment_fixed_size: 288
    .sgpr_count:     104
    .sgpr_spill_count: 0
    .symbol:         _ZN2at6native39vectorized_templated_elementwise_kernelILi4ENS0_13BinaryFunctorIfffZZZNS0_12_GLOBAL__N_133hermite_polynomial_he_kernel_cudaERNS_18TensorIteratorBaseEENKUlvE_clEvENKUlvE0_clEvEUlffE_EESt5arrayIPcLm3EE23TrivialOffsetCalculatorILi2EjESD_ILi1EjENS0_6memory12LoadWithCastILi2EEENSG_13StoreWithCastILi1EEEfJN3c104HalfEfEEEviT0_T1_T2_T3_T4_T5_.kd
    .uniform_work_group_size: 1
    .uses_dynamic_stack: false
    .vgpr_count:     120
    .vgpr_spill_count: 0
    .wavefront_size: 64
  - .agpr_count:     0
    .args:
      - .offset:         0
        .size:           4
        .value_kind:     by_value
      - .offset:         4
        .size:           1
        .value_kind:     by_value
      - .offset:         8
        .size:           24
        .value_kind:     by_value
      - .offset:         32
        .size:           1
        .value_kind:     by_value
      - .offset:         33
        .size:           1
        .value_kind:     by_value
      - .offset:         36
        .size:           12
        .value_kind:     by_value
      - .offset:         48
        .size:           8
        .value_kind:     by_value
      - .offset:         56
        .size:           4
        .value_kind:     hidden_block_count_x
      - .offset:         60
        .size:           4
        .value_kind:     hidden_block_count_y
      - .offset:         64
        .size:           4
        .value_kind:     hidden_block_count_z
      - .offset:         68
        .size:           2
        .value_kind:     hidden_group_size_x
      - .offset:         70
        .size:           2
        .value_kind:     hidden_group_size_y
      - .offset:         72
        .size:           2
        .value_kind:     hidden_group_size_z
      - .offset:         74
        .size:           2
        .value_kind:     hidden_remainder_x
      - .offset:         76
        .size:           2
        .value_kind:     hidden_remainder_y
      - .offset:         78
        .size:           2
        .value_kind:     hidden_remainder_z
      - .offset:         96
        .size:           8
        .value_kind:     hidden_global_offset_x
      - .offset:         104
        .size:           8
        .value_kind:     hidden_global_offset_y
      - .offset:         112
        .size:           8
        .value_kind:     hidden_global_offset_z
      - .offset:         120
        .size:           2
        .value_kind:     hidden_grid_dims
    .group_segment_fixed_size: 0
    .kernarg_segment_align: 8
    .kernarg_segment_size: 312
    .language:       OpenCL C
    .language_version:
      - 2
      - 0
    .max_flat_workgroup_size: 512
    .name:           _ZN2at6native39vectorized_templated_elementwise_kernelILi2ENS0_13BinaryFunctorIfffZZZNS0_12_GLOBAL__N_133hermite_polynomial_he_kernel_cudaERNS_18TensorIteratorBaseEENKUlvE_clEvENKUlvE0_clEvEUlffE_EESt5arrayIPcLm3EE23TrivialOffsetCalculatorILi2EjESD_ILi1EjENS0_6memory12LoadWithCastILi2EEENSG_13StoreWithCastILi1EEEfJN3c104HalfEfEEEviT0_T1_T2_T3_T4_T5_
    .private_segment_fixed_size: 288
    .sgpr_count:     104
    .sgpr_spill_count: 0
    .symbol:         _ZN2at6native39vectorized_templated_elementwise_kernelILi2ENS0_13BinaryFunctorIfffZZZNS0_12_GLOBAL__N_133hermite_polynomial_he_kernel_cudaERNS_18TensorIteratorBaseEENKUlvE_clEvENKUlvE0_clEvEUlffE_EESt5arrayIPcLm3EE23TrivialOffsetCalculatorILi2EjESD_ILi1EjENS0_6memory12LoadWithCastILi2EEENSG_13StoreWithCastILi1EEEfJN3c104HalfEfEEEviT0_T1_T2_T3_T4_T5_.kd
    .uniform_work_group_size: 1
    .uses_dynamic_stack: false
    .vgpr_count:     120
    .vgpr_spill_count: 0
    .wavefront_size: 64
  - .agpr_count:     0
    .args:
      - .offset:         0
        .size:           4
        .value_kind:     by_value
      - .offset:         4
        .size:           1
        .value_kind:     by_value
      - .offset:         8
        .size:           24
        .value_kind:     by_value
      - .offset:         32
        .size:           1
        .value_kind:     by_value
      - .offset:         33
        .size:           1
        .value_kind:     by_value
      - .offset:         36
        .size:           12
        .value_kind:     by_value
      - .offset:         48
        .size:           8
        .value_kind:     by_value
      - .offset:         56
        .size:           4
        .value_kind:     hidden_block_count_x
      - .offset:         60
        .size:           4
        .value_kind:     hidden_block_count_y
      - .offset:         64
        .size:           4
        .value_kind:     hidden_block_count_z
      - .offset:         68
        .size:           2
        .value_kind:     hidden_group_size_x
      - .offset:         70
        .size:           2
        .value_kind:     hidden_group_size_y
      - .offset:         72
        .size:           2
        .value_kind:     hidden_group_size_z
      - .offset:         74
        .size:           2
        .value_kind:     hidden_remainder_x
      - .offset:         76
        .size:           2
        .value_kind:     hidden_remainder_y
      - .offset:         78
        .size:           2
        .value_kind:     hidden_remainder_z
      - .offset:         96
        .size:           8
        .value_kind:     hidden_global_offset_x
      - .offset:         104
        .size:           8
        .value_kind:     hidden_global_offset_y
      - .offset:         112
        .size:           8
        .value_kind:     hidden_global_offset_z
      - .offset:         120
        .size:           2
        .value_kind:     hidden_grid_dims
    .group_segment_fixed_size: 0
    .kernarg_segment_align: 8
    .kernarg_segment_size: 312
    .language:       OpenCL C
    .language_version:
      - 2
      - 0
    .max_flat_workgroup_size: 512
    .name:           _ZN2at6native39vectorized_templated_elementwise_kernelILi8ENS0_13BinaryFunctorIfffZZZNS0_12_GLOBAL__N_133hermite_polynomial_he_kernel_cudaERNS_18TensorIteratorBaseEENKUlvE_clEvENKUlvE0_clEvEUlffE_EESt5arrayIPcLm3EE23TrivialOffsetCalculatorILi2EjESD_ILi1EjENS0_6memory12LoadWithCastILi2EEENSG_13StoreWithCastILi1EEEN3c104HalfEJSM_fEEEviT0_T1_T2_T3_T4_T5_
    .private_segment_fixed_size: 288
    .sgpr_count:     104
    .sgpr_spill_count: 0
    .symbol:         _ZN2at6native39vectorized_templated_elementwise_kernelILi8ENS0_13BinaryFunctorIfffZZZNS0_12_GLOBAL__N_133hermite_polynomial_he_kernel_cudaERNS_18TensorIteratorBaseEENKUlvE_clEvENKUlvE0_clEvEUlffE_EESt5arrayIPcLm3EE23TrivialOffsetCalculatorILi2EjESD_ILi1EjENS0_6memory12LoadWithCastILi2EEENSG_13StoreWithCastILi1EEEN3c104HalfEJSM_fEEEviT0_T1_T2_T3_T4_T5_.kd
    .uniform_work_group_size: 1
    .uses_dynamic_stack: false
    .vgpr_count:     120
    .vgpr_spill_count: 0
    .wavefront_size: 64
  - .agpr_count:     0
    .args:
      - .offset:         0
        .size:           4
        .value_kind:     by_value
      - .offset:         4
        .size:           1
        .value_kind:     by_value
      - .offset:         8
        .size:           24
        .value_kind:     by_value
      - .offset:         32
        .size:           1
        .value_kind:     by_value
      - .offset:         33
        .size:           1
        .value_kind:     by_value
      - .offset:         36
        .size:           12
        .value_kind:     by_value
      - .offset:         48
        .size:           8
        .value_kind:     by_value
      - .offset:         56
        .size:           4
        .value_kind:     hidden_block_count_x
      - .offset:         60
        .size:           4
        .value_kind:     hidden_block_count_y
      - .offset:         64
        .size:           4
        .value_kind:     hidden_block_count_z
      - .offset:         68
        .size:           2
        .value_kind:     hidden_group_size_x
      - .offset:         70
        .size:           2
        .value_kind:     hidden_group_size_y
      - .offset:         72
        .size:           2
        .value_kind:     hidden_group_size_z
      - .offset:         74
        .size:           2
        .value_kind:     hidden_remainder_x
      - .offset:         76
        .size:           2
        .value_kind:     hidden_remainder_y
      - .offset:         78
        .size:           2
        .value_kind:     hidden_remainder_z
      - .offset:         96
        .size:           8
        .value_kind:     hidden_global_offset_x
      - .offset:         104
        .size:           8
        .value_kind:     hidden_global_offset_y
      - .offset:         112
        .size:           8
        .value_kind:     hidden_global_offset_z
      - .offset:         120
        .size:           2
        .value_kind:     hidden_grid_dims
    .group_segment_fixed_size: 0
    .kernarg_segment_align: 8
    .kernarg_segment_size: 312
    .language:       OpenCL C
    .language_version:
      - 2
      - 0
    .max_flat_workgroup_size: 512
    .name:           _ZN2at6native39vectorized_templated_elementwise_kernelILi4ENS0_13BinaryFunctorIfffZZZNS0_12_GLOBAL__N_133hermite_polynomial_he_kernel_cudaERNS_18TensorIteratorBaseEENKUlvE_clEvENKUlvE0_clEvEUlffE_EESt5arrayIPcLm3EE23TrivialOffsetCalculatorILi2EjESD_ILi1EjENS0_6memory12LoadWithCastILi2EEENSG_13StoreWithCastILi1EEEN3c104HalfEJSM_fEEEviT0_T1_T2_T3_T4_T5_
    .private_segment_fixed_size: 288
    .sgpr_count:     104
    .sgpr_spill_count: 0
    .symbol:         _ZN2at6native39vectorized_templated_elementwise_kernelILi4ENS0_13BinaryFunctorIfffZZZNS0_12_GLOBAL__N_133hermite_polynomial_he_kernel_cudaERNS_18TensorIteratorBaseEENKUlvE_clEvENKUlvE0_clEvEUlffE_EESt5arrayIPcLm3EE23TrivialOffsetCalculatorILi2EjESD_ILi1EjENS0_6memory12LoadWithCastILi2EEENSG_13StoreWithCastILi1EEEN3c104HalfEJSM_fEEEviT0_T1_T2_T3_T4_T5_.kd
    .uniform_work_group_size: 1
    .uses_dynamic_stack: false
    .vgpr_count:     120
    .vgpr_spill_count: 0
    .wavefront_size: 64
  - .agpr_count:     0
    .args:
      - .offset:         0
        .size:           4
        .value_kind:     by_value
      - .offset:         4
        .size:           1
        .value_kind:     by_value
      - .offset:         8
        .size:           24
        .value_kind:     by_value
      - .offset:         32
        .size:           1
        .value_kind:     by_value
      - .offset:         33
        .size:           1
        .value_kind:     by_value
      - .offset:         36
        .size:           12
        .value_kind:     by_value
      - .offset:         48
        .size:           8
        .value_kind:     by_value
      - .offset:         56
        .size:           4
        .value_kind:     hidden_block_count_x
      - .offset:         60
        .size:           4
        .value_kind:     hidden_block_count_y
      - .offset:         64
        .size:           4
        .value_kind:     hidden_block_count_z
      - .offset:         68
        .size:           2
        .value_kind:     hidden_group_size_x
      - .offset:         70
        .size:           2
        .value_kind:     hidden_group_size_y
      - .offset:         72
        .size:           2
        .value_kind:     hidden_group_size_z
      - .offset:         74
        .size:           2
        .value_kind:     hidden_remainder_x
      - .offset:         76
        .size:           2
        .value_kind:     hidden_remainder_y
      - .offset:         78
        .size:           2
        .value_kind:     hidden_remainder_z
      - .offset:         96
        .size:           8
        .value_kind:     hidden_global_offset_x
      - .offset:         104
        .size:           8
        .value_kind:     hidden_global_offset_y
      - .offset:         112
        .size:           8
        .value_kind:     hidden_global_offset_z
      - .offset:         120
        .size:           2
        .value_kind:     hidden_grid_dims
    .group_segment_fixed_size: 0
    .kernarg_segment_align: 8
    .kernarg_segment_size: 312
    .language:       OpenCL C
    .language_version:
      - 2
      - 0
    .max_flat_workgroup_size: 512
    .name:           _ZN2at6native39vectorized_templated_elementwise_kernelILi2ENS0_13BinaryFunctorIfffZZZNS0_12_GLOBAL__N_133hermite_polynomial_he_kernel_cudaERNS_18TensorIteratorBaseEENKUlvE_clEvENKUlvE0_clEvEUlffE_EESt5arrayIPcLm3EE23TrivialOffsetCalculatorILi2EjESD_ILi1EjENS0_6memory12LoadWithCastILi2EEENSG_13StoreWithCastILi1EEEN3c104HalfEJSM_fEEEviT0_T1_T2_T3_T4_T5_
    .private_segment_fixed_size: 288
    .sgpr_count:     104
    .sgpr_spill_count: 0
    .symbol:         _ZN2at6native39vectorized_templated_elementwise_kernelILi2ENS0_13BinaryFunctorIfffZZZNS0_12_GLOBAL__N_133hermite_polynomial_he_kernel_cudaERNS_18TensorIteratorBaseEENKUlvE_clEvENKUlvE0_clEvEUlffE_EESt5arrayIPcLm3EE23TrivialOffsetCalculatorILi2EjESD_ILi1EjENS0_6memory12LoadWithCastILi2EEENSG_13StoreWithCastILi1EEEN3c104HalfEJSM_fEEEviT0_T1_T2_T3_T4_T5_.kd
    .uniform_work_group_size: 1
    .uses_dynamic_stack: false
    .vgpr_count:     120
    .vgpr_spill_count: 0
    .wavefront_size: 64
  - .agpr_count:     0
    .args:
      - .offset:         0
        .size:           4
        .value_kind:     by_value
      - .offset:         8
        .size:           40
        .value_kind:     by_value
    .group_segment_fixed_size: 0
    .kernarg_segment_align: 8
    .kernarg_segment_size: 48
    .language:       OpenCL C
    .language_version:
      - 2
      - 0
    .max_flat_workgroup_size: 128
    .name:           _ZN2at6native32elementwise_kernel_manual_unrollILi128ELi4EZNS0_15gpu_kernel_implINS0_13BinaryFunctorIfffZZZNS0_12_GLOBAL__N_133hermite_polynomial_he_kernel_cudaERNS_18TensorIteratorBaseEENKUlvE_clEvENKUlvE0_clEvEUlffE_EEEEvS6_RKT_EUlibE_EEviT1_
    .private_segment_fixed_size: 0
    .sgpr_count:     58
    .sgpr_spill_count: 0
    .symbol:         _ZN2at6native32elementwise_kernel_manual_unrollILi128ELi4EZNS0_15gpu_kernel_implINS0_13BinaryFunctorIfffZZZNS0_12_GLOBAL__N_133hermite_polynomial_he_kernel_cudaERNS_18TensorIteratorBaseEENKUlvE_clEvENKUlvE0_clEvEUlffE_EEEEvS6_RKT_EUlibE_EEviT1_.kd
    .uniform_work_group_size: 1
    .uses_dynamic_stack: false
    .vgpr_count:     17
    .vgpr_spill_count: 0
    .wavefront_size: 64
  - .agpr_count:     0
    .args:
      - .offset:         0
        .size:           4
        .value_kind:     by_value
      - .offset:         8
        .size:           424
        .value_kind:     by_value
    .group_segment_fixed_size: 0
    .kernarg_segment_align: 8
    .kernarg_segment_size: 432
    .language:       OpenCL C
    .language_version:
      - 2
      - 0
    .max_flat_workgroup_size: 128
    .name:           _ZN2at6native32elementwise_kernel_manual_unrollILi128ELi4EZNS0_12_GLOBAL__N_142type_specialized_broadcast_kernel_launcherILi0EE5applyINS0_13BinaryFunctorIfffZZZNS2_33hermite_polynomial_he_kernel_cudaERNS_18TensorIteratorBaseEENKUlvE_clEvENKUlvE0_clEvEUlffE_EESt5arrayIPcLm3EESD_IN3c1010ScalarTypeELm3EE16OffsetCalculatorILi3EjLb0EEEEvlT_T0_T1_T2_EUlibE_EEviSN_
    .private_segment_fixed_size: 0
    .sgpr_count:     58
    .sgpr_spill_count: 0
    .symbol:         _ZN2at6native32elementwise_kernel_manual_unrollILi128ELi4EZNS0_12_GLOBAL__N_142type_specialized_broadcast_kernel_launcherILi0EE5applyINS0_13BinaryFunctorIfffZZZNS2_33hermite_polynomial_he_kernel_cudaERNS_18TensorIteratorBaseEENKUlvE_clEvENKUlvE0_clEvEUlffE_EESt5arrayIPcLm3EESD_IN3c1010ScalarTypeELm3EE16OffsetCalculatorILi3EjLb0EEEEvlT_T0_T1_T2_EUlibE_EEviSN_.kd
    .uniform_work_group_size: 1
    .uses_dynamic_stack: false
    .vgpr_count:     25
    .vgpr_spill_count: 0
    .wavefront_size: 64
  - .agpr_count:     0
    .args:
      - .offset:         0
        .size:           4
        .value_kind:     by_value
      - .offset:         8
        .size:           424
        .value_kind:     by_value
    .group_segment_fixed_size: 0
    .kernarg_segment_align: 8
    .kernarg_segment_size: 432
    .language:       OpenCL C
    .language_version:
      - 2
      - 0
    .max_flat_workgroup_size: 128
    .name:           _ZN2at6native32elementwise_kernel_manual_unrollILi128ELi4EZNS0_12_GLOBAL__N_142type_specialized_broadcast_kernel_launcherILi1EE5applyINS0_13BinaryFunctorIfffZZZNS2_33hermite_polynomial_he_kernel_cudaERNS_18TensorIteratorBaseEENKUlvE_clEvENKUlvE0_clEvEUlffE_EESt5arrayIPcLm3EESD_IN3c1010ScalarTypeELm3EE16OffsetCalculatorILi3EjLb0EEEEvlT_T0_T1_T2_EUlibE_EEviSN_
    .private_segment_fixed_size: 0
    .sgpr_count:     58
    .sgpr_spill_count: 0
    .symbol:         _ZN2at6native32elementwise_kernel_manual_unrollILi128ELi4EZNS0_12_GLOBAL__N_142type_specialized_broadcast_kernel_launcherILi1EE5applyINS0_13BinaryFunctorIfffZZZNS2_33hermite_polynomial_he_kernel_cudaERNS_18TensorIteratorBaseEENKUlvE_clEvENKUlvE0_clEvEUlffE_EESt5arrayIPcLm3EESD_IN3c1010ScalarTypeELm3EE16OffsetCalculatorILi3EjLb0EEEEvlT_T0_T1_T2_EUlibE_EEviSN_.kd
    .uniform_work_group_size: 1
    .uses_dynamic_stack: false
    .vgpr_count:     25
    .vgpr_spill_count: 0
    .wavefront_size: 64
  - .agpr_count:     0
    .args:
      - .offset:         0
        .size:           4
        .value_kind:     by_value
      - .offset:         8
        .size:           424
        .value_kind:     by_value
    .group_segment_fixed_size: 0
    .kernarg_segment_align: 8
    .kernarg_segment_size: 432
    .language:       OpenCL C
    .language_version:
      - 2
      - 0
    .max_flat_workgroup_size: 128
    .name:           _ZN2at6native32elementwise_kernel_manual_unrollILi128ELi4EZNS0_12_GLOBAL__N_142type_specialized_broadcast_kernel_launcherILi2EE5applyINS0_13BinaryFunctorIfffZZZNS2_33hermite_polynomial_he_kernel_cudaERNS_18TensorIteratorBaseEENKUlvE_clEvENKUlvE0_clEvEUlffE_EESt5arrayIPcLm3EESD_IN3c1010ScalarTypeELm3EE16OffsetCalculatorILi3EjLb0EEEEvlT_T0_T1_T2_EUlibE_EEviSN_
    .private_segment_fixed_size: 0
    .sgpr_count:     58
    .sgpr_spill_count: 0
    .symbol:         _ZN2at6native32elementwise_kernel_manual_unrollILi128ELi4EZNS0_12_GLOBAL__N_142type_specialized_broadcast_kernel_launcherILi2EE5applyINS0_13BinaryFunctorIfffZZZNS2_33hermite_polynomial_he_kernel_cudaERNS_18TensorIteratorBaseEENKUlvE_clEvENKUlvE0_clEvEUlffE_EESt5arrayIPcLm3EESD_IN3c1010ScalarTypeELm3EE16OffsetCalculatorILi3EjLb0EEEEvlT_T0_T1_T2_EUlibE_EEviSN_.kd
    .uniform_work_group_size: 1
    .uses_dynamic_stack: false
    .vgpr_count:     25
    .vgpr_spill_count: 0
    .wavefront_size: 64
  - .agpr_count:     0
    .args:
      - .offset:         0
        .size:           4
        .value_kind:     by_value
      - .offset:         8
        .size:           424
        .value_kind:     by_value
    .group_segment_fixed_size: 0
    .kernarg_segment_align: 8
    .kernarg_segment_size: 432
    .language:       OpenCL C
    .language_version:
      - 2
      - 0
    .max_flat_workgroup_size: 128
    .name:           _ZN2at6native32elementwise_kernel_manual_unrollILi128ELi4EZNS0_12_GLOBAL__N_142type_specialized_broadcast_kernel_launcherILi3EE5applyINS0_13BinaryFunctorIfffZZZNS2_33hermite_polynomial_he_kernel_cudaERNS_18TensorIteratorBaseEENKUlvE_clEvENKUlvE0_clEvEUlffE_EESt5arrayIPcLm3EESD_IN3c1010ScalarTypeELm3EE16OffsetCalculatorILi3EjLb0EEEEvlT_T0_T1_T2_EUlibE_EEviSN_
    .private_segment_fixed_size: 0
    .sgpr_count:     58
    .sgpr_spill_count: 0
    .symbol:         _ZN2at6native32elementwise_kernel_manual_unrollILi128ELi4EZNS0_12_GLOBAL__N_142type_specialized_broadcast_kernel_launcherILi3EE5applyINS0_13BinaryFunctorIfffZZZNS2_33hermite_polynomial_he_kernel_cudaERNS_18TensorIteratorBaseEENKUlvE_clEvENKUlvE0_clEvEUlffE_EESt5arrayIPcLm3EESD_IN3c1010ScalarTypeELm3EE16OffsetCalculatorILi3EjLb0EEEEvlT_T0_T1_T2_EUlibE_EEviSN_.kd
    .uniform_work_group_size: 1
    .uses_dynamic_stack: false
    .vgpr_count:     25
    .vgpr_spill_count: 0
    .wavefront_size: 64
  - .agpr_count:     0
    .args:
      - .offset:         0
        .size:           4
        .value_kind:     by_value
      - .offset:         8
        .size:           424
        .value_kind:     by_value
    .group_segment_fixed_size: 0
    .kernarg_segment_align: 8
    .kernarg_segment_size: 432
    .language:       OpenCL C
    .language_version:
      - 2
      - 0
    .max_flat_workgroup_size: 128
    .name:           _ZN2at6native32elementwise_kernel_manual_unrollILi128ELi4EZNS0_12_GLOBAL__N_142type_specialized_broadcast_kernel_launcherILi4EE5applyINS0_13BinaryFunctorIfffZZZNS2_33hermite_polynomial_he_kernel_cudaERNS_18TensorIteratorBaseEENKUlvE_clEvENKUlvE0_clEvEUlffE_EESt5arrayIPcLm3EESD_IN3c1010ScalarTypeELm3EE16OffsetCalculatorILi3EjLb0EEEEvlT_T0_T1_T2_EUlibE_EEviSN_
    .private_segment_fixed_size: 0
    .sgpr_count:     58
    .sgpr_spill_count: 0
    .symbol:         _ZN2at6native32elementwise_kernel_manual_unrollILi128ELi4EZNS0_12_GLOBAL__N_142type_specialized_broadcast_kernel_launcherILi4EE5applyINS0_13BinaryFunctorIfffZZZNS2_33hermite_polynomial_he_kernel_cudaERNS_18TensorIteratorBaseEENKUlvE_clEvENKUlvE0_clEvEUlffE_EESt5arrayIPcLm3EESD_IN3c1010ScalarTypeELm3EE16OffsetCalculatorILi3EjLb0EEEEvlT_T0_T1_T2_EUlibE_EEviSN_.kd
    .uniform_work_group_size: 1
    .uses_dynamic_stack: false
    .vgpr_count:     25
    .vgpr_spill_count: 0
    .wavefront_size: 64
  - .agpr_count:     0
    .args:
      - .offset:         0
        .size:           4
        .value_kind:     by_value
      - .offset:         8
        .size:           424
        .value_kind:     by_value
    .group_segment_fixed_size: 0
    .kernarg_segment_align: 8
    .kernarg_segment_size: 432
    .language:       OpenCL C
    .language_version:
      - 2
      - 0
    .max_flat_workgroup_size: 128
    .name:           _ZN2at6native32elementwise_kernel_manual_unrollILi128ELi4EZNS0_12_GLOBAL__N_142type_specialized_broadcast_kernel_launcherILi5EE5applyINS0_13BinaryFunctorIfffZZZNS2_33hermite_polynomial_he_kernel_cudaERNS_18TensorIteratorBaseEENKUlvE_clEvENKUlvE0_clEvEUlffE_EESt5arrayIPcLm3EESD_IN3c1010ScalarTypeELm3EE16OffsetCalculatorILi3EjLb0EEEEvlT_T0_T1_T2_EUlibE_EEviSN_
    .private_segment_fixed_size: 0
    .sgpr_count:     58
    .sgpr_spill_count: 0
    .symbol:         _ZN2at6native32elementwise_kernel_manual_unrollILi128ELi4EZNS0_12_GLOBAL__N_142type_specialized_broadcast_kernel_launcherILi5EE5applyINS0_13BinaryFunctorIfffZZZNS2_33hermite_polynomial_he_kernel_cudaERNS_18TensorIteratorBaseEENKUlvE_clEvENKUlvE0_clEvEUlffE_EESt5arrayIPcLm3EESD_IN3c1010ScalarTypeELm3EE16OffsetCalculatorILi3EjLb0EEEEvlT_T0_T1_T2_EUlibE_EEviSN_.kd
    .uniform_work_group_size: 1
    .uses_dynamic_stack: false
    .vgpr_count:     25
    .vgpr_spill_count: 0
    .wavefront_size: 64
  - .agpr_count:     0
    .args:
      - .offset:         0
        .size:           4
        .value_kind:     by_value
      - .offset:         8
        .size:           424
        .value_kind:     by_value
    .group_segment_fixed_size: 0
    .kernarg_segment_align: 8
    .kernarg_segment_size: 432
    .language:       OpenCL C
    .language_version:
      - 2
      - 0
    .max_flat_workgroup_size: 128
    .name:           _ZN2at6native32elementwise_kernel_manual_unrollILi128ELi4EZNS0_15gpu_kernel_implINS0_13BinaryFunctorIfffZZZNS0_12_GLOBAL__N_133hermite_polynomial_he_kernel_cudaERNS_18TensorIteratorBaseEENKUlvE_clEvENKUlvE0_clEvEUlffE_EEEEvS6_RKT_EUlibE0_EEviT1_
    .private_segment_fixed_size: 0
    .sgpr_count:     82
    .sgpr_spill_count: 0
    .symbol:         _ZN2at6native32elementwise_kernel_manual_unrollILi128ELi4EZNS0_15gpu_kernel_implINS0_13BinaryFunctorIfffZZZNS0_12_GLOBAL__N_133hermite_polynomial_he_kernel_cudaERNS_18TensorIteratorBaseEENKUlvE_clEvENKUlvE0_clEvEUlffE_EEEEvS6_RKT_EUlibE0_EEviT1_.kd
    .uniform_work_group_size: 1
    .uses_dynamic_stack: false
    .vgpr_count:     26
    .vgpr_spill_count: 0
    .wavefront_size: 64
amdhsa.target:   amdgcn-amd-amdhsa--gfx90a
amdhsa.version:
  - 1
  - 2
...

	.end_amdgpu_metadata
